;; amdgpu-corpus repo=vllm-project/vllm kind=compiled arch=gfx942 opt=O3
	.text
	.amdgcn_target "amdgcn-amd-amdhsa--gfx942"
	.amdhsa_code_object_version 6
	.section	.text._Z14LLGemm1_kernelIN3c104HalfELi2EEvPKT_S4_PS2_i,"axG",@progbits,_Z14LLGemm1_kernelIN3c104HalfELi2EEvPKT_S4_PS2_i,comdat
	.protected	_Z14LLGemm1_kernelIN3c104HalfELi2EEvPKT_S4_PS2_i ; -- Begin function _Z14LLGemm1_kernelIN3c104HalfELi2EEvPKT_S4_PS2_i
	.globl	_Z14LLGemm1_kernelIN3c104HalfELi2EEvPKT_S4_PS2_i
	.p2align	8
	.type	_Z14LLGemm1_kernelIN3c104HalfELi2EEvPKT_S4_PS2_i,@function
_Z14LLGemm1_kernelIN3c104HalfELi2EEvPKT_S4_PS2_i: ; @_Z14LLGemm1_kernelIN3c104HalfELi2EEvPKT_S4_PS2_i
; %bb.0:
	s_load_dword s3, s[0:1], 0x18
	s_load_dwordx4 s[4:7], s[0:1], 0x0
	s_load_dwordx2 s[8:9], s[0:1], 0x10
	v_lshlrev_b32_e32 v1, 3, v0
                                        ; implicit-def: $vgpr9
                                        ; implicit-def: $vgpr2
                                        ; implicit-def: $vgpr10
	s_waitcnt lgkmcnt(0)
	v_cmp_gt_i32_e32 vcc, s3, v1
	s_and_saveexec_b64 s[10:11], vcc
	s_cbranch_execz .LBB0_2
; %bb.1:
	v_mov_b32_e32 v2, s4
	s_mul_i32 s4, s2, s3
	s_bfe_u32 s4, s4, 0x1d0002
	v_mov_b32_e32 v3, s5
	v_add_u32_e32 v4, s4, v0
	v_mov_b32_e32 v5, 0
	s_lshr_b32 s4, s3, 3
	s_mov_b32 s5, 0
	v_lshl_add_u64 v[6:7], v[4:5], 4, v[2:3]
	v_lshl_add_u64 v[8:9], s[4:5], 4, v[6:7]
	v_lshlrev_b32_e32 v1, 4, v0
	global_load_dwordx4 v[10:13], v[6:7], off nt
	global_load_dwordx4 v[2:5], v[8:9], off nt
	s_nop 0
	global_load_dwordx4 v[6:9], v1, s[6:7]
.LBB0_2:
	s_or_b64 exec, exec, s[10:11]
	s_waitcnt vmcnt(0)
	v_pk_mul_f16 v2, v6, v2
	v_pk_mul_f16 v1, v6, v10
	v_pk_fma_f16 v2, v3, v7, v2
	v_pk_fma_f16 v1, v11, v7, v1
	;; [unrolled: 1-line block ×5, first 2 shown]
	v_mbcnt_lo_u32_b32 v2, -1, 0
	v_mbcnt_hi_u32_b32 v10, -1, v2
	v_pk_fma_f16 v1, v13, v9, v1
	v_and_b32_e32 v2, 64, v10
	v_add_u32_e32 v11, 64, v2
	v_cvt_f32_f16_e32 v3, v4
	v_cvt_f32_f16_e32 v2, v1
	v_cvt_f32_f16_sdwa v5, v4 dst_sel:DWORD dst_unused:UNUSED_PAD src0_sel:WORD_1
	v_cvt_f32_f16_sdwa v4, v1 dst_sel:DWORD dst_unused:UNUSED_PAD src0_sel:WORD_1
	v_xor_b32_e32 v6, 32, v10
	v_cmp_lt_i32_e64 s[4:5], v6, v11
	v_pk_add_f32 v[2:3], v[2:3], v[4:5]
	s_nop 0
	v_cndmask_b32_e64 v1, v10, v6, s[4:5]
	v_lshlrev_b32_e32 v1, 2, v1
	v_cndmask_b32_e32 v3, 0, v3, vcc
	v_cndmask_b32_e32 v2, 0, v2, vcc
	ds_bpermute_b32 v4, v1, v2
	ds_bpermute_b32 v5, v1, v3
	v_xor_b32_e32 v1, 16, v10
	v_cmp_lt_i32_e32 vcc, v1, v11
	s_waitcnt lgkmcnt(0)
	v_pk_add_f32 v[2:3], v[2:3], v[4:5]
	v_cndmask_b32_e32 v1, v10, v1, vcc
	v_lshlrev_b32_e32 v1, 2, v1
	ds_bpermute_b32 v6, v1, v2
	ds_bpermute_b32 v7, v1, v3
	v_xor_b32_e32 v4, 8, v10
	v_cmp_lt_i32_e32 vcc, v4, v11
	v_xor_b32_e32 v5, 4, v10
	s_waitcnt lgkmcnt(0)
	v_pk_add_f32 v[2:3], v[2:3], v[6:7]
	v_cndmask_b32_e32 v4, v10, v4, vcc
	v_lshlrev_b32_e32 v4, 2, v4
	ds_bpermute_b32 v6, v4, v2
	ds_bpermute_b32 v7, v4, v3
	v_cmp_lt_i32_e32 vcc, v5, v11
	s_waitcnt lgkmcnt(0)
	v_pk_add_f32 v[2:3], v[2:3], v[6:7]
	v_cndmask_b32_e32 v5, v10, v5, vcc
	v_lshlrev_b32_e32 v5, 2, v5
	ds_bpermute_b32 v8, v5, v2
	ds_bpermute_b32 v9, v5, v3
	v_xor_b32_e32 v6, 2, v10
	v_cmp_lt_i32_e32 vcc, v6, v11
	v_xor_b32_e32 v7, 1, v10
	s_waitcnt lgkmcnt(0)
	v_pk_add_f32 v[2:3], v[2:3], v[8:9]
	v_cndmask_b32_e32 v6, v10, v6, vcc
	v_lshlrev_b32_e32 v6, 2, v6
	ds_bpermute_b32 v8, v6, v2
	ds_bpermute_b32 v9, v6, v3
	v_cmp_lt_i32_e32 vcc, v7, v11
	s_waitcnt lgkmcnt(0)
	v_pk_add_f32 v[2:3], v[2:3], v[8:9]
	v_cndmask_b32_e32 v7, v10, v7, vcc
	v_lshlrev_b32_e32 v7, 2, v7
	ds_bpermute_b32 v8, v7, v2
	ds_bpermute_b32 v9, v7, v3
	v_and_b32_e32 v10, 63, v0
	v_cmp_gt_u32_e32 vcc, 2, v10
	s_and_saveexec_b64 s[4:5], vcc
	s_cbranch_execz .LBB0_4
; %bb.3:
	v_lshrrev_b32_e32 v11, 4, v0
	v_cmp_eq_u32_e32 vcc, 1, v10
	v_and_b32_e32 v11, 60, v11
	v_lshl_or_b32 v11, v10, 8, v11
	s_waitcnt lgkmcnt(0)
	v_cndmask_b32_e32 v8, v8, v9, vcc
	v_cndmask_b32_e32 v2, v2, v3, vcc
	v_add_f32_e32 v2, v2, v8
	ds_write_b32 v11, v2
.LBB0_4:
	s_or_b64 exec, exec, s[4:5]
	v_cmp_gt_u32_e32 vcc, 32, v0
	s_waitcnt lgkmcnt(0)
	s_barrier
	s_and_saveexec_b64 s[4:5], vcc
	s_cbranch_execz .LBB0_9
; %bb.5:
	s_load_dword s0, s[0:1], 0x2c
	v_and_b32_e32 v3, 15, v0
	v_mov_b32_e32 v2, 0
	s_waitcnt lgkmcnt(0)
	s_and_b32 s0, 0xffff, s0
	s_lshr_b32 s0, s0, 6
	v_cmp_gt_u32_e32 vcc, s0, v3
	s_and_saveexec_b64 s[0:1], vcc
	s_cbranch_execz .LBB0_7
; %bb.6:
	v_lshlrev_b32_e32 v2, 2, v3
	v_lshlrev_b32_e32 v3, 4, v0
	s_movk_i32 s3, 0x3f00
	v_and_or_b32 v2, v3, s3, v2
	ds_read_b32 v2, v2
.LBB0_7:
	s_or_b64 exec, exec, s[0:1]
	s_waitcnt lgkmcnt(0)
	ds_bpermute_b32 v3, v4, v2
	s_mov_b32 s1, 0
	v_cmp_eq_u32_e32 vcc, 0, v0
	s_waitcnt lgkmcnt(0)
	v_add_f32_e32 v2, v2, v3
	ds_bpermute_b32 v3, v5, v2
	s_waitcnt lgkmcnt(0)
	v_add_f32_e32 v2, v2, v3
	ds_bpermute_b32 v3, v6, v2
	;; [unrolled: 3-line block ×4, first 2 shown]
	s_and_b64 exec, exec, vcc
	s_cbranch_execz .LBB0_9
; %bb.8:
	v_cvt_f16_f32_e32 v0, v2
	s_waitcnt lgkmcnt(0)
	v_cvt_f16_f32_e32 v1, v1
	s_and_b32 s0, s2, 0x7fffffff
	s_lshl_b64 s[0:1], s[0:1], 2
	s_add_u32 s0, s8, s0
	v_pack_b32_f16 v0, v0, v1
	s_addc_u32 s1, s9, s1
	v_mov_b32_e32 v1, 0
	global_store_dword v1, v0, s[0:1]
.LBB0_9:
	s_endpgm
	.section	.rodata,"a",@progbits
	.p2align	6, 0x0
	.amdhsa_kernel _Z14LLGemm1_kernelIN3c104HalfELi2EEvPKT_S4_PS2_i
		.amdhsa_group_segment_fixed_size 512
		.amdhsa_private_segment_fixed_size 0
		.amdhsa_kernarg_size 288
		.amdhsa_user_sgpr_count 2
		.amdhsa_user_sgpr_dispatch_ptr 0
		.amdhsa_user_sgpr_queue_ptr 0
		.amdhsa_user_sgpr_kernarg_segment_ptr 1
		.amdhsa_user_sgpr_dispatch_id 0
		.amdhsa_user_sgpr_kernarg_preload_length 0
		.amdhsa_user_sgpr_kernarg_preload_offset 0
		.amdhsa_user_sgpr_private_segment_size 0
		.amdhsa_uses_dynamic_stack 0
		.amdhsa_enable_private_segment 0
		.amdhsa_system_sgpr_workgroup_id_x 1
		.amdhsa_system_sgpr_workgroup_id_y 0
		.amdhsa_system_sgpr_workgroup_id_z 0
		.amdhsa_system_sgpr_workgroup_info 0
		.amdhsa_system_vgpr_workitem_id 0
		.amdhsa_next_free_vgpr 14
		.amdhsa_next_free_sgpr 12
		.amdhsa_accum_offset 16
		.amdhsa_reserve_vcc 1
		.amdhsa_float_round_mode_32 0
		.amdhsa_float_round_mode_16_64 0
		.amdhsa_float_denorm_mode_32 3
		.amdhsa_float_denorm_mode_16_64 3
		.amdhsa_dx10_clamp 1
		.amdhsa_ieee_mode 1
		.amdhsa_fp16_overflow 0
		.amdhsa_tg_split 0
		.amdhsa_exception_fp_ieee_invalid_op 0
		.amdhsa_exception_fp_denorm_src 0
		.amdhsa_exception_fp_ieee_div_zero 0
		.amdhsa_exception_fp_ieee_overflow 0
		.amdhsa_exception_fp_ieee_underflow 0
		.amdhsa_exception_fp_ieee_inexact 0
		.amdhsa_exception_int_div_zero 0
	.end_amdhsa_kernel
	.section	.text._Z14LLGemm1_kernelIN3c104HalfELi2EEvPKT_S4_PS2_i,"axG",@progbits,_Z14LLGemm1_kernelIN3c104HalfELi2EEvPKT_S4_PS2_i,comdat
.Lfunc_end0:
	.size	_Z14LLGemm1_kernelIN3c104HalfELi2EEvPKT_S4_PS2_i, .Lfunc_end0-_Z14LLGemm1_kernelIN3c104HalfELi2EEvPKT_S4_PS2_i
                                        ; -- End function
	.section	.AMDGPU.csdata,"",@progbits
; Kernel info:
; codeLenInByte = 836
; NumSgprs: 18
; NumVgprs: 14
; NumAgprs: 0
; TotalNumVgprs: 14
; ScratchSize: 0
; MemoryBound: 0
; FloatMode: 240
; IeeeMode: 1
; LDSByteSize: 512 bytes/workgroup (compile time only)
; SGPRBlocks: 2
; VGPRBlocks: 1
; NumSGPRsForWavesPerEU: 18
; NumVGPRsForWavesPerEU: 14
; AccumOffset: 16
; Occupancy: 8
; WaveLimiterHint : 0
; COMPUTE_PGM_RSRC2:SCRATCH_EN: 0
; COMPUTE_PGM_RSRC2:USER_SGPR: 2
; COMPUTE_PGM_RSRC2:TRAP_HANDLER: 0
; COMPUTE_PGM_RSRC2:TGID_X_EN: 1
; COMPUTE_PGM_RSRC2:TGID_Y_EN: 0
; COMPUTE_PGM_RSRC2:TGID_Z_EN: 0
; COMPUTE_PGM_RSRC2:TIDIG_COMP_CNT: 0
; COMPUTE_PGM_RSRC3_GFX90A:ACCUM_OFFSET: 3
; COMPUTE_PGM_RSRC3_GFX90A:TG_SPLIT: 0
	.section	.text._Z14LLGemm1_kernelIN3c104HalfELi4EEvPKT_S4_PS2_i,"axG",@progbits,_Z14LLGemm1_kernelIN3c104HalfELi4EEvPKT_S4_PS2_i,comdat
	.protected	_Z14LLGemm1_kernelIN3c104HalfELi4EEvPKT_S4_PS2_i ; -- Begin function _Z14LLGemm1_kernelIN3c104HalfELi4EEvPKT_S4_PS2_i
	.globl	_Z14LLGemm1_kernelIN3c104HalfELi4EEvPKT_S4_PS2_i
	.p2align	8
	.type	_Z14LLGemm1_kernelIN3c104HalfELi4EEvPKT_S4_PS2_i,@function
_Z14LLGemm1_kernelIN3c104HalfELi4EEvPKT_S4_PS2_i: ; @_Z14LLGemm1_kernelIN3c104HalfELi4EEvPKT_S4_PS2_i
; %bb.0:
	s_load_dword s3, s[0:1], 0x18
	s_load_dwordx4 s[4:7], s[0:1], 0x0
	s_load_dwordx2 s[8:9], s[0:1], 0x10
	v_lshlrev_b32_e32 v1, 3, v0
                                        ; implicit-def: $vgpr9
                                        ; implicit-def: $vgpr2
                                        ; implicit-def: $vgpr14
                                        ; implicit-def: $vgpr10
                                        ; implicit-def: $vgpr18
	s_waitcnt lgkmcnt(0)
	v_cmp_gt_i32_e32 vcc, s3, v1
	s_and_saveexec_b64 s[10:11], vcc
	s_cbranch_execz .LBB1_2
; %bb.1:
	s_mul_i32 s12, s2, s3
	s_bfe_u32 s12, s12, 0x1d0001
	v_add_u32_e32 v2, s12, v0
	s_lshr_b32 s12, s3, 3
	v_mov_b32_e32 v3, 0
	s_mov_b32 s13, 0
	v_lshl_add_u64 v[4:5], v[2:3], 4, s[4:5]
	s_add_i32 s3, s12, s12
	v_lshl_add_u64 v[6:7], s[12:13], 4, v[4:5]
	v_add_u32_e32 v2, s3, v2
	global_load_dwordx4 v[18:21], v[4:5], off nt
	global_load_dwordx4 v[10:13], v[6:7], off nt
	v_lshl_add_u64 v[6:7], v[2:3], 4, s[4:5]
	v_add_u32_e32 v2, s12, v2
	v_lshl_add_u64 v[8:9], v[2:3], 4, s[4:5]
	v_lshlrev_b32_e32 v1, 4, v0
	global_load_dwordx4 v[14:17], v[6:7], off nt
	global_load_dwordx4 v[2:5], v[8:9], off nt
	s_nop 0
	global_load_dwordx4 v[6:9], v1, s[6:7]
.LBB1_2:
	s_or_b64 exec, exec, s[10:11]
	s_waitcnt vmcnt(0)
	v_pk_mul_f16 v1, v6, v18
	s_nop 0
	v_pk_fma_f16 v1, v19, v7, v1
	s_nop 0
	v_pk_fma_f16 v1, v20, v8, v1
	s_nop 0
	v_pk_fma_f16 v18, v21, v9, v1
	v_pk_mul_f16 v1, v6, v10
	s_nop 0
	v_pk_fma_f16 v1, v11, v7, v1
	s_nop 0
	v_pk_fma_f16 v1, v12, v8, v1
	s_nop 0
	v_pk_fma_f16 v10, v13, v9, v1
	;; [unrolled: 7-line block ×3, first 2 shown]
	v_pk_mul_f16 v1, v6, v2
	s_nop 0
	v_pk_fma_f16 v1, v3, v7, v1
	v_cvt_f32_f16_e32 v3, v10
	v_pk_fma_f16 v1, v4, v8, v1
	v_cvt_f32_f16_sdwa v4, v18 dst_sel:DWORD dst_unused:UNUSED_PAD src0_sel:WORD_1
	v_pk_fma_f16 v7, v5, v9, v1
	v_mbcnt_lo_u32_b32 v1, -1, 0
	v_mbcnt_hi_u32_b32 v14, -1, v1
	v_and_b32_e32 v1, 64, v14
	v_add_u32_e32 v15, 64, v1
	v_xor_b32_e32 v1, 32, v14
	v_cmp_lt_i32_e64 s[4:5], v1, v15
	v_xor_b32_e32 v2, 8, v14
	v_cvt_f32_f16_sdwa v5, v10 dst_sel:DWORD dst_unused:UNUSED_PAD src0_sel:WORD_1
	v_cndmask_b32_e64 v1, v14, v1, s[4:5]
	v_lshlrev_b32_e32 v12, 2, v1
	v_xor_b32_e32 v1, 16, v14
	v_cmp_lt_i32_e64 s[4:5], v1, v15
	v_xor_b32_e32 v8, 4, v14
	v_cvt_f32_f16_sdwa v9, v7 dst_sel:DWORD dst_unused:UNUSED_PAD src0_sel:WORD_1
	v_cndmask_b32_e64 v1, v14, v1, s[4:5]
	v_cmp_lt_i32_e64 s[4:5], v2, v15
	v_lshlrev_b32_e32 v1, 2, v1
	s_nop 0
	v_cndmask_b32_e64 v2, v14, v2, s[4:5]
	v_lshlrev_b32_e32 v6, 2, v2
	v_cvt_f32_f16_e32 v2, v18
	v_cmp_lt_i32_e64 s[4:5], v8, v15
	v_pk_add_f32 v[2:3], v[2:3], v[4:5]
	s_nop 0
	v_cndmask_b32_e64 v13, v14, v8, s[4:5]
	v_cvt_f32_f16_e32 v5, v7
	v_cvt_f32_f16_e32 v4, v11
	v_cvt_f32_f16_sdwa v8, v11 dst_sel:DWORD dst_unused:UNUSED_PAD src0_sel:WORD_1
	v_cndmask_b32_e32 v3, 0, v3, vcc
	v_cndmask_b32_e32 v2, 0, v2, vcc
	ds_bpermute_b32 v10, v12, v2
	v_pk_add_f32 v[4:5], v[4:5], v[8:9]
	ds_bpermute_b32 v11, v12, v3
	v_cndmask_b32_e32 v5, 0, v5, vcc
	v_cndmask_b32_e32 v4, 0, v4, vcc
	ds_bpermute_b32 v8, v12, v4
	ds_bpermute_b32 v9, v12, v5
	s_waitcnt lgkmcnt(2)
	v_pk_add_f32 v[2:3], v[2:3], v[10:11]
	ds_bpermute_b32 v10, v1, v2
	ds_bpermute_b32 v11, v1, v3
	v_xor_b32_e32 v12, 2, v14
	s_waitcnt lgkmcnt(2)
	v_pk_add_f32 v[4:5], v[4:5], v[8:9]
	ds_bpermute_b32 v8, v1, v4
	ds_bpermute_b32 v9, v1, v5
	s_waitcnt lgkmcnt(2)
	v_pk_add_f32 v[2:3], v[2:3], v[10:11]
	ds_bpermute_b32 v10, v6, v2
	ds_bpermute_b32 v11, v6, v3
	v_lshlrev_b32_e32 v7, 2, v13
	s_waitcnt lgkmcnt(2)
	v_pk_add_f32 v[4:5], v[4:5], v[8:9]
	ds_bpermute_b32 v8, v6, v4
	ds_bpermute_b32 v9, v6, v5
	v_cmp_lt_i32_e32 vcc, v12, v15
	s_waitcnt lgkmcnt(2)
	v_pk_add_f32 v[2:3], v[2:3], v[10:11]
	ds_bpermute_b32 v10, v7, v2
	v_cndmask_b32_e32 v16, v14, v12, vcc
	s_waitcnt lgkmcnt(1)
	v_pk_add_f32 v[4:5], v[4:5], v[8:9]
	ds_bpermute_b32 v11, v7, v3
	ds_bpermute_b32 v12, v7, v4
	;; [unrolled: 1-line block ×3, first 2 shown]
	v_lshlrev_b32_e32 v8, 2, v16
	v_xor_b32_e32 v9, 1, v14
	s_waitcnt lgkmcnt(2)
	v_pk_add_f32 v[2:3], v[2:3], v[10:11]
	ds_bpermute_b32 v10, v8, v2
	s_waitcnt lgkmcnt(1)
	v_pk_add_f32 v[4:5], v[4:5], v[12:13]
	ds_bpermute_b32 v11, v8, v3
	ds_bpermute_b32 v12, v8, v4
	;; [unrolled: 1-line block ×3, first 2 shown]
	v_cmp_lt_i32_e32 vcc, v9, v15
	s_waitcnt lgkmcnt(2)
	v_pk_add_f32 v[2:3], v[2:3], v[10:11]
	v_cndmask_b32_e32 v9, v14, v9, vcc
	s_waitcnt lgkmcnt(0)
	v_pk_add_f32 v[4:5], v[4:5], v[12:13]
	v_lshlrev_b32_e32 v9, 2, v9
	ds_bpermute_b32 v11, v9, v2
	ds_bpermute_b32 v14, v9, v3
	;; [unrolled: 1-line block ×4, first 2 shown]
	v_and_b32_e32 v13, 63, v0
	v_cmp_gt_u32_e32 vcc, 4, v13
	s_and_saveexec_b64 s[10:11], vcc
	s_cbranch_execz .LBB1_4
; %bb.3:
	v_cmp_eq_u32_e32 vcc, 1, v13
	v_cmp_eq_u32_e64 s[4:5], 2, v13
	v_lshrrev_b32_e32 v15, 4, v0
	s_waitcnt lgkmcnt(2)
	v_cndmask_b32_e32 v11, v11, v14, vcc
	v_cndmask_b32_e32 v2, v2, v3, vcc
	s_waitcnt lgkmcnt(1)
	v_cndmask_b32_e64 v11, v11, v12, s[4:5]
	v_cmp_eq_u32_e64 s[6:7], 3, v13
	v_cndmask_b32_e64 v2, v2, v4, s[4:5]
	v_and_b32_e32 v15, 60, v15
	s_waitcnt lgkmcnt(0)
	v_cndmask_b32_e64 v10, v11, v10, s[6:7]
	v_cndmask_b32_e64 v2, v2, v5, s[6:7]
	v_lshl_or_b32 v15, v13, 8, v15
	v_add_f32_e32 v2, v2, v10
	ds_write_b32 v15, v2
.LBB1_4:
	s_or_b64 exec, exec, s[10:11]
	v_cmp_gt_u32_e32 vcc, 64, v0
	s_waitcnt lgkmcnt(0)
	s_barrier
	s_and_saveexec_b64 s[4:5], vcc
	s_cbranch_execz .LBB1_9
; %bb.5:
	s_load_dword s0, s[0:1], 0x2c
	v_and_b32_e32 v3, 15, v0
	v_mov_b32_e32 v2, 0
	s_waitcnt lgkmcnt(0)
	s_and_b32 s0, 0xffff, s0
	s_lshr_b32 s0, s0, 6
	v_cmp_gt_u32_e32 vcc, s0, v3
	s_and_saveexec_b64 s[0:1], vcc
	s_cbranch_execz .LBB1_7
; %bb.6:
	v_lshlrev_b32_e32 v2, 2, v3
	v_lshlrev_b32_e32 v3, 4, v0
	s_movk_i32 s3, 0x3f00
	v_and_or_b32 v2, v3, s3, v2
	ds_read_b32 v2, v2
.LBB1_7:
	s_or_b64 exec, exec, s[0:1]
	s_waitcnt lgkmcnt(0)
	ds_bpermute_b32 v3, v6, v2
	s_waitcnt lgkmcnt(0)
	v_add_f32_e32 v2, v2, v3
	ds_bpermute_b32 v3, v7, v2
	s_waitcnt lgkmcnt(0)
	v_add_f32_e32 v2, v2, v3
	;; [unrolled: 3-line block ×4, first 2 shown]
	ds_bpermute_b32 v1, v1, v2
	v_and_b32_e32 v3, 31, v0
	v_cmp_eq_u32_e32 vcc, 0, v3
	s_and_b64 exec, exec, vcc
	s_cbranch_execz .LBB1_9
; %bb.8:
	v_cvt_f16_f32_e32 v4, v2
	s_waitcnt lgkmcnt(0)
	v_cvt_f16_f32_e32 v1, v1
	s_lshl_b32 s0, s2, 1
	s_and_b32 s0, s0, 0x7ffffffe
	v_lshrrev_b32_e32 v0, 5, v0
	v_mov_b32_e32 v2, s8
	v_mov_b32_e32 v3, s9
	v_pack_b32_f16 v4, v4, v1
	v_or_b32_e32 v0, s0, v0
	v_mov_b32_e32 v1, 0
	v_lshl_add_u64 v[0:1], v[0:1], 2, v[2:3]
	global_store_dword v[0:1], v4, off
.LBB1_9:
	s_endpgm
	.section	.rodata,"a",@progbits
	.p2align	6, 0x0
	.amdhsa_kernel _Z14LLGemm1_kernelIN3c104HalfELi4EEvPKT_S4_PS2_i
		.amdhsa_group_segment_fixed_size 1024
		.amdhsa_private_segment_fixed_size 0
		.amdhsa_kernarg_size 288
		.amdhsa_user_sgpr_count 2
		.amdhsa_user_sgpr_dispatch_ptr 0
		.amdhsa_user_sgpr_queue_ptr 0
		.amdhsa_user_sgpr_kernarg_segment_ptr 1
		.amdhsa_user_sgpr_dispatch_id 0
		.amdhsa_user_sgpr_kernarg_preload_length 0
		.amdhsa_user_sgpr_kernarg_preload_offset 0
		.amdhsa_user_sgpr_private_segment_size 0
		.amdhsa_uses_dynamic_stack 0
		.amdhsa_enable_private_segment 0
		.amdhsa_system_sgpr_workgroup_id_x 1
		.amdhsa_system_sgpr_workgroup_id_y 0
		.amdhsa_system_sgpr_workgroup_id_z 0
		.amdhsa_system_sgpr_workgroup_info 0
		.amdhsa_system_vgpr_workitem_id 0
		.amdhsa_next_free_vgpr 22
		.amdhsa_next_free_sgpr 14
		.amdhsa_accum_offset 24
		.amdhsa_reserve_vcc 1
		.amdhsa_float_round_mode_32 0
		.amdhsa_float_round_mode_16_64 0
		.amdhsa_float_denorm_mode_32 3
		.amdhsa_float_denorm_mode_16_64 3
		.amdhsa_dx10_clamp 1
		.amdhsa_ieee_mode 1
		.amdhsa_fp16_overflow 0
		.amdhsa_tg_split 0
		.amdhsa_exception_fp_ieee_invalid_op 0
		.amdhsa_exception_fp_denorm_src 0
		.amdhsa_exception_fp_ieee_div_zero 0
		.amdhsa_exception_fp_ieee_overflow 0
		.amdhsa_exception_fp_ieee_underflow 0
		.amdhsa_exception_fp_ieee_inexact 0
		.amdhsa_exception_int_div_zero 0
	.end_amdhsa_kernel
	.section	.text._Z14LLGemm1_kernelIN3c104HalfELi4EEvPKT_S4_PS2_i,"axG",@progbits,_Z14LLGemm1_kernelIN3c104HalfELi4EEvPKT_S4_PS2_i,comdat
.Lfunc_end1:
	.size	_Z14LLGemm1_kernelIN3c104HalfELi4EEvPKT_S4_PS2_i, .Lfunc_end1-_Z14LLGemm1_kernelIN3c104HalfELi4EEvPKT_S4_PS2_i
                                        ; -- End function
	.section	.AMDGPU.csdata,"",@progbits
; Kernel info:
; codeLenInByte = 1272
; NumSgprs: 20
; NumVgprs: 22
; NumAgprs: 0
; TotalNumVgprs: 22
; ScratchSize: 0
; MemoryBound: 0
; FloatMode: 240
; IeeeMode: 1
; LDSByteSize: 1024 bytes/workgroup (compile time only)
; SGPRBlocks: 2
; VGPRBlocks: 2
; NumSGPRsForWavesPerEU: 20
; NumVGPRsForWavesPerEU: 22
; AccumOffset: 24
; Occupancy: 8
; WaveLimiterHint : 0
; COMPUTE_PGM_RSRC2:SCRATCH_EN: 0
; COMPUTE_PGM_RSRC2:USER_SGPR: 2
; COMPUTE_PGM_RSRC2:TRAP_HANDLER: 0
; COMPUTE_PGM_RSRC2:TGID_X_EN: 1
; COMPUTE_PGM_RSRC2:TGID_Y_EN: 0
; COMPUTE_PGM_RSRC2:TGID_Z_EN: 0
; COMPUTE_PGM_RSRC2:TIDIG_COMP_CNT: 0
; COMPUTE_PGM_RSRC3_GFX90A:ACCUM_OFFSET: 5
; COMPUTE_PGM_RSRC3_GFX90A:TG_SPLIT: 0
	.section	.text._Z14LLGemm1_kernelIN3c104HalfELi8EEvPKT_S4_PS2_i,"axG",@progbits,_Z14LLGemm1_kernelIN3c104HalfELi8EEvPKT_S4_PS2_i,comdat
	.protected	_Z14LLGemm1_kernelIN3c104HalfELi8EEvPKT_S4_PS2_i ; -- Begin function _Z14LLGemm1_kernelIN3c104HalfELi8EEvPKT_S4_PS2_i
	.globl	_Z14LLGemm1_kernelIN3c104HalfELi8EEvPKT_S4_PS2_i
	.p2align	8
	.type	_Z14LLGemm1_kernelIN3c104HalfELi8EEvPKT_S4_PS2_i,@function
_Z14LLGemm1_kernelIN3c104HalfELi8EEvPKT_S4_PS2_i: ; @_Z14LLGemm1_kernelIN3c104HalfELi8EEvPKT_S4_PS2_i
; %bb.0:
	s_load_dword s3, s[0:1], 0x18
	s_load_dwordx4 s[4:7], s[0:1], 0x0
	s_load_dwordx2 s[8:9], s[0:1], 0x10
	v_lshlrev_b32_e32 v1, 3, v0
                                        ; implicit-def: $vgpr9
                                        ; implicit-def: $vgpr2
                                        ; implicit-def: $vgpr18
                                        ; implicit-def: $vgpr10
                                        ; implicit-def: $vgpr26
                                        ; implicit-def: $vgpr14
                                        ; implicit-def: $vgpr30
                                        ; implicit-def: $vgpr22
                                        ; implicit-def: $vgpr34
	s_waitcnt lgkmcnt(0)
	v_cmp_gt_i32_e32 vcc, s3, v1
	s_and_saveexec_b64 s[10:11], vcc
	s_cbranch_execz .LBB2_2
; %bb.1:
	s_mul_i32 s12, s2, s3
	s_and_b32 s12, s12, 0x1fffffff
	v_add_u32_e32 v2, s12, v0
	s_lshr_b32 s12, s3, 3
	v_mov_b32_e32 v3, 0
	s_add_i32 s3, s12, s12
	s_mov_b32 s13, 0
	v_lshl_add_u64 v[4:5], v[2:3], 4, s[4:5]
	v_add_u32_e32 v2, s3, v2
	v_lshl_add_u64 v[6:7], s[12:13], 4, v[4:5]
	global_load_dwordx4 v[34:37], v[4:5], off nt
	global_load_dwordx4 v[22:25], v[6:7], off nt
	v_lshl_add_u64 v[4:5], v[2:3], 4, s[4:5]
	v_add_u32_e32 v2, s12, v2
	v_lshl_add_u64 v[6:7], v[2:3], 4, s[4:5]
	v_add_u32_e32 v2, s12, v2
	global_load_dwordx4 v[30:33], v[4:5], off nt
	global_load_dwordx4 v[14:17], v[6:7], off nt
	v_lshl_add_u64 v[4:5], v[2:3], 4, s[4:5]
	v_add_u32_e32 v2, s12, v2
	v_lshl_add_u64 v[6:7], v[2:3], 4, s[4:5]
	v_add_u32_e32 v2, s12, v2
	global_load_dwordx4 v[26:29], v[4:5], off nt
	global_load_dwordx4 v[10:13], v[6:7], off nt
	v_lshl_add_u64 v[6:7], v[2:3], 4, s[4:5]
	v_add_u32_e32 v2, s12, v2
	v_lshl_add_u64 v[8:9], v[2:3], 4, s[4:5]
	v_lshlrev_b32_e32 v1, 4, v0
	global_load_dwordx4 v[18:21], v[6:7], off nt
	global_load_dwordx4 v[2:5], v[8:9], off nt
	s_nop 0
	global_load_dwordx4 v[6:9], v1, s[6:7]
.LBB2_2:
	s_or_b64 exec, exec, s[10:11]
	s_waitcnt vmcnt(0)
	v_pk_mul_f16 v1, v6, v34
	s_nop 0
	v_pk_fma_f16 v1, v35, v7, v1
	s_nop 0
	v_pk_fma_f16 v1, v36, v8, v1
	s_nop 0
	v_pk_fma_f16 v34, v37, v9, v1
	v_pk_mul_f16 v1, v6, v22
	s_nop 0
	v_pk_fma_f16 v1, v23, v7, v1
	s_nop 0
	v_pk_fma_f16 v1, v24, v8, v1
	s_nop 0
	v_pk_fma_f16 v22, v25, v9, v1
	;; [unrolled: 7-line block ×6, first 2 shown]
	v_pk_mul_f16 v1, v6, v18
	v_cvt_f32_f16_e32 v11, v12
	v_pk_fma_f16 v1, v19, v7, v1
	v_cvt_f32_f16_sdwa v13, v12 dst_sel:DWORD dst_unused:UNUSED_PAD src0_sel:WORD_1
	v_pk_fma_f16 v1, v20, v8, v1
	v_cvt_f32_f16_sdwa v12, v15 dst_sel:DWORD dst_unused:UNUSED_PAD src0_sel:WORD_1
	v_pk_fma_f16 v16, v21, v9, v1
	v_pk_mul_f16 v1, v6, v2
	v_cvt_f32_f16_e32 v2, v34
	v_pk_fma_f16 v1, v3, v7, v1
	v_cvt_f32_f16_e32 v7, v14
	v_pk_fma_f16 v1, v4, v8, v1
	v_cvt_f32_f16_sdwa v8, v23 dst_sel:DWORD dst_unused:UNUSED_PAD src0_sel:WORD_1
	v_pk_fma_f16 v17, v5, v9, v1
	v_mbcnt_lo_u32_b32 v1, -1, 0
	v_mbcnt_hi_u32_b32 v21, -1, v1
	v_and_b32_e32 v1, 64, v21
	v_add_u32_e32 v24, 64, v1
	v_xor_b32_e32 v1, 32, v21
	v_cmp_lt_i32_e64 s[4:5], v1, v24
	v_xor_b32_e32 v6, 8, v21
	v_cvt_f32_f16_sdwa v9, v14 dst_sel:DWORD dst_unused:UNUSED_PAD src0_sel:WORD_1
	v_cndmask_b32_e64 v1, v21, v1, s[4:5]
	v_lshlrev_b32_e32 v25, 2, v1
	v_xor_b32_e32 v1, 16, v21
	v_cmp_lt_i32_e64 s[4:5], v1, v24
	v_xor_b32_e32 v10, 2, v21
	v_cvt_f32_f16_e32 v3, v22
	v_cndmask_b32_e64 v1, v21, v1, s[4:5]
	v_cmp_lt_i32_e64 s[4:5], v6, v24
	v_lshlrev_b32_e32 v1, 2, v1
	v_cvt_f32_f16_sdwa v5, v22 dst_sel:DWORD dst_unused:UNUSED_PAD src0_sel:WORD_1
	v_cndmask_b32_e64 v6, v21, v6, s[4:5]
	v_lshlrev_b32_e32 v18, 2, v6
	v_xor_b32_e32 v6, 4, v21
	v_cmp_lt_i32_e64 s[4:5], v6, v24
	v_cvt_f32_f16_sdwa v4, v34 dst_sel:DWORD dst_unused:UNUSED_PAD src0_sel:WORD_1
	v_cvt_f32_f16_sdwa v14, v16 dst_sel:DWORD dst_unused:UNUSED_PAD src0_sel:WORD_1
	v_cndmask_b32_e64 v6, v21, v6, s[4:5]
	v_lshlrev_b32_e32 v19, 2, v6
	v_cvt_f32_f16_e32 v6, v23
	v_cmp_lt_i32_e64 s[4:5], v10, v24
	v_pk_add_f32 v[2:3], v[2:3], v[4:5]
	v_pk_add_f32 v[6:7], v[6:7], v[8:9]
	s_nop 0
	v_cndmask_b32_e32 v7, 0, v7, vcc
	v_cndmask_b32_e32 v6, 0, v6, vcc
	ds_bpermute_b32 v8, v25, v6
	ds_bpermute_b32 v9, v25, v7
	v_cndmask_b32_e64 v10, v21, v10, s[4:5]
	v_lshlrev_b32_e32 v20, 2, v10
	v_cvt_f32_f16_e32 v10, v15
	v_cvt_f32_f16_sdwa v15, v17 dst_sel:DWORD dst_unused:UNUSED_PAD src0_sel:WORD_1
	s_waitcnt lgkmcnt(0)
	v_pk_add_f32 v[6:7], v[6:7], v[8:9]
	ds_bpermute_b32 v8, v1, v6
	ds_bpermute_b32 v9, v1, v7
	v_pk_add_f32 v[10:11], v[10:11], v[12:13]
	v_cvt_f32_f16_e32 v13, v17
	v_cvt_f32_f16_e32 v12, v16
	v_cndmask_b32_e32 v3, 0, v3, vcc
	v_cndmask_b32_e32 v2, 0, v2, vcc
	s_waitcnt lgkmcnt(0)
	v_pk_add_f32 v[6:7], v[6:7], v[8:9]
	v_cndmask_b32_e32 v11, 0, v11, vcc
	v_cndmask_b32_e32 v10, 0, v10, vcc
	ds_bpermute_b32 v4, v25, v2
	ds_bpermute_b32 v5, v25, v3
	;; [unrolled: 1-line block ×6, first 2 shown]
	v_pk_add_f32 v[12:13], v[12:13], v[14:15]
	s_waitcnt lgkmcnt(4)
	v_pk_add_f32 v[2:3], v[2:3], v[4:5]
	v_cndmask_b32_e32 v13, 0, v13, vcc
	v_cndmask_b32_e32 v12, 0, v12, vcc
	ds_bpermute_b32 v14, v25, v12
	ds_bpermute_b32 v15, v25, v13
	s_waitcnt lgkmcnt(4)
	v_pk_add_f32 v[6:7], v[6:7], v[8:9]
	s_waitcnt lgkmcnt(2)
	v_pk_add_f32 v[10:11], v[10:11], v[16:17]
	ds_bpermute_b32 v4, v1, v2
	ds_bpermute_b32 v5, v1, v3
	;; [unrolled: 1-line block ×6, first 2 shown]
	s_waitcnt lgkmcnt(6)
	v_pk_add_f32 v[12:13], v[12:13], v[14:15]
	ds_bpermute_b32 v14, v1, v12
	ds_bpermute_b32 v15, v1, v13
	s_waitcnt lgkmcnt(6)
	v_pk_add_f32 v[2:3], v[2:3], v[4:5]
	s_waitcnt lgkmcnt(4)
	v_pk_add_f32 v[6:7], v[6:7], v[8:9]
	;; [unrolled: 2-line block ×3, first 2 shown]
	ds_bpermute_b32 v4, v18, v2
	ds_bpermute_b32 v5, v18, v3
	;; [unrolled: 1-line block ×4, first 2 shown]
	s_waitcnt lgkmcnt(4)
	v_pk_add_f32 v[12:13], v[12:13], v[14:15]
	ds_bpermute_b32 v14, v18, v12
	ds_bpermute_b32 v15, v18, v13
	s_waitcnt lgkmcnt(4)
	v_pk_add_f32 v[2:3], v[2:3], v[4:5]
	s_waitcnt lgkmcnt(2)
	v_pk_add_f32 v[8:9], v[8:9], v[10:11]
	ds_bpermute_b32 v4, v19, v2
	ds_bpermute_b32 v5, v19, v3
	;; [unrolled: 1-line block ×4, first 2 shown]
	s_waitcnt lgkmcnt(4)
	v_pk_add_f32 v[12:13], v[12:13], v[14:15]
	ds_bpermute_b32 v14, v19, v12
	ds_bpermute_b32 v15, v19, v13
	s_waitcnt lgkmcnt(4)
	v_pk_add_f32 v[2:3], v[2:3], v[4:5]
	s_waitcnt lgkmcnt(2)
	v_pk_add_f32 v[10:11], v[8:9], v[10:11]
	ds_bpermute_b32 v4, v20, v2
	ds_bpermute_b32 v5, v20, v3
	;; [unrolled: 1-line block ×4, first 2 shown]
	s_waitcnt lgkmcnt(4)
	v_pk_add_f32 v[12:13], v[12:13], v[14:15]
	ds_bpermute_b32 v16, v20, v6
	ds_bpermute_b32 v17, v20, v7
	;; [unrolled: 1-line block ×4, first 2 shown]
	s_waitcnt lgkmcnt(6)
	v_pk_add_f32 v[8:9], v[2:3], v[4:5]
	s_waitcnt lgkmcnt(4)
	v_pk_add_f32 v[2:3], v[10:11], v[22:23]
	v_xor_b32_e32 v10, 1, v21
	v_cmp_lt_i32_e32 vcc, v10, v24
	s_waitcnt lgkmcnt(2)
	v_pk_add_f32 v[4:5], v[6:7], v[16:17]
	s_waitcnt lgkmcnt(0)
	v_pk_add_f32 v[6:7], v[12:13], v[14:15]
	v_cndmask_b32_e32 v10, v21, v10, vcc
	v_lshlrev_b32_e32 v21, 2, v10
	ds_bpermute_b32 v16, v21, v8
	ds_bpermute_b32 v17, v21, v9
	;; [unrolled: 1-line block ×8, first 2 shown]
	v_and_b32_e32 v22, 63, v0
	v_cmp_gt_u32_e32 vcc, 8, v22
	s_and_saveexec_b64 s[4:5], vcc
	s_cbranch_execz .LBB2_4
; %bb.3:
	s_waitcnt lgkmcnt(6)
	v_pk_add_f32 v[8:9], v[8:9], v[16:17]
	v_cmp_eq_u32_e32 vcc, 1, v22
	s_waitcnt lgkmcnt(4)
	v_pk_add_f32 v[4:5], v[4:5], v[12:13]
	s_waitcnt lgkmcnt(2)
	v_pk_add_f32 v[2:3], v[2:3], v[10:11]
	v_cndmask_b32_e32 v8, v8, v9, vcc
	v_cmp_eq_u32_e32 vcc, 2, v22
	s_waitcnt lgkmcnt(0)
	v_pk_add_f32 v[6:7], v[6:7], v[14:15]
	v_lshrrev_b32_e32 v10, 4, v0
	v_cndmask_b32_e32 v4, v8, v4, vcc
	v_cmp_eq_u32_e32 vcc, 3, v22
	v_and_b32_e32 v10, 60, v10
	v_lshl_or_b32 v10, v22, 8, v10
	v_cndmask_b32_e32 v4, v4, v5, vcc
	v_cmp_eq_u32_e32 vcc, 4, v22
	s_nop 1
	v_cndmask_b32_e32 v2, v4, v2, vcc
	v_cmp_eq_u32_e32 vcc, 5, v22
	s_nop 1
	;; [unrolled: 3-line block ×4, first 2 shown]
	v_cndmask_b32_e32 v2, v2, v7, vcc
	ds_write_b32 v10, v2
.LBB2_4:
	s_or_b64 exec, exec, s[4:5]
	s_movk_i32 s3, 0x80
	v_cmp_gt_u32_e32 vcc, s3, v0
	s_waitcnt lgkmcnt(0)
	s_barrier
	s_and_saveexec_b64 s[4:5], vcc
	s_cbranch_execz .LBB2_9
; %bb.5:
	s_load_dword s0, s[0:1], 0x2c
	v_and_b32_e32 v3, 15, v0
	v_mov_b32_e32 v2, 0
	s_waitcnt lgkmcnt(0)
	s_and_b32 s0, 0xffff, s0
	s_lshr_b32 s0, s0, 6
	v_cmp_gt_u32_e32 vcc, s0, v3
	s_and_saveexec_b64 s[0:1], vcc
	s_cbranch_execz .LBB2_7
; %bb.6:
	v_lshlrev_b32_e32 v2, 2, v3
	v_lshlrev_b32_e32 v3, 4, v0
	s_movk_i32 s3, 0x3f00
	v_and_or_b32 v2, v3, s3, v2
	ds_read_b32 v2, v2
.LBB2_7:
	s_or_b64 exec, exec, s[0:1]
	s_waitcnt lgkmcnt(0)
	ds_bpermute_b32 v3, v18, v2
	s_waitcnt lgkmcnt(0)
	v_add_f32_e32 v2, v2, v3
	ds_bpermute_b32 v3, v19, v2
	s_waitcnt lgkmcnt(0)
	v_add_f32_e32 v2, v2, v3
	;; [unrolled: 3-line block ×4, first 2 shown]
	ds_bpermute_b32 v1, v1, v2
	v_and_b32_e32 v3, 31, v0
	v_cmp_eq_u32_e32 vcc, 0, v3
	s_and_b64 exec, exec, vcc
	s_cbranch_execz .LBB2_9
; %bb.8:
	v_cvt_f16_f32_e32 v4, v2
	s_waitcnt lgkmcnt(0)
	v_cvt_f16_f32_e32 v1, v1
	s_lshl_b32 s0, s2, 2
	s_and_b32 s0, s0, 0x7ffffffc
	v_lshrrev_b32_e32 v0, 5, v0
	v_mov_b32_e32 v2, s8
	v_mov_b32_e32 v3, s9
	v_pack_b32_f16 v4, v4, v1
	v_or_b32_e32 v0, s0, v0
	v_mov_b32_e32 v1, 0
	v_lshl_add_u64 v[0:1], v[0:1], 2, v[2:3]
	global_store_dword v[0:1], v4, off
.LBB2_9:
	s_endpgm
	.section	.rodata,"a",@progbits
	.p2align	6, 0x0
	.amdhsa_kernel _Z14LLGemm1_kernelIN3c104HalfELi8EEvPKT_S4_PS2_i
		.amdhsa_group_segment_fixed_size 2048
		.amdhsa_private_segment_fixed_size 0
		.amdhsa_kernarg_size 288
		.amdhsa_user_sgpr_count 2
		.amdhsa_user_sgpr_dispatch_ptr 0
		.amdhsa_user_sgpr_queue_ptr 0
		.amdhsa_user_sgpr_kernarg_segment_ptr 1
		.amdhsa_user_sgpr_dispatch_id 0
		.amdhsa_user_sgpr_kernarg_preload_length 0
		.amdhsa_user_sgpr_kernarg_preload_offset 0
		.amdhsa_user_sgpr_private_segment_size 0
		.amdhsa_uses_dynamic_stack 0
		.amdhsa_enable_private_segment 0
		.amdhsa_system_sgpr_workgroup_id_x 1
		.amdhsa_system_sgpr_workgroup_id_y 0
		.amdhsa_system_sgpr_workgroup_id_z 0
		.amdhsa_system_sgpr_workgroup_info 0
		.amdhsa_system_vgpr_workitem_id 0
		.amdhsa_next_free_vgpr 38
		.amdhsa_next_free_sgpr 14
		.amdhsa_accum_offset 40
		.amdhsa_reserve_vcc 1
		.amdhsa_float_round_mode_32 0
		.amdhsa_float_round_mode_16_64 0
		.amdhsa_float_denorm_mode_32 3
		.amdhsa_float_denorm_mode_16_64 3
		.amdhsa_dx10_clamp 1
		.amdhsa_ieee_mode 1
		.amdhsa_fp16_overflow 0
		.amdhsa_tg_split 0
		.amdhsa_exception_fp_ieee_invalid_op 0
		.amdhsa_exception_fp_denorm_src 0
		.amdhsa_exception_fp_ieee_div_zero 0
		.amdhsa_exception_fp_ieee_overflow 0
		.amdhsa_exception_fp_ieee_underflow 0
		.amdhsa_exception_fp_ieee_inexact 0
		.amdhsa_exception_int_div_zero 0
	.end_amdhsa_kernel
	.section	.text._Z14LLGemm1_kernelIN3c104HalfELi8EEvPKT_S4_PS2_i,"axG",@progbits,_Z14LLGemm1_kernelIN3c104HalfELi8EEvPKT_S4_PS2_i,comdat
.Lfunc_end2:
	.size	_Z14LLGemm1_kernelIN3c104HalfELi8EEvPKT_S4_PS2_i, .Lfunc_end2-_Z14LLGemm1_kernelIN3c104HalfELi8EEvPKT_S4_PS2_i
                                        ; -- End function
	.section	.AMDGPU.csdata,"",@progbits
; Kernel info:
; codeLenInByte = 1956
; NumSgprs: 20
; NumVgprs: 38
; NumAgprs: 0
; TotalNumVgprs: 38
; ScratchSize: 0
; MemoryBound: 0
; FloatMode: 240
; IeeeMode: 1
; LDSByteSize: 2048 bytes/workgroup (compile time only)
; SGPRBlocks: 2
; VGPRBlocks: 4
; NumSGPRsForWavesPerEU: 20
; NumVGPRsForWavesPerEU: 38
; AccumOffset: 40
; Occupancy: 8
; WaveLimiterHint : 0
; COMPUTE_PGM_RSRC2:SCRATCH_EN: 0
; COMPUTE_PGM_RSRC2:USER_SGPR: 2
; COMPUTE_PGM_RSRC2:TRAP_HANDLER: 0
; COMPUTE_PGM_RSRC2:TGID_X_EN: 1
; COMPUTE_PGM_RSRC2:TGID_Y_EN: 0
; COMPUTE_PGM_RSRC2:TGID_Z_EN: 0
; COMPUTE_PGM_RSRC2:TIDIG_COMP_CNT: 0
; COMPUTE_PGM_RSRC3_GFX90A:ACCUM_OFFSET: 9
; COMPUTE_PGM_RSRC3_GFX90A:TG_SPLIT: 0
	.section	.text._Z14LLGemm1_kernelIN3c104HalfELi16EEvPKT_S4_PS2_i,"axG",@progbits,_Z14LLGemm1_kernelIN3c104HalfELi16EEvPKT_S4_PS2_i,comdat
	.protected	_Z14LLGemm1_kernelIN3c104HalfELi16EEvPKT_S4_PS2_i ; -- Begin function _Z14LLGemm1_kernelIN3c104HalfELi16EEvPKT_S4_PS2_i
	.globl	_Z14LLGemm1_kernelIN3c104HalfELi16EEvPKT_S4_PS2_i
	.p2align	8
	.type	_Z14LLGemm1_kernelIN3c104HalfELi16EEvPKT_S4_PS2_i,@function
_Z14LLGemm1_kernelIN3c104HalfELi16EEvPKT_S4_PS2_i: ; @_Z14LLGemm1_kernelIN3c104HalfELi16EEvPKT_S4_PS2_i
; %bb.0:
	s_load_dword s3, s[0:1], 0x18
	s_load_dwordx4 s[4:7], s[0:1], 0x0
	s_load_dwordx2 s[8:9], s[0:1], 0x10
	v_lshlrev_b32_e32 v1, 3, v0
                                        ; implicit-def: $vgpr5
                                        ; implicit-def: $vgpr6
                                        ; implicit-def: $vgpr14
                                        ; implicit-def: $vgpr34
                                        ; implicit-def: $vgpr54
                                        ; implicit-def: $vgpr62
                                        ; implicit-def: $vgpr66
                                        ; implicit-def: $vgpr10
                                        ; implicit-def: $vgpr26
                                        ; implicit-def: $vgpr18
                                        ; implicit-def: $vgpr38
                                        ; implicit-def: $vgpr22
                                        ; implicit-def: $vgpr46
                                        ; implicit-def: $vgpr30
                                        ; implicit-def: $vgpr50
                                        ; implicit-def: $vgpr42
                                        ; implicit-def: $vgpr58
	s_waitcnt lgkmcnt(0)
	v_cmp_gt_i32_e32 vcc, s3, v1
	s_and_saveexec_b64 s[10:11], vcc
	s_cbranch_execz .LBB3_2
; %bb.1:
	s_mul_i32 s12, s2, s3
	s_lshl_b32 s12, s12, 1
	s_and_b32 s12, s12, 0x1ffffffe
	v_add_u32_e32 v2, s12, v0
	v_mov_b32_e32 v3, 0
	s_lshr_b32 s12, s3, 3
	s_mov_b32 s13, 0
	v_lshl_add_u64 v[4:5], v[2:3], 4, s[4:5]
	v_lshl_add_u64 v[6:7], s[12:13], 4, v[4:5]
	s_add_i32 s13, s12, s12
	global_load_dwordx4 v[58:61], v[4:5], off nt
	global_load_dwordx4 v[42:45], v[6:7], off nt
	v_add_u32_e32 v4, s13, v2
	v_mov_b32_e32 v5, v3
	v_lshl_add_u64 v[6:7], v[4:5], 4, s[4:5]
	v_add_u32_e32 v4, s12, v4
	v_lshl_add_u64 v[8:9], v[4:5], 4, s[4:5]
	v_add_u32_e32 v4, s12, v4
	global_load_dwordx4 v[50:53], v[6:7], off nt
	global_load_dwordx4 v[30:33], v[8:9], off nt
	v_lshl_add_u64 v[6:7], v[4:5], 4, s[4:5]
	v_add_u32_e32 v4, s12, v4
	v_lshl_add_u64 v[8:9], v[4:5], 4, s[4:5]
	v_add_u32_e32 v4, s12, v4
	s_and_b32 s3, s3, -8
	global_load_dwordx4 v[46:49], v[6:7], off nt
	global_load_dwordx4 v[22:25], v[8:9], off nt
	v_lshl_add_u64 v[6:7], v[4:5], 4, s[4:5]
	v_add_u32_e32 v4, s12, v4
	v_add_u32_e32 v2, s3, v2
	v_lshl_add_u64 v[8:9], v[4:5], 4, s[4:5]
	global_load_dwordx4 v[38:41], v[6:7], off nt
	global_load_dwordx4 v[18:21], v[8:9], off nt
	v_lshl_add_u64 v[6:7], v[2:3], 4, s[4:5]
	v_lshl_add_u32 v2, s12, 1, v4
	v_lshl_add_u64 v[4:5], v[2:3], 4, s[4:5]
	v_add_u32_e32 v2, s12, v2
	global_load_dwordx4 v[26:29], v[6:7], off nt
	global_load_dwordx4 v[10:13], v[4:5], off nt
	v_lshl_add_u64 v[4:5], v[2:3], 4, s[4:5]
	v_add_u32_e32 v2, s12, v2
	v_lshl_add_u64 v[6:7], v[2:3], 4, s[4:5]
	v_add_u32_e32 v2, s12, v2
	v_lshl_add_u64 v[8:9], v[2:3], 4, s[4:5]
	v_add_u32_e32 v2, s12, v2
	v_lshl_add_u64 v[14:15], v[2:3], 4, s[4:5]
	v_add_u32_e32 v2, s12, v2
	v_lshl_add_u64 v[16:17], v[2:3], 4, s[4:5]
	v_add_u32_e32 v2, s12, v2
	v_lshl_add_u64 v[2:3], v[2:3], 4, s[4:5]
	v_lshlrev_b32_e32 v1, 4, v0
	global_load_dwordx4 v[66:69], v[4:5], off nt
	global_load_dwordx4 v[62:65], v[6:7], off nt
                                        ; kill: killed $vgpr4_vgpr5
                                        ; kill: killed $vgpr6_vgpr7
	global_load_dwordx4 v[54:57], v[8:9], off nt
	global_load_dwordx4 v[34:37], v[14:15], off nt
	s_nop 0
	global_load_dwordx4 v[14:17], v[16:17], off nt
	s_nop 0
	;; [unrolled: 2-line block ×3, first 2 shown]
	global_load_dwordx4 v[2:5], v1, s[6:7]
.LBB3_2:
	s_or_b64 exec, exec, s[10:11]
	s_waitcnt vmcnt(0)
	v_pk_mul_f16 v18, v2, v18
	v_pk_mul_f16 v10, v2, v10
	v_pk_fma_f16 v18, v19, v3, v18
	v_pk_fma_f16 v10, v11, v3, v10
	;; [unrolled: 1-line block ×5, first 2 shown]
	v_pk_mul_f16 v18, v2, v26
	v_pk_mul_f16 v42, v2, v42
	v_pk_fma_f16 v18, v27, v3, v18
	v_pk_fma_f16 v27, v13, v5, v10
	v_pk_mul_f16 v10, v2, v66
	v_pk_mul_f16 v30, v2, v30
	v_pk_fma_f16 v10, v67, v3, v10
	v_pk_mul_f16 v22, v2, v22
	v_pk_fma_f16 v10, v68, v4, v10
	;; [unrolled: 2-line block ×4, first 2 shown]
	v_pk_fma_f16 v10, v63, v3, v10
	v_pk_mul_f16 v43, v2, v50
	v_pk_fma_f16 v10, v64, v4, v10
	v_pk_fma_f16 v30, v31, v3, v30
	;; [unrolled: 1-line block ×3, first 2 shown]
	v_pk_mul_f16 v10, v2, v54
	v_pk_mul_f16 v31, v2, v46
	v_pk_fma_f16 v10, v55, v3, v10
	v_pk_fma_f16 v22, v23, v3, v22
	;; [unrolled: 1-line block ×3, first 2 shown]
	v_pk_mul_f16 v23, v2, v38
	v_pk_fma_f16 v11, v57, v5, v10
	v_pk_mul_f16 v10, v2, v34
	v_pk_fma_f16 v18, v28, v4, v18
	v_pk_fma_f16 v10, v35, v3, v10
	;; [unrolled: 1-line block ×6, first 2 shown]
	v_pk_mul_f16 v10, v2, v14
	v_pk_mul_f16 v2, v2, v6
	v_pk_fma_f16 v1, v60, v4, v1
	v_pk_fma_f16 v2, v7, v3, v2
	;; [unrolled: 1-line block ×6, first 2 shown]
	v_mbcnt_lo_u32_b32 v2, -1, 0
	v_mbcnt_hi_u32_b32 v18, -1, v2
	v_and_b32_e32 v2, 64, v18
	v_add_u32_e32 v19, 64, v2
	v_xor_b32_e32 v2, 32, v18
	v_pk_fma_f16 v31, v47, v3, v31
	v_pk_fma_f16 v23, v39, v3, v23
	;; [unrolled: 1-line block ×3, first 2 shown]
	v_cmp_lt_i32_e64 s[4:5], v2, v19
	v_xor_b32_e32 v6, 16, v18
	v_pk_fma_f16 v1, v61, v5, v1
	v_pk_fma_f16 v42, v45, v5, v42
	;; [unrolled: 1-line block ×8, first 2 shown]
	v_cndmask_b32_e64 v2, v18, v2, s[4:5]
	v_cmp_lt_i32_e64 s[4:5], v6, v19
	v_pk_fma_f16 v43, v53, v5, v43
	v_pk_fma_f16 v30, v33, v5, v30
	;; [unrolled: 1-line block ×6, first 2 shown]
	v_lshlrev_b32_e32 v8, 2, v2
	v_cvt_f32_f16_e32 v3, v42
	v_cvt_f32_f16_e32 v2, v1
	v_cvt_f32_f16_sdwa v5, v42 dst_sel:DWORD dst_unused:UNUSED_PAD src0_sel:WORD_1
	v_cvt_f32_f16_sdwa v4, v1 dst_sel:DWORD dst_unused:UNUSED_PAD src0_sel:WORD_1
	v_cndmask_b32_e64 v1, v18, v6, s[4:5]
	v_xor_b32_e32 v6, 8, v18
	v_cmp_lt_i32_e64 s[4:5], v6, v19
	v_pk_add_f32 v[2:3], v[2:3], v[4:5]
	v_cvt_f32_f16_e32 v7, v30
	v_cndmask_b32_e64 v6, v18, v6, s[4:5]
	v_lshlrev_b32_e32 v34, 2, v6
	v_xor_b32_e32 v6, 4, v18
	v_cmp_lt_i32_e64 s[4:5], v6, v19
	v_cndmask_b32_e32 v3, 0, v3, vcc
	v_cndmask_b32_e32 v2, 0, v2, vcc
	v_cndmask_b32_e64 v6, v18, v6, s[4:5]
	ds_bpermute_b32 v4, v8, v2
	ds_bpermute_b32 v5, v8, v3
	v_lshlrev_b32_e32 v35, 2, v6
	v_cvt_f32_f16_e32 v6, v43
	v_cvt_f32_f16_sdwa v15, v30 dst_sel:DWORD dst_unused:UNUSED_PAD src0_sel:WORD_1
	v_cvt_f32_f16_sdwa v14, v43 dst_sel:DWORD dst_unused:UNUSED_PAD src0_sel:WORD_1
	v_lshlrev_b32_e32 v1, 2, v1
	s_waitcnt lgkmcnt(0)
	v_pk_add_f32 v[2:3], v[2:3], v[4:5]
	ds_bpermute_b32 v4, v1, v2
	v_pk_add_f32 v[6:7], v[6:7], v[14:15]
	ds_bpermute_b32 v5, v1, v3
	v_cndmask_b32_e32 v7, 0, v7, vcc
	v_cndmask_b32_e32 v6, 0, v6, vcc
	ds_bpermute_b32 v14, v8, v6
	ds_bpermute_b32 v15, v8, v7
	v_xor_b32_e32 v16, 2, v18
	v_cmp_lt_i32_e64 s[4:5], v16, v19
	s_waitcnt lgkmcnt(2)
	v_pk_add_f32 v[2:3], v[2:3], v[4:5]
	ds_bpermute_b32 v4, v34, v2
	v_cndmask_b32_e64 v16, v18, v16, s[4:5]
	s_waitcnt lgkmcnt(1)
	v_pk_add_f32 v[6:7], v[6:7], v[14:15]
	ds_bpermute_b32 v5, v34, v3
	v_lshlrev_b32_e32 v36, 2, v16
	ds_bpermute_b32 v14, v1, v6
	ds_bpermute_b32 v15, v1, v7
	v_cvt_f32_f16_e32 v17, v22
	v_cvt_f32_f16_e32 v16, v31
	v_cvt_f32_f16_sdwa v23, v22 dst_sel:DWORD dst_unused:UNUSED_PAD src0_sel:WORD_1
	v_cvt_f32_f16_sdwa v22, v31 dst_sel:DWORD dst_unused:UNUSED_PAD src0_sel:WORD_1
	s_waitcnt lgkmcnt(2)
	v_pk_add_f32 v[2:3], v[2:3], v[4:5]
	s_waitcnt lgkmcnt(0)
	v_pk_add_f32 v[6:7], v[6:7], v[14:15]
	ds_bpermute_b32 v4, v35, v2
	v_pk_add_f32 v[16:17], v[16:17], v[22:23]
	ds_bpermute_b32 v5, v35, v3
	v_cndmask_b32_e32 v17, 0, v17, vcc
	v_cndmask_b32_e32 v16, 0, v16, vcc
	ds_bpermute_b32 v14, v34, v6
	ds_bpermute_b32 v15, v34, v7
	;; [unrolled: 1-line block ×4, first 2 shown]
	s_waitcnt lgkmcnt(4)
	v_pk_add_f32 v[2:3], v[2:3], v[4:5]
	ds_bpermute_b32 v4, v36, v2
	s_waitcnt lgkmcnt(3)
	v_pk_add_f32 v[6:7], v[6:7], v[14:15]
	ds_bpermute_b32 v5, v36, v3
	;; [unrolled: 3-line block ×3, first 2 shown]
	ds_bpermute_b32 v15, v35, v7
	ds_bpermute_b32 v22, v1, v16
	;; [unrolled: 1-line block ×3, first 2 shown]
	s_waitcnt lgkmcnt(4)
	v_pk_add_f32 v[2:3], v[2:3], v[4:5]
	v_cvt_f32_f16_sdwa v25, v21 dst_sel:DWORD dst_unused:UNUSED_PAD src0_sel:WORD_1
	s_waitcnt lgkmcnt(2)
	v_pk_add_f32 v[4:5], v[6:7], v[14:15]
	ds_bpermute_b32 v6, v36, v4
	s_waitcnt lgkmcnt(1)
	v_pk_add_f32 v[14:15], v[16:17], v[22:23]
	ds_bpermute_b32 v16, v34, v14
	ds_bpermute_b32 v17, v34, v15
	v_cvt_f32_f16_e32 v23, v21
	v_cvt_f32_f16_e32 v22, v24
	v_cvt_f32_f16_sdwa v24, v24 dst_sel:DWORD dst_unused:UNUSED_PAD src0_sel:WORD_1
	ds_bpermute_b32 v7, v36, v5
	s_waitcnt lgkmcnt(1)
	v_pk_add_f32 v[14:15], v[14:15], v[16:17]
	ds_bpermute_b32 v16, v35, v14
	v_pk_add_f32 v[22:23], v[22:23], v[24:25]
	ds_bpermute_b32 v17, v35, v15
	v_cndmask_b32_e32 v23, 0, v23, vcc
	v_cndmask_b32_e32 v22, 0, v22, vcc
	ds_bpermute_b32 v24, v8, v22
	ds_bpermute_b32 v25, v8, v23
	s_waitcnt lgkmcnt(4)
	v_pk_add_f32 v[4:5], v[4:5], v[6:7]
	s_waitcnt lgkmcnt(2)
	v_pk_add_f32 v[6:7], v[14:15], v[16:17]
	ds_bpermute_b32 v14, v36, v6
	ds_bpermute_b32 v15, v36, v7
	s_waitcnt lgkmcnt(2)
	v_pk_add_f32 v[16:17], v[22:23], v[24:25]
	ds_bpermute_b32 v22, v1, v16
	ds_bpermute_b32 v23, v1, v17
	v_cvt_f32_f16_e32 v25, v27
	v_cvt_f32_f16_e32 v24, v26
	v_cvt_f32_f16_sdwa v27, v27 dst_sel:DWORD dst_unused:UNUSED_PAD src0_sel:WORD_1
	v_cvt_f32_f16_sdwa v26, v26 dst_sel:DWORD dst_unused:UNUSED_PAD src0_sel:WORD_1
	s_waitcnt lgkmcnt(0)
	v_pk_add_f32 v[16:17], v[16:17], v[22:23]
	ds_bpermute_b32 v22, v34, v16
	ds_bpermute_b32 v23, v34, v17
	v_pk_add_f32 v[24:25], v[24:25], v[26:27]
	v_pk_add_f32 v[6:7], v[6:7], v[14:15]
	v_cndmask_b32_e32 v25, 0, v25, vcc
	v_cndmask_b32_e32 v24, 0, v24, vcc
	ds_bpermute_b32 v26, v8, v24
	ds_bpermute_b32 v27, v8, v25
	s_waitcnt lgkmcnt(2)
	v_pk_add_f32 v[14:15], v[16:17], v[22:23]
	v_cvt_f32_f16_sdwa v21, v20 dst_sel:DWORD dst_unused:UNUSED_PAD src0_sel:WORD_1
	ds_bpermute_b32 v16, v35, v14
	ds_bpermute_b32 v17, v35, v15
	s_waitcnt lgkmcnt(2)
	v_pk_add_f32 v[22:23], v[24:25], v[26:27]
	ds_bpermute_b32 v24, v1, v22
	ds_bpermute_b32 v25, v1, v23
	v_cvt_f32_f16_e32 v27, v20
	v_cvt_f32_f16_e32 v26, v13
	v_cvt_f32_f16_sdwa v20, v13 dst_sel:DWORD dst_unused:UNUSED_PAD src0_sel:WORD_1
	s_waitcnt lgkmcnt(2)
	v_pk_add_f32 v[14:15], v[14:15], v[16:17]
	s_waitcnt lgkmcnt(0)
	v_pk_add_f32 v[22:23], v[22:23], v[24:25]
	ds_bpermute_b32 v24, v34, v22
	v_pk_add_f32 v[20:21], v[26:27], v[20:21]
	ds_bpermute_b32 v25, v34, v23
	v_cndmask_b32_e32 v21, 0, v21, vcc
	v_cndmask_b32_e32 v20, 0, v20, vcc
	ds_bpermute_b32 v26, v8, v20
	ds_bpermute_b32 v27, v8, v21
	s_waitcnt lgkmcnt(2)
	v_pk_add_f32 v[16:17], v[22:23], v[24:25]
	ds_bpermute_b32 v22, v35, v16
	ds_bpermute_b32 v23, v35, v17
	v_cvt_f32_f16_sdwa v13, v12 dst_sel:DWORD dst_unused:UNUSED_PAD src0_sel:WORD_1
	s_waitcnt lgkmcnt(2)
	v_pk_add_f32 v[20:21], v[20:21], v[26:27]
	ds_bpermute_b32 v24, v1, v20
	ds_bpermute_b32 v25, v1, v21
	s_waitcnt lgkmcnt(2)
	v_pk_add_f32 v[22:23], v[16:17], v[22:23]
	v_cvt_f32_f16_sdwa v31, v9 dst_sel:DWORD dst_unused:UNUSED_PAD src0_sel:WORD_1
	v_cvt_f32_f16_sdwa v30, v10 dst_sel:DWORD dst_unused:UNUSED_PAD src0_sel:WORD_1
	ds_bpermute_b32 v26, v36, v14
	s_waitcnt lgkmcnt(1)
	v_pk_add_f32 v[16:17], v[20:21], v[24:25]
	v_cvt_f32_f16_e32 v25, v12
	v_cvt_f32_f16_e32 v24, v11
	v_cvt_f32_f16_sdwa v12, v11 dst_sel:DWORD dst_unused:UNUSED_PAD src0_sel:WORD_1
	ds_bpermute_b32 v20, v34, v16
	ds_bpermute_b32 v21, v34, v17
	;; [unrolled: 1-line block ×3, first 2 shown]
	v_pk_add_f32 v[12:13], v[24:25], v[12:13]
	v_cvt_f32_f16_e32 v25, v9
	v_cvt_f32_f16_e32 v24, v10
	v_cndmask_b32_e32 v11, 0, v13, vcc
	v_cndmask_b32_e32 v10, 0, v12, vcc
	ds_bpermute_b32 v12, v8, v10
	v_pk_add_f32 v[24:25], v[24:25], v[30:31]
	ds_bpermute_b32 v13, v8, v11
	v_cndmask_b32_e32 v25, 0, v25, vcc
	v_cndmask_b32_e32 v24, 0, v24, vcc
	ds_bpermute_b32 v30, v8, v24
	ds_bpermute_b32 v31, v8, v25
	s_waitcnt lgkmcnt(2)
	v_pk_add_f32 v[8:9], v[10:11], v[12:13]
	v_pk_add_f32 v[16:17], v[16:17], v[20:21]
	ds_bpermute_b32 v10, v1, v8
	ds_bpermute_b32 v11, v1, v9
	s_waitcnt lgkmcnt(2)
	v_pk_add_f32 v[12:13], v[24:25], v[30:31]
	ds_bpermute_b32 v24, v1, v12
	ds_bpermute_b32 v25, v1, v13
	;; [unrolled: 1-line block ×4, first 2 shown]
	s_waitcnt lgkmcnt(4)
	v_pk_add_f32 v[8:9], v[8:9], v[10:11]
	ds_bpermute_b32 v10, v34, v8
	s_waitcnt lgkmcnt(3)
	v_pk_add_f32 v[12:13], v[12:13], v[24:25]
	ds_bpermute_b32 v11, v34, v9
	;; [unrolled: 3-line block ×3, first 2 shown]
	ds_bpermute_b32 v17, v34, v13
	ds_bpermute_b32 v24, v36, v20
	s_waitcnt lgkmcnt(3)
	v_pk_add_f32 v[8:9], v[8:9], v[10:11]
	ds_bpermute_b32 v10, v35, v8
	ds_bpermute_b32 v11, v35, v9
	s_waitcnt lgkmcnt(3)
	v_pk_add_f32 v[12:13], v[12:13], v[16:17]
	ds_bpermute_b32 v16, v35, v12
	ds_bpermute_b32 v17, v35, v13
	ds_bpermute_b32 v25, v36, v21
	s_waitcnt lgkmcnt(3)
	v_pk_add_f32 v[8:9], v[8:9], v[10:11]
	ds_bpermute_b32 v28, v36, v22
	ds_bpermute_b32 v29, v36, v23
	s_waitcnt lgkmcnt(3)
	v_pk_add_f32 v[12:13], v[12:13], v[16:17]
	ds_bpermute_b32 v30, v36, v8
	ds_bpermute_b32 v31, v36, v9
	;; [unrolled: 1-line block ×4, first 2 shown]
	s_waitcnt lgkmcnt(6)
	v_pk_add_f32 v[10:11], v[20:21], v[24:25]
	v_xor_b32_e32 v20, 1, v18
	v_cmp_lt_i32_e32 vcc, v20, v19
	v_pk_add_f32 v[16:17], v[14:15], v[26:27]
	s_waitcnt lgkmcnt(4)
	v_pk_add_f32 v[14:15], v[22:23], v[28:29]
	v_cndmask_b32_e32 v18, v18, v20, vcc
	s_waitcnt lgkmcnt(2)
	v_pk_add_f32 v[8:9], v[8:9], v[30:31]
	s_waitcnt lgkmcnt(0)
	v_pk_add_f32 v[12:13], v[12:13], v[32:33]
	v_lshlrev_b32_e32 v37, 2, v18
	ds_bpermute_b32 v32, v37, v2
	ds_bpermute_b32 v33, v37, v3
	;; [unrolled: 1-line block ×16, first 2 shown]
	v_and_b32_e32 v38, 63, v0
	v_cmp_gt_u32_e32 vcc, 16, v38
	s_and_saveexec_b64 s[4:5], vcc
	s_cbranch_execz .LBB3_4
; %bb.3:
	s_waitcnt lgkmcnt(14)
	v_pk_add_f32 v[2:3], v[2:3], v[32:33]
	v_cmp_eq_u32_e32 vcc, 1, v38
	s_waitcnt lgkmcnt(12)
	v_pk_add_f32 v[4:5], v[4:5], v[30:31]
	s_waitcnt lgkmcnt(10)
	v_pk_add_f32 v[6:7], v[6:7], v[28:29]
	v_cndmask_b32_e32 v2, v2, v3, vcc
	v_cmp_eq_u32_e32 vcc, 2, v38
	s_waitcnt lgkmcnt(8)
	v_pk_add_f32 v[16:17], v[16:17], v[26:27]
	s_waitcnt lgkmcnt(6)
	v_pk_add_f32 v[14:15], v[14:15], v[24:25]
	v_cndmask_b32_e32 v2, v2, v4, vcc
	;; [unrolled: 6-line block ×3, first 2 shown]
	v_cmp_eq_u32_e32 vcc, 4, v38
	s_waitcnt lgkmcnt(0)
	v_pk_add_f32 v[12:13], v[12:13], v[22:23]
	v_lshrrev_b32_e32 v18, 4, v0
	v_cndmask_b32_e32 v2, v2, v6, vcc
	v_cmp_eq_u32_e32 vcc, 5, v38
	v_and_b32_e32 v18, 60, v18
	v_lshl_or_b32 v18, v38, 8, v18
	v_cndmask_b32_e32 v2, v2, v7, vcc
	v_cmp_eq_u32_e32 vcc, 6, v38
	s_nop 1
	v_cndmask_b32_e32 v2, v2, v16, vcc
	v_cmp_eq_u32_e32 vcc, 7, v38
	s_nop 1
	;; [unrolled: 3-line block ×10, first 2 shown]
	v_cndmask_b32_e32 v2, v2, v13, vcc
	ds_write_b32 v18, v2
.LBB3_4:
	s_or_b64 exec, exec, s[4:5]
	s_movk_i32 s3, 0x100
	v_cmp_gt_u32_e32 vcc, s3, v0
	s_waitcnt lgkmcnt(0)
	s_barrier
	s_and_saveexec_b64 s[4:5], vcc
	s_cbranch_execz .LBB3_9
; %bb.5:
	s_load_dword s0, s[0:1], 0x2c
	v_and_b32_e32 v3, 15, v0
	v_mov_b32_e32 v2, 0
	s_waitcnt lgkmcnt(0)
	s_and_b32 s0, 0xffff, s0
	s_lshr_b32 s0, s0, 6
	v_cmp_gt_u32_e32 vcc, s0, v3
	s_and_saveexec_b64 s[0:1], vcc
	s_cbranch_execz .LBB3_7
; %bb.6:
	v_lshlrev_b32_e32 v2, 2, v3
	v_lshlrev_b32_e32 v3, 4, v0
	s_movk_i32 s3, 0x3f00
	v_and_or_b32 v2, v3, s3, v2
	ds_read_b32 v2, v2
.LBB3_7:
	s_or_b64 exec, exec, s[0:1]
	s_waitcnt lgkmcnt(0)
	ds_bpermute_b32 v3, v34, v2
	s_waitcnt lgkmcnt(0)
	v_add_f32_e32 v2, v2, v3
	ds_bpermute_b32 v3, v35, v2
	s_waitcnt lgkmcnt(0)
	v_add_f32_e32 v2, v2, v3
	;; [unrolled: 3-line block ×4, first 2 shown]
	ds_bpermute_b32 v1, v1, v2
	v_and_b32_e32 v3, 31, v0
	v_cmp_eq_u32_e32 vcc, 0, v3
	s_and_b64 exec, exec, vcc
	s_cbranch_execz .LBB3_9
; %bb.8:
	v_cvt_f16_f32_e32 v4, v2
	s_waitcnt lgkmcnt(0)
	v_cvt_f16_f32_e32 v1, v1
	s_lshl_b32 s0, s2, 3
	s_and_b32 s0, s0, 0x7ffffff8
	v_lshrrev_b32_e32 v0, 5, v0
	v_mov_b32_e32 v2, s8
	v_mov_b32_e32 v3, s9
	v_pack_b32_f16 v4, v4, v1
	v_or_b32_e32 v0, s0, v0
	v_mov_b32_e32 v1, 0
	v_lshl_add_u64 v[0:1], v[0:1], 2, v[2:3]
	global_store_dword v[0:1], v4, off
.LBB3_9:
	s_endpgm
	.section	.rodata,"a",@progbits
	.p2align	6, 0x0
	.amdhsa_kernel _Z14LLGemm1_kernelIN3c104HalfELi16EEvPKT_S4_PS2_i
		.amdhsa_group_segment_fixed_size 4096
		.amdhsa_private_segment_fixed_size 0
		.amdhsa_kernarg_size 288
		.amdhsa_user_sgpr_count 2
		.amdhsa_user_sgpr_dispatch_ptr 0
		.amdhsa_user_sgpr_queue_ptr 0
		.amdhsa_user_sgpr_kernarg_segment_ptr 1
		.amdhsa_user_sgpr_dispatch_id 0
		.amdhsa_user_sgpr_kernarg_preload_length 0
		.amdhsa_user_sgpr_kernarg_preload_offset 0
		.amdhsa_user_sgpr_private_segment_size 0
		.amdhsa_uses_dynamic_stack 0
		.amdhsa_enable_private_segment 0
		.amdhsa_system_sgpr_workgroup_id_x 1
		.amdhsa_system_sgpr_workgroup_id_y 0
		.amdhsa_system_sgpr_workgroup_id_z 0
		.amdhsa_system_sgpr_workgroup_info 0
		.amdhsa_system_vgpr_workitem_id 0
		.amdhsa_next_free_vgpr 70
		.amdhsa_next_free_sgpr 14
		.amdhsa_accum_offset 72
		.amdhsa_reserve_vcc 1
		.amdhsa_float_round_mode_32 0
		.amdhsa_float_round_mode_16_64 0
		.amdhsa_float_denorm_mode_32 3
		.amdhsa_float_denorm_mode_16_64 3
		.amdhsa_dx10_clamp 1
		.amdhsa_ieee_mode 1
		.amdhsa_fp16_overflow 0
		.amdhsa_tg_split 0
		.amdhsa_exception_fp_ieee_invalid_op 0
		.amdhsa_exception_fp_denorm_src 0
		.amdhsa_exception_fp_ieee_div_zero 0
		.amdhsa_exception_fp_ieee_overflow 0
		.amdhsa_exception_fp_ieee_underflow 0
		.amdhsa_exception_fp_ieee_inexact 0
		.amdhsa_exception_int_div_zero 0
	.end_amdhsa_kernel
	.section	.text._Z14LLGemm1_kernelIN3c104HalfELi16EEvPKT_S4_PS2_i,"axG",@progbits,_Z14LLGemm1_kernelIN3c104HalfELi16EEvPKT_S4_PS2_i,comdat
.Lfunc_end3:
	.size	_Z14LLGemm1_kernelIN3c104HalfELi16EEvPKT_S4_PS2_i, .Lfunc_end3-_Z14LLGemm1_kernelIN3c104HalfELi16EEvPKT_S4_PS2_i
                                        ; -- End function
	.section	.AMDGPU.csdata,"",@progbits
; Kernel info:
; codeLenInByte = 3228
; NumSgprs: 20
; NumVgprs: 70
; NumAgprs: 0
; TotalNumVgprs: 70
; ScratchSize: 0
; MemoryBound: 0
; FloatMode: 240
; IeeeMode: 1
; LDSByteSize: 4096 bytes/workgroup (compile time only)
; SGPRBlocks: 2
; VGPRBlocks: 8
; NumSGPRsForWavesPerEU: 20
; NumVGPRsForWavesPerEU: 70
; AccumOffset: 72
; Occupancy: 7
; WaveLimiterHint : 0
; COMPUTE_PGM_RSRC2:SCRATCH_EN: 0
; COMPUTE_PGM_RSRC2:USER_SGPR: 2
; COMPUTE_PGM_RSRC2:TRAP_HANDLER: 0
; COMPUTE_PGM_RSRC2:TGID_X_EN: 1
; COMPUTE_PGM_RSRC2:TGID_Y_EN: 0
; COMPUTE_PGM_RSRC2:TGID_Z_EN: 0
; COMPUTE_PGM_RSRC2:TIDIG_COMP_CNT: 0
; COMPUTE_PGM_RSRC3_GFX90A:ACCUM_OFFSET: 17
; COMPUTE_PGM_RSRC3_GFX90A:TG_SPLIT: 0
	.section	.text._Z14LLGemm1_kernelIN3c108BFloat16ELi2EEvPKT_S4_PS2_i,"axG",@progbits,_Z14LLGemm1_kernelIN3c108BFloat16ELi2EEvPKT_S4_PS2_i,comdat
	.protected	_Z14LLGemm1_kernelIN3c108BFloat16ELi2EEvPKT_S4_PS2_i ; -- Begin function _Z14LLGemm1_kernelIN3c108BFloat16ELi2EEvPKT_S4_PS2_i
	.globl	_Z14LLGemm1_kernelIN3c108BFloat16ELi2EEvPKT_S4_PS2_i
	.p2align	8
	.type	_Z14LLGemm1_kernelIN3c108BFloat16ELi2EEvPKT_S4_PS2_i,@function
_Z14LLGemm1_kernelIN3c108BFloat16ELi2EEvPKT_S4_PS2_i: ; @_Z14LLGemm1_kernelIN3c108BFloat16ELi2EEvPKT_S4_PS2_i
; %bb.0:
	s_load_dword s3, s[0:1], 0x18
	s_load_dwordx4 s[4:7], s[0:1], 0x0
	s_load_dwordx2 s[8:9], s[0:1], 0x10
	v_lshlrev_b32_e32 v1, 3, v0
	s_mov_b32 s13, 0
	s_waitcnt lgkmcnt(0)
	v_cmp_gt_i32_e32 vcc, s3, v1
	v_mov_b32_e32 v10, 0
	v_mov_b32_e32 v1, 0
	;; [unrolled: 1-line block ×8, first 2 shown]
                                        ; implicit-def: $vgpr2
                                        ; implicit-def: $vgpr6
	s_and_saveexec_b64 s[10:11], vcc
	s_cbranch_execz .LBB4_2
; %bb.1:
	v_mov_b32_e32 v2, s4
	s_mul_i32 s4, s2, s3
	s_bfe_u32 s4, s4, 0x1d0002
	v_mov_b32_e32 v3, s5
	v_lshlrev_b32_e32 v1, 4, v0
	v_add_u32_e32 v4, s4, v0
	v_mov_b32_e32 v5, 0
	global_load_dwordx4 v[16:19], v1, s[6:7]
	s_lshr_b32 s12, s3, 3
	v_lshl_add_u64 v[10:11], v[4:5], 4, v[2:3]
	v_lshl_add_u64 v[12:13], s[12:13], 4, v[10:11]
	global_load_dwordx4 v[6:9], v[10:11], off nt
	global_load_dwordx4 v[2:5], v[12:13], off nt
	s_waitcnt vmcnt(2)
	v_and_b32_e32 v15, 0xffff0000, v16
	v_lshlrev_b32_e32 v16, 16, v16
	v_and_b32_e32 v13, 0xffff0000, v17
	v_lshlrev_b32_e32 v14, 16, v17
	;; [unrolled: 2-line block ×4, first 2 shown]
.LBB4_2:
	s_or_b64 exec, exec, s[10:11]
	s_waitcnt vmcnt(1)
	v_lshlrev_b32_e32 v17, 16, v6
	v_mul_f32_e32 v18, v16, v17
	s_mov_b32 s3, 0x7f800000
	v_and_b32_e32 v17, 0x7f800000, v18
	v_cmp_ne_u32_e64 s[4:5], s3, v17
                                        ; implicit-def: $vgpr17
	s_and_saveexec_b64 s[6:7], s[4:5]
	s_xor_b64 s[4:5], exec, s[6:7]
; %bb.3:
	v_bfe_u32 v17, v18, 16, 1
	s_movk_i32 s3, 0x7fff
	v_add3_u32 v17, v18, v17, s3
                                        ; implicit-def: $vgpr18
; %bb.4:
	s_andn2_saveexec_b64 s[6:7], s[4:5]
; %bb.5:
	v_mov_b32_e32 v17, 0
	v_or_b32_e32 v19, 0x10000, v18
	v_cmp_eq_u32_sdwa s[4:5], v18, v17 src0_sel:WORD_0 src1_sel:DWORD
	s_nop 1
	v_cndmask_b32_e64 v17, v19, v18, s[4:5]
; %bb.6:
	s_or_b64 exec, exec, s[6:7]
	v_and_b32_e32 v6, 0xffff0000, v6
	v_mul_f32_e32 v18, v15, v6
	s_mov_b32 s3, 0x7f800000
	v_and_b32_e32 v6, 0x7f800000, v18
	v_cmp_ne_u32_e64 s[4:5], s3, v6
                                        ; implicit-def: $vgpr6
	s_and_saveexec_b64 s[6:7], s[4:5]
	s_xor_b64 s[4:5], exec, s[6:7]
; %bb.7:
	v_bfe_u32 v6, v18, 16, 1
	s_movk_i32 s3, 0x7fff
	v_add3_u32 v6, v18, v6, s3
                                        ; implicit-def: $vgpr18
; %bb.8:
	s_andn2_saveexec_b64 s[6:7], s[4:5]
; %bb.9:
	v_mov_b32_e32 v6, 0
	v_or_b32_e32 v19, 0x10000, v18
	v_cmp_eq_u32_sdwa s[4:5], v18, v6 src0_sel:WORD_0 src1_sel:DWORD
	s_nop 1
	v_cndmask_b32_e64 v6, v19, v18, s[4:5]
; %bb.10:
	s_or_b64 exec, exec, s[6:7]
	v_and_b32_e32 v18, 0xffff0000, v17
	v_lshlrev_b32_e32 v17, 16, v7
	v_fmac_f32_e32 v18, v17, v14
	s_mov_b32 s3, 0x7f800000
	v_and_b32_e32 v17, 0x7f800000, v18
	v_cmp_ne_u32_e64 s[4:5], s3, v17
                                        ; implicit-def: $vgpr17
	s_and_saveexec_b64 s[6:7], s[4:5]
	s_xor_b64 s[4:5], exec, s[6:7]
; %bb.11:
	v_bfe_u32 v17, v18, 16, 1
	s_movk_i32 s3, 0x7fff
	v_add3_u32 v17, v18, v17, s3
                                        ; implicit-def: $vgpr18
; %bb.12:
	s_andn2_saveexec_b64 s[6:7], s[4:5]
; %bb.13:
	v_mov_b32_e32 v17, 0
	v_or_b32_e32 v19, 0x10000, v18
	v_cmp_eq_u32_sdwa s[4:5], v18, v17 src0_sel:WORD_0 src1_sel:DWORD
	s_nop 1
	v_cndmask_b32_e64 v17, v19, v18, s[4:5]
; %bb.14:
	s_or_b64 exec, exec, s[6:7]
	v_and_b32_e32 v18, 0xffff0000, v6
	v_and_b32_e32 v6, 0xffff0000, v7
	v_fmac_f32_e32 v18, v6, v13
	s_mov_b32 s3, 0x7f800000
	v_and_b32_e32 v6, 0x7f800000, v18
	v_cmp_ne_u32_e64 s[4:5], s3, v6
                                        ; implicit-def: $vgpr6
	s_and_saveexec_b64 s[6:7], s[4:5]
	s_xor_b64 s[4:5], exec, s[6:7]
; %bb.15:
	v_bfe_u32 v6, v18, 16, 1
	s_movk_i32 s3, 0x7fff
	v_add3_u32 v6, v18, v6, s3
                                        ; implicit-def: $vgpr18
; %bb.16:
	s_andn2_saveexec_b64 s[6:7], s[4:5]
; %bb.17:
	v_mov_b32_e32 v6, 0
	v_or_b32_e32 v7, 0x10000, v18
	v_cmp_eq_u32_sdwa s[4:5], v18, v6 src0_sel:WORD_0 src1_sel:DWORD
	s_nop 1
	v_cndmask_b32_e64 v6, v7, v18, s[4:5]
; %bb.18:
	s_or_b64 exec, exec, s[6:7]
	v_and_b32_e32 v17, 0xffff0000, v17
	v_lshlrev_b32_e32 v7, 16, v8
	v_fmac_f32_e32 v17, v7, v12
	s_mov_b32 s3, 0x7f800000
	v_and_b32_e32 v7, 0x7f800000, v17
	v_cmp_ne_u32_e64 s[4:5], s3, v7
                                        ; implicit-def: $vgpr7
	s_and_saveexec_b64 s[6:7], s[4:5]
	s_xor_b64 s[4:5], exec, s[6:7]
; %bb.19:
	v_bfe_u32 v7, v17, 16, 1
	s_movk_i32 s3, 0x7fff
	v_add3_u32 v7, v17, v7, s3
                                        ; implicit-def: $vgpr17
; %bb.20:
	s_andn2_saveexec_b64 s[6:7], s[4:5]
; %bb.21:
	v_mov_b32_e32 v7, 0
	v_or_b32_e32 v18, 0x10000, v17
	v_cmp_eq_u32_sdwa s[4:5], v17, v7 src0_sel:WORD_0 src1_sel:DWORD
	s_nop 1
	v_cndmask_b32_e64 v7, v18, v17, s[4:5]
; %bb.22:
	s_or_b64 exec, exec, s[6:7]
	v_and_b32_e32 v6, 0xffff0000, v6
	v_and_b32_e32 v8, 0xffff0000, v8
	v_fmac_f32_e32 v6, v8, v11
	s_mov_b32 s3, 0x7f800000
	v_and_b32_e32 v8, 0x7f800000, v6
	v_cmp_ne_u32_e64 s[4:5], s3, v8
                                        ; implicit-def: $vgpr8
	s_and_saveexec_b64 s[6:7], s[4:5]
	s_xor_b64 s[4:5], exec, s[6:7]
; %bb.23:
	v_bfe_u32 v8, v6, 16, 1
	s_movk_i32 s3, 0x7fff
	v_add3_u32 v8, v6, v8, s3
                                        ; implicit-def: $vgpr6
; %bb.24:
	s_andn2_saveexec_b64 s[6:7], s[4:5]
; %bb.25:
	v_mov_b32_e32 v8, 0
	v_or_b32_e32 v17, 0x10000, v6
	v_cmp_eq_u32_sdwa s[4:5], v6, v8 src0_sel:WORD_0 src1_sel:DWORD
	s_nop 1
	v_cndmask_b32_e64 v8, v17, v6, s[4:5]
; %bb.26:
	s_or_b64 exec, exec, s[6:7]
	v_and_b32_e32 v7, 0xffff0000, v7
	v_lshlrev_b32_e32 v6, 16, v9
	v_fmac_f32_e32 v7, v6, v10
	s_mov_b32 s3, 0x7f800000
	v_and_b32_e32 v6, 0x7f800000, v7
	v_cmp_ne_u32_e64 s[4:5], s3, v6
                                        ; implicit-def: $vgpr6
	s_and_saveexec_b64 s[6:7], s[4:5]
	s_xor_b64 s[4:5], exec, s[6:7]
; %bb.27:
	v_bfe_u32 v6, v7, 16, 1
	s_movk_i32 s3, 0x7fff
	v_add3_u32 v6, v7, v6, s3
                                        ; implicit-def: $vgpr7
; %bb.28:
	s_andn2_saveexec_b64 s[6:7], s[4:5]
; %bb.29:
	v_mov_b32_e32 v6, 0
	v_or_b32_e32 v17, 0x10000, v7
	v_cmp_eq_u32_sdwa s[4:5], v7, v6 src0_sel:WORD_0 src1_sel:DWORD
	s_nop 1
	v_cndmask_b32_e64 v6, v17, v7, s[4:5]
; %bb.30:
	s_or_b64 exec, exec, s[6:7]
	v_and_b32_e32 v8, 0xffff0000, v8
	v_and_b32_e32 v7, 0xffff0000, v9
	v_fmac_f32_e32 v8, v7, v1
	s_mov_b32 s3, 0x7f800000
	v_and_b32_e32 v7, 0x7f800000, v8
	v_cmp_ne_u32_e64 s[4:5], s3, v7
                                        ; implicit-def: $vgpr7
	s_and_saveexec_b64 s[6:7], s[4:5]
	s_xor_b64 s[4:5], exec, s[6:7]
; %bb.31:
	v_bfe_u32 v7, v8, 16, 1
	s_movk_i32 s3, 0x7fff
	v_add3_u32 v7, v8, v7, s3
                                        ; implicit-def: $vgpr8
; %bb.32:
	s_andn2_saveexec_b64 s[6:7], s[4:5]
; %bb.33:
	v_mov_b32_e32 v7, 0
	v_or_b32_e32 v9, 0x10000, v8
	v_cmp_eq_u32_sdwa s[4:5], v8, v7 src0_sel:WORD_0 src1_sel:DWORD
	s_nop 1
	v_cndmask_b32_e64 v7, v9, v8, s[4:5]
; %bb.34:
	s_or_b64 exec, exec, s[6:7]
	s_waitcnt vmcnt(0)
	v_lshlrev_b32_e32 v8, 16, v2
	v_mul_f32_e32 v9, v16, v8
	s_mov_b32 s3, 0x7f800000
	v_and_b32_e32 v8, 0x7f800000, v9
	v_cmp_ne_u32_e64 s[4:5], s3, v8
                                        ; implicit-def: $vgpr8
	s_and_saveexec_b64 s[6:7], s[4:5]
	s_xor_b64 s[4:5], exec, s[6:7]
; %bb.35:
	v_bfe_u32 v8, v9, 16, 1
	s_movk_i32 s3, 0x7fff
	v_add3_u32 v8, v9, v8, s3
                                        ; implicit-def: $vgpr9
; %bb.36:
	s_andn2_saveexec_b64 s[6:7], s[4:5]
; %bb.37:
	v_mov_b32_e32 v8, 0
	v_or_b32_e32 v16, 0x10000, v9
	v_cmp_eq_u32_sdwa s[4:5], v9, v8 src0_sel:WORD_0 src1_sel:DWORD
	s_nop 1
	v_cndmask_b32_e64 v8, v16, v9, s[4:5]
; %bb.38:
	s_or_b64 exec, exec, s[6:7]
	v_and_b32_e32 v2, 0xffff0000, v2
	v_mul_f32_e32 v9, v15, v2
	s_mov_b32 s3, 0x7f800000
	v_and_b32_e32 v2, 0x7f800000, v9
	v_cmp_ne_u32_e64 s[4:5], s3, v2
                                        ; implicit-def: $vgpr2
	s_and_saveexec_b64 s[6:7], s[4:5]
	s_xor_b64 s[4:5], exec, s[6:7]
; %bb.39:
	v_bfe_u32 v2, v9, 16, 1
	s_movk_i32 s3, 0x7fff
	v_add3_u32 v2, v9, v2, s3
                                        ; implicit-def: $vgpr9
; %bb.40:
	s_andn2_saveexec_b64 s[6:7], s[4:5]
; %bb.41:
	v_mov_b32_e32 v2, 0
	v_or_b32_e32 v15, 0x10000, v9
	v_cmp_eq_u32_sdwa s[4:5], v9, v2 src0_sel:WORD_0 src1_sel:DWORD
	s_nop 1
	v_cndmask_b32_e64 v2, v15, v9, s[4:5]
; %bb.42:
	s_or_b64 exec, exec, s[6:7]
	v_and_b32_e32 v9, 0xffff0000, v8
	v_lshlrev_b32_e32 v8, 16, v3
	v_fmac_f32_e32 v9, v8, v14
	s_mov_b32 s3, 0x7f800000
	v_and_b32_e32 v8, 0x7f800000, v9
	v_cmp_ne_u32_e64 s[4:5], s3, v8
                                        ; implicit-def: $vgpr8
	s_and_saveexec_b64 s[6:7], s[4:5]
	s_xor_b64 s[4:5], exec, s[6:7]
; %bb.43:
	v_bfe_u32 v8, v9, 16, 1
	s_movk_i32 s3, 0x7fff
	v_add3_u32 v8, v9, v8, s3
                                        ; implicit-def: $vgpr9
; %bb.44:
	s_andn2_saveexec_b64 s[6:7], s[4:5]
; %bb.45:
	v_mov_b32_e32 v8, 0
	v_or_b32_e32 v14, 0x10000, v9
	v_cmp_eq_u32_sdwa s[4:5], v9, v8 src0_sel:WORD_0 src1_sel:DWORD
	s_nop 1
	v_cndmask_b32_e64 v8, v14, v9, s[4:5]
; %bb.46:
	s_or_b64 exec, exec, s[6:7]
	v_and_b32_e32 v9, 0xffff0000, v2
	v_and_b32_e32 v2, 0xffff0000, v3
	v_fmac_f32_e32 v9, v2, v13
	s_mov_b32 s3, 0x7f800000
	v_and_b32_e32 v2, 0x7f800000, v9
	v_cmp_ne_u32_e64 s[4:5], s3, v2
                                        ; implicit-def: $vgpr2
	s_and_saveexec_b64 s[6:7], s[4:5]
	s_xor_b64 s[4:5], exec, s[6:7]
; %bb.47:
	v_bfe_u32 v2, v9, 16, 1
	s_movk_i32 s3, 0x7fff
	v_add3_u32 v2, v9, v2, s3
                                        ; implicit-def: $vgpr9
; %bb.48:
	s_andn2_saveexec_b64 s[6:7], s[4:5]
; %bb.49:
	v_mov_b32_e32 v2, 0
	v_or_b32_e32 v3, 0x10000, v9
	v_cmp_eq_u32_sdwa s[4:5], v9, v2 src0_sel:WORD_0 src1_sel:DWORD
	s_nop 1
	v_cndmask_b32_e64 v2, v3, v9, s[4:5]
; %bb.50:
	s_or_b64 exec, exec, s[6:7]
	v_and_b32_e32 v8, 0xffff0000, v8
	v_lshlrev_b32_e32 v3, 16, v4
	v_fmac_f32_e32 v8, v3, v12
	s_mov_b32 s3, 0x7f800000
	v_and_b32_e32 v3, 0x7f800000, v8
	v_cmp_ne_u32_e64 s[4:5], s3, v3
                                        ; implicit-def: $vgpr3
	s_and_saveexec_b64 s[6:7], s[4:5]
	s_xor_b64 s[4:5], exec, s[6:7]
; %bb.51:
	v_bfe_u32 v3, v8, 16, 1
	s_movk_i32 s3, 0x7fff
	v_add3_u32 v3, v8, v3, s3
                                        ; implicit-def: $vgpr8
; %bb.52:
	s_andn2_saveexec_b64 s[6:7], s[4:5]
; %bb.53:
	v_mov_b32_e32 v3, 0
	v_or_b32_e32 v9, 0x10000, v8
	v_cmp_eq_u32_sdwa s[4:5], v8, v3 src0_sel:WORD_0 src1_sel:DWORD
	s_nop 1
	v_cndmask_b32_e64 v3, v9, v8, s[4:5]
; %bb.54:
	s_or_b64 exec, exec, s[6:7]
	v_and_b32_e32 v2, 0xffff0000, v2
	v_and_b32_e32 v4, 0xffff0000, v4
	v_fmac_f32_e32 v2, v4, v11
	s_mov_b32 s3, 0x7f800000
	v_and_b32_e32 v4, 0x7f800000, v2
	v_cmp_ne_u32_e64 s[4:5], s3, v4
                                        ; implicit-def: $vgpr4
	s_and_saveexec_b64 s[6:7], s[4:5]
	s_xor_b64 s[4:5], exec, s[6:7]
; %bb.55:
	v_bfe_u32 v4, v2, 16, 1
	s_movk_i32 s3, 0x7fff
	v_add3_u32 v4, v2, v4, s3
                                        ; implicit-def: $vgpr2
; %bb.56:
	s_andn2_saveexec_b64 s[6:7], s[4:5]
; %bb.57:
	v_mov_b32_e32 v4, 0
	v_or_b32_e32 v8, 0x10000, v2
	v_cmp_eq_u32_sdwa s[4:5], v2, v4 src0_sel:WORD_0 src1_sel:DWORD
	s_nop 1
	v_cndmask_b32_e64 v4, v8, v2, s[4:5]
; %bb.58:
	s_or_b64 exec, exec, s[6:7]
	v_and_b32_e32 v3, 0xffff0000, v3
	v_lshlrev_b32_e32 v2, 16, v5
	v_fmac_f32_e32 v3, v2, v10
	s_mov_b32 s3, 0x7f800000
	v_and_b32_e32 v2, 0x7f800000, v3
	v_cmp_ne_u32_e64 s[4:5], s3, v2
                                        ; implicit-def: $vgpr2
	s_and_saveexec_b64 s[6:7], s[4:5]
	s_xor_b64 s[4:5], exec, s[6:7]
; %bb.59:
	v_bfe_u32 v2, v3, 16, 1
	s_movk_i32 s3, 0x7fff
	v_add3_u32 v2, v3, v2, s3
                                        ; implicit-def: $vgpr3
; %bb.60:
	s_andn2_saveexec_b64 s[6:7], s[4:5]
; %bb.61:
	v_mov_b32_e32 v2, 0
	v_or_b32_e32 v8, 0x10000, v3
	v_cmp_eq_u32_sdwa s[4:5], v3, v2 src0_sel:WORD_0 src1_sel:DWORD
	s_nop 1
	v_cndmask_b32_e64 v2, v8, v3, s[4:5]
; %bb.62:
	s_or_b64 exec, exec, s[6:7]
	v_and_b32_e32 v3, 0xffff0000, v4
	v_and_b32_e32 v4, 0xffff0000, v5
	v_fmac_f32_e32 v3, v4, v1
	s_mov_b32 s3, 0x7f800000
	v_and_b32_e32 v1, 0x7f800000, v3
	v_cmp_ne_u32_e64 s[4:5], s3, v1
                                        ; implicit-def: $vgpr1
	s_and_saveexec_b64 s[6:7], s[4:5]
	s_xor_b64 s[4:5], exec, s[6:7]
; %bb.63:
	v_bfe_u32 v1, v3, 16, 1
	s_movk_i32 s3, 0x7fff
	v_add3_u32 v1, v3, v1, s3
                                        ; implicit-def: $vgpr3
; %bb.64:
	s_andn2_saveexec_b64 s[6:7], s[4:5]
; %bb.65:
	v_mov_b32_e32 v1, 0
	v_or_b32_e32 v4, 0x10000, v3
	v_cmp_eq_u32_sdwa s[4:5], v3, v1 src0_sel:WORD_0 src1_sel:DWORD
	s_nop 1
	v_cndmask_b32_e64 v1, v4, v3, s[4:5]
; %bb.66:
	s_or_b64 exec, exec, s[6:7]
	v_and_b32_e32 v3, 0xffff0000, v6
	v_and_b32_e32 v4, 0xffff0000, v7
	v_add_f32_e32 v3, v3, v4
	v_cndmask_b32_e32 v4, 0, v3, vcc
	v_and_b32_e32 v3, 0xffff0000, v1
	v_mbcnt_lo_u32_b32 v1, -1, 0
	v_mbcnt_hi_u32_b32 v10, -1, v1
	v_and_b32_e32 v2, 0xffff0000, v2
	v_mov_b32_e32 v6, v3
	v_and_b32_e32 v1, 64, v10
	v_pk_add_f32 v[2:3], v[6:7], v[2:3] op_sel_hi:[0,1]
	v_add_u32_e32 v11, 64, v1
	v_xor_b32_e32 v1, 32, v10
	v_cndmask_b32_e32 v5, 0, v2, vcc
	v_cmp_lt_i32_e32 vcc, v1, v11
	s_nop 1
	v_cndmask_b32_e32 v1, v10, v1, vcc
	v_lshlrev_b32_e32 v1, 2, v1
	ds_bpermute_b32 v2, v1, v4
	ds_bpermute_b32 v3, v1, v5
	v_xor_b32_e32 v1, 16, v10
	v_cmp_lt_i32_e32 vcc, v1, v11
	s_waitcnt lgkmcnt(0)
	v_pk_add_f32 v[2:3], v[4:5], v[2:3]
	v_cndmask_b32_e32 v1, v10, v1, vcc
	v_lshlrev_b32_e32 v1, 2, v1
	ds_bpermute_b32 v6, v1, v2
	ds_bpermute_b32 v7, v1, v3
	v_xor_b32_e32 v4, 8, v10
	v_cmp_lt_i32_e32 vcc, v4, v11
	v_xor_b32_e32 v5, 4, v10
	s_waitcnt lgkmcnt(0)
	v_pk_add_f32 v[2:3], v[2:3], v[6:7]
	v_cndmask_b32_e32 v4, v10, v4, vcc
	v_lshlrev_b32_e32 v4, 2, v4
	ds_bpermute_b32 v6, v4, v2
	ds_bpermute_b32 v7, v4, v3
	v_cmp_lt_i32_e32 vcc, v5, v11
	s_waitcnt lgkmcnt(0)
	v_pk_add_f32 v[2:3], v[2:3], v[6:7]
	v_cndmask_b32_e32 v5, v10, v5, vcc
	v_lshlrev_b32_e32 v5, 2, v5
	ds_bpermute_b32 v8, v5, v2
	ds_bpermute_b32 v9, v5, v3
	v_xor_b32_e32 v6, 2, v10
	v_cmp_lt_i32_e32 vcc, v6, v11
	v_xor_b32_e32 v7, 1, v10
	s_waitcnt lgkmcnt(0)
	v_pk_add_f32 v[2:3], v[2:3], v[8:9]
	v_cndmask_b32_e32 v6, v10, v6, vcc
	v_lshlrev_b32_e32 v6, 2, v6
	ds_bpermute_b32 v8, v6, v2
	ds_bpermute_b32 v9, v6, v3
	v_cmp_lt_i32_e32 vcc, v7, v11
	s_waitcnt lgkmcnt(0)
	v_pk_add_f32 v[2:3], v[2:3], v[8:9]
	v_cndmask_b32_e32 v7, v10, v7, vcc
	v_lshlrev_b32_e32 v7, 2, v7
	ds_bpermute_b32 v8, v7, v2
	ds_bpermute_b32 v9, v7, v3
	v_and_b32_e32 v10, 63, v0
	v_cmp_gt_u32_e32 vcc, 2, v10
	s_and_saveexec_b64 s[4:5], vcc
	s_cbranch_execz .LBB4_68
; %bb.67:
	v_lshrrev_b32_e32 v11, 4, v0
	v_cmp_eq_u32_e32 vcc, 1, v10
	v_and_b32_e32 v11, 60, v11
	v_lshl_or_b32 v11, v10, 8, v11
	s_waitcnt lgkmcnt(0)
	v_cndmask_b32_e32 v8, v8, v9, vcc
	v_cndmask_b32_e32 v2, v2, v3, vcc
	v_add_f32_e32 v2, v2, v8
	ds_write_b32 v11, v2
.LBB4_68:
	s_or_b64 exec, exec, s[4:5]
	v_cmp_gt_u32_e32 vcc, 32, v0
	s_waitcnt lgkmcnt(0)
	s_barrier
	s_and_saveexec_b64 s[4:5], vcc
	s_cbranch_execz .LBB4_81
; %bb.69:
	s_load_dword s0, s[0:1], 0x2c
	v_and_b32_e32 v3, 15, v0
	v_mov_b32_e32 v2, 0
	s_waitcnt lgkmcnt(0)
	s_and_b32 s0, 0xffff, s0
	s_lshr_b32 s0, s0, 6
	v_cmp_gt_u32_e32 vcc, s0, v3
	s_and_saveexec_b64 s[0:1], vcc
	s_cbranch_execz .LBB4_71
; %bb.70:
	v_lshlrev_b32_e32 v2, 2, v3
	v_lshlrev_b32_e32 v3, 4, v0
	s_movk_i32 s3, 0x3f00
	v_and_or_b32 v2, v3, s3, v2
	ds_read_b32 v2, v2
.LBB4_71:
	s_or_b64 exec, exec, s[0:1]
	s_waitcnt lgkmcnt(0)
	ds_bpermute_b32 v3, v4, v2
	v_cmp_eq_u32_e32 vcc, 0, v0
	s_waitcnt lgkmcnt(0)
	v_add_f32_e32 v2, v2, v3
	ds_bpermute_b32 v3, v5, v2
	s_waitcnt lgkmcnt(0)
	v_add_f32_e32 v2, v2, v3
	ds_bpermute_b32 v3, v6, v2
	;; [unrolled: 3-line block ×4, first 2 shown]
	s_and_b64 exec, exec, vcc
	s_cbranch_execz .LBB4_81
; %bb.72:
	s_mov_b32 s0, 0x7f800000
	v_and_b32_e32 v0, 0x7f800000, v2
	v_cmp_ne_u32_e32 vcc, s0, v0
                                        ; implicit-def: $vgpr0
	s_and_saveexec_b64 s[0:1], vcc
	s_xor_b64 s[0:1], exec, s[0:1]
; %bb.73:
	v_bfe_u32 v0, v2, 16, 1
	s_movk_i32 s3, 0x7fff
	v_add3_u32 v0, v2, v0, s3
                                        ; implicit-def: $vgpr2
; %bb.74:
	s_andn2_saveexec_b64 s[0:1], s[0:1]
; %bb.75:
	v_mov_b32_e32 v0, 0
	v_or_b32_e32 v3, 0x10000, v2
	v_cmp_eq_u32_sdwa vcc, v2, v0 src0_sel:WORD_0 src1_sel:DWORD
	s_nop 1
	v_cndmask_b32_e32 v0, v3, v2, vcc
; %bb.76:
	s_or_b64 exec, exec, s[0:1]
	s_mov_b32 s0, 0x7f800000
	s_waitcnt lgkmcnt(0)
	v_and_b32_e32 v2, 0x7f800000, v1
	v_cmp_ne_u32_e32 vcc, s0, v2
                                        ; implicit-def: $vgpr2
	s_and_saveexec_b64 s[0:1], vcc
	s_xor_b64 s[0:1], exec, s[0:1]
; %bb.77:
	v_bfe_u32 v2, v1, 16, 1
	s_movk_i32 s3, 0x7fff
	v_add3_u32 v2, v1, v2, s3
                                        ; implicit-def: $vgpr1
; %bb.78:
	s_andn2_saveexec_b64 s[0:1], s[0:1]
; %bb.79:
	v_mov_b32_e32 v2, 0
	v_or_b32_e32 v3, 0x10000, v1
	v_cmp_eq_u32_sdwa vcc, v1, v2 src0_sel:WORD_0 src1_sel:DWORD
	s_nop 1
	v_cndmask_b32_e32 v2, v3, v1, vcc
; %bb.80:
	s_or_b64 exec, exec, s[0:1]
	s_and_b32 s0, s2, 0x7fffffff
	s_mov_b32 s1, 0
	s_lshl_b64 s[0:1], s[0:1], 2
	s_add_u32 s0, s8, s0
	s_mov_b32 s2, 0x7060302
	s_addc_u32 s1, s9, s1
	v_mov_b32_e32 v1, 0
	v_perm_b32 v0, v2, v0, s2
	global_store_dword v1, v0, s[0:1]
.LBB4_81:
	s_endpgm
	.section	.rodata,"a",@progbits
	.p2align	6, 0x0
	.amdhsa_kernel _Z14LLGemm1_kernelIN3c108BFloat16ELi2EEvPKT_S4_PS2_i
		.amdhsa_group_segment_fixed_size 512
		.amdhsa_private_segment_fixed_size 0
		.amdhsa_kernarg_size 288
		.amdhsa_user_sgpr_count 2
		.amdhsa_user_sgpr_dispatch_ptr 0
		.amdhsa_user_sgpr_queue_ptr 0
		.amdhsa_user_sgpr_kernarg_segment_ptr 1
		.amdhsa_user_sgpr_dispatch_id 0
		.amdhsa_user_sgpr_kernarg_preload_length 0
		.amdhsa_user_sgpr_kernarg_preload_offset 0
		.amdhsa_user_sgpr_private_segment_size 0
		.amdhsa_uses_dynamic_stack 0
		.amdhsa_enable_private_segment 0
		.amdhsa_system_sgpr_workgroup_id_x 1
		.amdhsa_system_sgpr_workgroup_id_y 0
		.amdhsa_system_sgpr_workgroup_id_z 0
		.amdhsa_system_sgpr_workgroup_info 0
		.amdhsa_system_vgpr_workitem_id 0
		.amdhsa_next_free_vgpr 20
		.amdhsa_next_free_sgpr 14
		.amdhsa_accum_offset 20
		.amdhsa_reserve_vcc 1
		.amdhsa_float_round_mode_32 0
		.amdhsa_float_round_mode_16_64 0
		.amdhsa_float_denorm_mode_32 3
		.amdhsa_float_denorm_mode_16_64 3
		.amdhsa_dx10_clamp 1
		.amdhsa_ieee_mode 1
		.amdhsa_fp16_overflow 0
		.amdhsa_tg_split 0
		.amdhsa_exception_fp_ieee_invalid_op 0
		.amdhsa_exception_fp_denorm_src 0
		.amdhsa_exception_fp_ieee_div_zero 0
		.amdhsa_exception_fp_ieee_overflow 0
		.amdhsa_exception_fp_ieee_underflow 0
		.amdhsa_exception_fp_ieee_inexact 0
		.amdhsa_exception_int_div_zero 0
	.end_amdhsa_kernel
	.section	.text._Z14LLGemm1_kernelIN3c108BFloat16ELi2EEvPKT_S4_PS2_i,"axG",@progbits,_Z14LLGemm1_kernelIN3c108BFloat16ELi2EEvPKT_S4_PS2_i,comdat
.Lfunc_end4:
	.size	_Z14LLGemm1_kernelIN3c108BFloat16ELi2EEvPKT_S4_PS2_i, .Lfunc_end4-_Z14LLGemm1_kernelIN3c108BFloat16ELi2EEvPKT_S4_PS2_i
                                        ; -- End function
	.section	.AMDGPU.csdata,"",@progbits
; Kernel info:
; codeLenInByte = 2760
; NumSgprs: 20
; NumVgprs: 20
; NumAgprs: 0
; TotalNumVgprs: 20
; ScratchSize: 0
; MemoryBound: 0
; FloatMode: 240
; IeeeMode: 1
; LDSByteSize: 512 bytes/workgroup (compile time only)
; SGPRBlocks: 2
; VGPRBlocks: 2
; NumSGPRsForWavesPerEU: 20
; NumVGPRsForWavesPerEU: 20
; AccumOffset: 20
; Occupancy: 8
; WaveLimiterHint : 0
; COMPUTE_PGM_RSRC2:SCRATCH_EN: 0
; COMPUTE_PGM_RSRC2:USER_SGPR: 2
; COMPUTE_PGM_RSRC2:TRAP_HANDLER: 0
; COMPUTE_PGM_RSRC2:TGID_X_EN: 1
; COMPUTE_PGM_RSRC2:TGID_Y_EN: 0
; COMPUTE_PGM_RSRC2:TGID_Z_EN: 0
; COMPUTE_PGM_RSRC2:TIDIG_COMP_CNT: 0
; COMPUTE_PGM_RSRC3_GFX90A:ACCUM_OFFSET: 4
; COMPUTE_PGM_RSRC3_GFX90A:TG_SPLIT: 0
	.section	.text._Z14LLGemm1_kernelIN3c108BFloat16ELi4EEvPKT_S4_PS2_i,"axG",@progbits,_Z14LLGemm1_kernelIN3c108BFloat16ELi4EEvPKT_S4_PS2_i,comdat
	.protected	_Z14LLGemm1_kernelIN3c108BFloat16ELi4EEvPKT_S4_PS2_i ; -- Begin function _Z14LLGemm1_kernelIN3c108BFloat16ELi4EEvPKT_S4_PS2_i
	.globl	_Z14LLGemm1_kernelIN3c108BFloat16ELi4EEvPKT_S4_PS2_i
	.p2align	8
	.type	_Z14LLGemm1_kernelIN3c108BFloat16ELi4EEvPKT_S4_PS2_i,@function
_Z14LLGemm1_kernelIN3c108BFloat16ELi4EEvPKT_S4_PS2_i: ; @_Z14LLGemm1_kernelIN3c108BFloat16ELi4EEvPKT_S4_PS2_i
; %bb.0:
	s_load_dword s3, s[0:1], 0x18
	s_load_dwordx4 s[4:7], s[0:1], 0x0
	s_load_dwordx2 s[8:9], s[0:1], 0x10
	v_lshlrev_b32_e32 v1, 3, v0
	s_mov_b32 s13, 0
	s_waitcnt lgkmcnt(0)
	v_cmp_gt_i32_e32 vcc, s3, v1
	v_mov_b32_e32 v18, 0
	v_mov_b32_e32 v1, 0
	;; [unrolled: 1-line block ×8, first 2 shown]
                                        ; implicit-def: $vgpr2
                                        ; implicit-def: $vgpr6
                                        ; implicit-def: $vgpr10
                                        ; implicit-def: $vgpr14
	s_and_saveexec_b64 s[10:11], vcc
	s_cbranch_execz .LBB5_2
; %bb.1:
	s_mul_i32 s12, s2, s3
	s_bfe_u32 s12, s12, 0x1d0001
	v_add_u32_e32 v2, s12, v0
	s_lshr_b32 s12, s3, 3
	v_mov_b32_e32 v3, 0
	s_add_i32 s3, s12, s12
	v_lshl_add_u64 v[4:5], v[2:3], 4, s[4:5]
	v_add_u32_e32 v2, s3, v2
	v_lshl_add_u64 v[6:7], s[12:13], 4, v[4:5]
	v_lshlrev_b32_e32 v1, 4, v0
	v_lshl_add_u64 v[18:19], v[2:3], 4, s[4:5]
	v_add_u32_e32 v2, s12, v2
	global_load_dwordx4 v[24:27], v1, s[6:7]
	global_load_dwordx4 v[14:17], v[4:5], off nt
	global_load_dwordx4 v[10:13], v[6:7], off nt
	v_lshl_add_u64 v[20:21], v[2:3], 4, s[4:5]
	global_load_dwordx4 v[6:9], v[18:19], off nt
	global_load_dwordx4 v[2:5], v[20:21], off nt
	s_waitcnt vmcnt(4)
	v_and_b32_e32 v23, 0xffff0000, v24
	v_lshlrev_b32_e32 v24, 16, v24
	v_and_b32_e32 v21, 0xffff0000, v25
	v_lshlrev_b32_e32 v22, 16, v25
	v_and_b32_e32 v19, 0xffff0000, v26
	v_lshlrev_b32_e32 v20, 16, v26
	v_and_b32_e32 v1, 0xffff0000, v27
	v_lshlrev_b32_e32 v18, 16, v27
.LBB5_2:
	s_or_b64 exec, exec, s[10:11]
	s_waitcnt vmcnt(3)
	v_lshlrev_b32_e32 v25, 16, v14
	v_mul_f32_e32 v26, v24, v25
	s_mov_b32 s3, 0x7f800000
	v_and_b32_e32 v25, 0x7f800000, v26
	v_cmp_ne_u32_e64 s[4:5], s3, v25
                                        ; implicit-def: $vgpr25
	s_and_saveexec_b64 s[6:7], s[4:5]
	s_xor_b64 s[4:5], exec, s[6:7]
; %bb.3:
	v_bfe_u32 v25, v26, 16, 1
	s_movk_i32 s3, 0x7fff
	v_add3_u32 v25, v26, v25, s3
                                        ; implicit-def: $vgpr26
; %bb.4:
	s_andn2_saveexec_b64 s[6:7], s[4:5]
; %bb.5:
	v_mov_b32_e32 v25, 0
	v_or_b32_e32 v27, 0x10000, v26
	v_cmp_eq_u32_sdwa s[4:5], v26, v25 src0_sel:WORD_0 src1_sel:DWORD
	s_nop 1
	v_cndmask_b32_e64 v25, v27, v26, s[4:5]
; %bb.6:
	s_or_b64 exec, exec, s[6:7]
	v_and_b32_e32 v14, 0xffff0000, v14
	v_mul_f32_e32 v26, v23, v14
	s_mov_b32 s3, 0x7f800000
	v_and_b32_e32 v14, 0x7f800000, v26
	v_cmp_ne_u32_e64 s[4:5], s3, v14
                                        ; implicit-def: $vgpr14
	s_and_saveexec_b64 s[6:7], s[4:5]
	s_xor_b64 s[4:5], exec, s[6:7]
; %bb.7:
	v_bfe_u32 v14, v26, 16, 1
	s_movk_i32 s3, 0x7fff
	v_add3_u32 v14, v26, v14, s3
                                        ; implicit-def: $vgpr26
; %bb.8:
	s_andn2_saveexec_b64 s[6:7], s[4:5]
; %bb.9:
	v_mov_b32_e32 v14, 0
	v_or_b32_e32 v27, 0x10000, v26
	v_cmp_eq_u32_sdwa s[4:5], v26, v14 src0_sel:WORD_0 src1_sel:DWORD
	s_nop 1
	v_cndmask_b32_e64 v14, v27, v26, s[4:5]
; %bb.10:
	s_or_b64 exec, exec, s[6:7]
	v_and_b32_e32 v26, 0xffff0000, v25
	v_lshlrev_b32_e32 v25, 16, v15
	v_fmac_f32_e32 v26, v25, v22
	s_mov_b32 s3, 0x7f800000
	v_and_b32_e32 v25, 0x7f800000, v26
	v_cmp_ne_u32_e64 s[4:5], s3, v25
                                        ; implicit-def: $vgpr25
	s_and_saveexec_b64 s[6:7], s[4:5]
	s_xor_b64 s[4:5], exec, s[6:7]
; %bb.11:
	v_bfe_u32 v25, v26, 16, 1
	s_movk_i32 s3, 0x7fff
	v_add3_u32 v25, v26, v25, s3
                                        ; implicit-def: $vgpr26
; %bb.12:
	s_andn2_saveexec_b64 s[6:7], s[4:5]
; %bb.13:
	v_mov_b32_e32 v25, 0
	v_or_b32_e32 v27, 0x10000, v26
	v_cmp_eq_u32_sdwa s[4:5], v26, v25 src0_sel:WORD_0 src1_sel:DWORD
	s_nop 1
	v_cndmask_b32_e64 v25, v27, v26, s[4:5]
; %bb.14:
	s_or_b64 exec, exec, s[6:7]
	v_and_b32_e32 v26, 0xffff0000, v14
	v_and_b32_e32 v14, 0xffff0000, v15
	v_fmac_f32_e32 v26, v14, v21
	s_mov_b32 s3, 0x7f800000
	v_and_b32_e32 v14, 0x7f800000, v26
	v_cmp_ne_u32_e64 s[4:5], s3, v14
                                        ; implicit-def: $vgpr14
	s_and_saveexec_b64 s[6:7], s[4:5]
	s_xor_b64 s[4:5], exec, s[6:7]
; %bb.15:
	v_bfe_u32 v14, v26, 16, 1
	s_movk_i32 s3, 0x7fff
	v_add3_u32 v14, v26, v14, s3
                                        ; implicit-def: $vgpr26
; %bb.16:
	s_andn2_saveexec_b64 s[6:7], s[4:5]
; %bb.17:
	v_mov_b32_e32 v14, 0
	v_or_b32_e32 v15, 0x10000, v26
	v_cmp_eq_u32_sdwa s[4:5], v26, v14 src0_sel:WORD_0 src1_sel:DWORD
	s_nop 1
	v_cndmask_b32_e64 v14, v15, v26, s[4:5]
; %bb.18:
	s_or_b64 exec, exec, s[6:7]
	v_and_b32_e32 v25, 0xffff0000, v25
	v_lshlrev_b32_e32 v15, 16, v16
	v_fmac_f32_e32 v25, v15, v20
	s_mov_b32 s3, 0x7f800000
	v_and_b32_e32 v15, 0x7f800000, v25
	v_cmp_ne_u32_e64 s[4:5], s3, v15
                                        ; implicit-def: $vgpr15
	s_and_saveexec_b64 s[6:7], s[4:5]
	s_xor_b64 s[4:5], exec, s[6:7]
; %bb.19:
	v_bfe_u32 v15, v25, 16, 1
	s_movk_i32 s3, 0x7fff
	v_add3_u32 v15, v25, v15, s3
                                        ; implicit-def: $vgpr25
; %bb.20:
	s_andn2_saveexec_b64 s[6:7], s[4:5]
; %bb.21:
	v_mov_b32_e32 v15, 0
	v_or_b32_e32 v26, 0x10000, v25
	v_cmp_eq_u32_sdwa s[4:5], v25, v15 src0_sel:WORD_0 src1_sel:DWORD
	s_nop 1
	v_cndmask_b32_e64 v15, v26, v25, s[4:5]
; %bb.22:
	s_or_b64 exec, exec, s[6:7]
	v_and_b32_e32 v14, 0xffff0000, v14
	v_and_b32_e32 v16, 0xffff0000, v16
	v_fmac_f32_e32 v14, v16, v19
	s_mov_b32 s3, 0x7f800000
	v_and_b32_e32 v16, 0x7f800000, v14
	v_cmp_ne_u32_e64 s[4:5], s3, v16
                                        ; implicit-def: $vgpr16
	s_and_saveexec_b64 s[6:7], s[4:5]
	s_xor_b64 s[4:5], exec, s[6:7]
; %bb.23:
	v_bfe_u32 v16, v14, 16, 1
	s_movk_i32 s3, 0x7fff
	v_add3_u32 v16, v14, v16, s3
                                        ; implicit-def: $vgpr14
; %bb.24:
	s_andn2_saveexec_b64 s[6:7], s[4:5]
; %bb.25:
	v_mov_b32_e32 v16, 0
	v_or_b32_e32 v25, 0x10000, v14
	v_cmp_eq_u32_sdwa s[4:5], v14, v16 src0_sel:WORD_0 src1_sel:DWORD
	s_nop 1
	v_cndmask_b32_e64 v16, v25, v14, s[4:5]
; %bb.26:
	s_or_b64 exec, exec, s[6:7]
	v_and_b32_e32 v15, 0xffff0000, v15
	v_lshlrev_b32_e32 v14, 16, v17
	v_fmac_f32_e32 v15, v14, v18
	s_mov_b32 s3, 0x7f800000
	v_and_b32_e32 v14, 0x7f800000, v15
	v_cmp_ne_u32_e64 s[4:5], s3, v14
                                        ; implicit-def: $vgpr14
	s_and_saveexec_b64 s[6:7], s[4:5]
	s_xor_b64 s[4:5], exec, s[6:7]
; %bb.27:
	v_bfe_u32 v14, v15, 16, 1
	s_movk_i32 s3, 0x7fff
	v_add3_u32 v14, v15, v14, s3
                                        ; implicit-def: $vgpr15
; %bb.28:
	s_andn2_saveexec_b64 s[6:7], s[4:5]
; %bb.29:
	v_mov_b32_e32 v14, 0
	v_or_b32_e32 v25, 0x10000, v15
	v_cmp_eq_u32_sdwa s[4:5], v15, v14 src0_sel:WORD_0 src1_sel:DWORD
	s_nop 1
	v_cndmask_b32_e64 v14, v25, v15, s[4:5]
; %bb.30:
	s_or_b64 exec, exec, s[6:7]
	v_and_b32_e32 v16, 0xffff0000, v16
	v_and_b32_e32 v15, 0xffff0000, v17
	v_fmac_f32_e32 v16, v15, v1
	s_mov_b32 s3, 0x7f800000
	v_and_b32_e32 v15, 0x7f800000, v16
	v_cmp_ne_u32_e64 s[4:5], s3, v15
                                        ; implicit-def: $vgpr15
	s_and_saveexec_b64 s[6:7], s[4:5]
	s_xor_b64 s[4:5], exec, s[6:7]
; %bb.31:
	v_bfe_u32 v15, v16, 16, 1
	s_movk_i32 s3, 0x7fff
	v_add3_u32 v15, v16, v15, s3
                                        ; implicit-def: $vgpr16
; %bb.32:
	s_andn2_saveexec_b64 s[6:7], s[4:5]
; %bb.33:
	v_mov_b32_e32 v15, 0
	v_or_b32_e32 v17, 0x10000, v16
	v_cmp_eq_u32_sdwa s[4:5], v16, v15 src0_sel:WORD_0 src1_sel:DWORD
	s_nop 1
	v_cndmask_b32_e64 v15, v17, v16, s[4:5]
; %bb.34:
	s_or_b64 exec, exec, s[6:7]
	s_waitcnt vmcnt(2)
	v_lshlrev_b32_e32 v16, 16, v10
	v_mul_f32_e32 v17, v24, v16
	s_mov_b32 s3, 0x7f800000
	v_and_b32_e32 v16, 0x7f800000, v17
	v_cmp_ne_u32_e64 s[4:5], s3, v16
                                        ; implicit-def: $vgpr16
	s_and_saveexec_b64 s[6:7], s[4:5]
	s_xor_b64 s[4:5], exec, s[6:7]
; %bb.35:
	v_bfe_u32 v16, v17, 16, 1
	s_movk_i32 s3, 0x7fff
	v_add3_u32 v16, v17, v16, s3
                                        ; implicit-def: $vgpr17
; %bb.36:
	s_andn2_saveexec_b64 s[6:7], s[4:5]
; %bb.37:
	v_mov_b32_e32 v16, 0
	v_or_b32_e32 v25, 0x10000, v17
	v_cmp_eq_u32_sdwa s[4:5], v17, v16 src0_sel:WORD_0 src1_sel:DWORD
	s_nop 1
	v_cndmask_b32_e64 v16, v25, v17, s[4:5]
; %bb.38:
	s_or_b64 exec, exec, s[6:7]
	v_and_b32_e32 v10, 0xffff0000, v10
	v_mul_f32_e32 v17, v23, v10
	s_mov_b32 s3, 0x7f800000
	v_and_b32_e32 v10, 0x7f800000, v17
	v_cmp_ne_u32_e64 s[4:5], s3, v10
                                        ; implicit-def: $vgpr10
	s_and_saveexec_b64 s[6:7], s[4:5]
	s_xor_b64 s[4:5], exec, s[6:7]
; %bb.39:
	v_bfe_u32 v10, v17, 16, 1
	s_movk_i32 s3, 0x7fff
	v_add3_u32 v10, v17, v10, s3
                                        ; implicit-def: $vgpr17
; %bb.40:
	s_andn2_saveexec_b64 s[6:7], s[4:5]
; %bb.41:
	v_mov_b32_e32 v10, 0
	v_or_b32_e32 v25, 0x10000, v17
	v_cmp_eq_u32_sdwa s[4:5], v17, v10 src0_sel:WORD_0 src1_sel:DWORD
	s_nop 1
	v_cndmask_b32_e64 v10, v25, v17, s[4:5]
; %bb.42:
	s_or_b64 exec, exec, s[6:7]
	v_and_b32_e32 v17, 0xffff0000, v16
	v_lshlrev_b32_e32 v16, 16, v11
	v_fmac_f32_e32 v17, v16, v22
	s_mov_b32 s3, 0x7f800000
	v_and_b32_e32 v16, 0x7f800000, v17
	v_cmp_ne_u32_e64 s[4:5], s3, v16
                                        ; implicit-def: $vgpr16
	s_and_saveexec_b64 s[6:7], s[4:5]
	s_xor_b64 s[4:5], exec, s[6:7]
; %bb.43:
	v_bfe_u32 v16, v17, 16, 1
	s_movk_i32 s3, 0x7fff
	v_add3_u32 v16, v17, v16, s3
                                        ; implicit-def: $vgpr17
; %bb.44:
	s_andn2_saveexec_b64 s[6:7], s[4:5]
; %bb.45:
	v_mov_b32_e32 v16, 0
	v_or_b32_e32 v25, 0x10000, v17
	v_cmp_eq_u32_sdwa s[4:5], v17, v16 src0_sel:WORD_0 src1_sel:DWORD
	s_nop 1
	v_cndmask_b32_e64 v16, v25, v17, s[4:5]
; %bb.46:
	s_or_b64 exec, exec, s[6:7]
	v_and_b32_e32 v17, 0xffff0000, v10
	v_and_b32_e32 v10, 0xffff0000, v11
	v_fmac_f32_e32 v17, v10, v21
	s_mov_b32 s3, 0x7f800000
	v_and_b32_e32 v10, 0x7f800000, v17
	v_cmp_ne_u32_e64 s[4:5], s3, v10
                                        ; implicit-def: $vgpr10
	s_and_saveexec_b64 s[6:7], s[4:5]
	s_xor_b64 s[4:5], exec, s[6:7]
; %bb.47:
	v_bfe_u32 v10, v17, 16, 1
	s_movk_i32 s3, 0x7fff
	v_add3_u32 v10, v17, v10, s3
                                        ; implicit-def: $vgpr17
; %bb.48:
	s_andn2_saveexec_b64 s[6:7], s[4:5]
; %bb.49:
	v_mov_b32_e32 v10, 0
	v_or_b32_e32 v11, 0x10000, v17
	v_cmp_eq_u32_sdwa s[4:5], v17, v10 src0_sel:WORD_0 src1_sel:DWORD
	s_nop 1
	v_cndmask_b32_e64 v10, v11, v17, s[4:5]
; %bb.50:
	s_or_b64 exec, exec, s[6:7]
	v_and_b32_e32 v16, 0xffff0000, v16
	v_lshlrev_b32_e32 v11, 16, v12
	v_fmac_f32_e32 v16, v11, v20
	s_mov_b32 s3, 0x7f800000
	v_and_b32_e32 v11, 0x7f800000, v16
	v_cmp_ne_u32_e64 s[4:5], s3, v11
                                        ; implicit-def: $vgpr11
	s_and_saveexec_b64 s[6:7], s[4:5]
	s_xor_b64 s[4:5], exec, s[6:7]
; %bb.51:
	v_bfe_u32 v11, v16, 16, 1
	s_movk_i32 s3, 0x7fff
	v_add3_u32 v11, v16, v11, s3
                                        ; implicit-def: $vgpr16
; %bb.52:
	s_andn2_saveexec_b64 s[6:7], s[4:5]
; %bb.53:
	v_mov_b32_e32 v11, 0
	v_or_b32_e32 v17, 0x10000, v16
	v_cmp_eq_u32_sdwa s[4:5], v16, v11 src0_sel:WORD_0 src1_sel:DWORD
	s_nop 1
	v_cndmask_b32_e64 v11, v17, v16, s[4:5]
; %bb.54:
	s_or_b64 exec, exec, s[6:7]
	v_and_b32_e32 v10, 0xffff0000, v10
	v_and_b32_e32 v12, 0xffff0000, v12
	v_fmac_f32_e32 v10, v12, v19
	s_mov_b32 s3, 0x7f800000
	v_and_b32_e32 v12, 0x7f800000, v10
	v_cmp_ne_u32_e64 s[4:5], s3, v12
                                        ; implicit-def: $vgpr12
	s_and_saveexec_b64 s[6:7], s[4:5]
	s_xor_b64 s[4:5], exec, s[6:7]
; %bb.55:
	v_bfe_u32 v12, v10, 16, 1
	s_movk_i32 s3, 0x7fff
	v_add3_u32 v12, v10, v12, s3
                                        ; implicit-def: $vgpr10
; %bb.56:
	s_andn2_saveexec_b64 s[6:7], s[4:5]
; %bb.57:
	v_mov_b32_e32 v12, 0
	v_or_b32_e32 v16, 0x10000, v10
	v_cmp_eq_u32_sdwa s[4:5], v10, v12 src0_sel:WORD_0 src1_sel:DWORD
	s_nop 1
	v_cndmask_b32_e64 v12, v16, v10, s[4:5]
; %bb.58:
	s_or_b64 exec, exec, s[6:7]
	v_and_b32_e32 v11, 0xffff0000, v11
	v_lshlrev_b32_e32 v10, 16, v13
	v_fmac_f32_e32 v11, v10, v18
	s_mov_b32 s3, 0x7f800000
	v_and_b32_e32 v10, 0x7f800000, v11
	v_cmp_ne_u32_e64 s[4:5], s3, v10
                                        ; implicit-def: $vgpr10
	s_and_saveexec_b64 s[6:7], s[4:5]
	s_xor_b64 s[4:5], exec, s[6:7]
; %bb.59:
	v_bfe_u32 v10, v11, 16, 1
	s_movk_i32 s3, 0x7fff
	v_add3_u32 v10, v11, v10, s3
                                        ; implicit-def: $vgpr11
; %bb.60:
	s_andn2_saveexec_b64 s[6:7], s[4:5]
; %bb.61:
	v_mov_b32_e32 v10, 0
	v_or_b32_e32 v16, 0x10000, v11
	v_cmp_eq_u32_sdwa s[4:5], v11, v10 src0_sel:WORD_0 src1_sel:DWORD
	s_nop 1
	v_cndmask_b32_e64 v10, v16, v11, s[4:5]
; %bb.62:
	s_or_b64 exec, exec, s[6:7]
	v_and_b32_e32 v12, 0xffff0000, v12
	v_and_b32_e32 v11, 0xffff0000, v13
	v_fmac_f32_e32 v12, v11, v1
	s_mov_b32 s3, 0x7f800000
	v_and_b32_e32 v11, 0x7f800000, v12
	v_cmp_ne_u32_e64 s[4:5], s3, v11
                                        ; implicit-def: $vgpr11
	s_and_saveexec_b64 s[6:7], s[4:5]
	s_xor_b64 s[4:5], exec, s[6:7]
; %bb.63:
	v_bfe_u32 v11, v12, 16, 1
	s_movk_i32 s3, 0x7fff
	v_add3_u32 v11, v12, v11, s3
                                        ; implicit-def: $vgpr12
; %bb.64:
	s_andn2_saveexec_b64 s[6:7], s[4:5]
; %bb.65:
	v_mov_b32_e32 v11, 0
	v_or_b32_e32 v13, 0x10000, v12
	v_cmp_eq_u32_sdwa s[4:5], v12, v11 src0_sel:WORD_0 src1_sel:DWORD
	s_nop 1
	v_cndmask_b32_e64 v11, v13, v12, s[4:5]
; %bb.66:
	s_or_b64 exec, exec, s[6:7]
	s_waitcnt vmcnt(1)
	v_lshlrev_b32_e32 v12, 16, v6
	v_mul_f32_e32 v13, v24, v12
	s_mov_b32 s3, 0x7f800000
	v_and_b32_e32 v12, 0x7f800000, v13
	v_cmp_ne_u32_e64 s[4:5], s3, v12
                                        ; implicit-def: $vgpr12
	s_and_saveexec_b64 s[6:7], s[4:5]
	s_xor_b64 s[4:5], exec, s[6:7]
; %bb.67:
	v_bfe_u32 v12, v13, 16, 1
	s_movk_i32 s3, 0x7fff
	v_add3_u32 v12, v13, v12, s3
                                        ; implicit-def: $vgpr13
; %bb.68:
	s_andn2_saveexec_b64 s[6:7], s[4:5]
; %bb.69:
	v_mov_b32_e32 v12, 0
	v_or_b32_e32 v16, 0x10000, v13
	v_cmp_eq_u32_sdwa s[4:5], v13, v12 src0_sel:WORD_0 src1_sel:DWORD
	s_nop 1
	v_cndmask_b32_e64 v12, v16, v13, s[4:5]
; %bb.70:
	s_or_b64 exec, exec, s[6:7]
	v_and_b32_e32 v6, 0xffff0000, v6
	v_mul_f32_e32 v13, v23, v6
	s_mov_b32 s3, 0x7f800000
	v_and_b32_e32 v6, 0x7f800000, v13
	v_cmp_ne_u32_e64 s[4:5], s3, v6
                                        ; implicit-def: $vgpr6
	s_and_saveexec_b64 s[6:7], s[4:5]
	s_xor_b64 s[4:5], exec, s[6:7]
; %bb.71:
	v_bfe_u32 v6, v13, 16, 1
	s_movk_i32 s3, 0x7fff
	v_add3_u32 v6, v13, v6, s3
                                        ; implicit-def: $vgpr13
; %bb.72:
	s_andn2_saveexec_b64 s[6:7], s[4:5]
; %bb.73:
	v_mov_b32_e32 v6, 0
	v_or_b32_e32 v16, 0x10000, v13
	v_cmp_eq_u32_sdwa s[4:5], v13, v6 src0_sel:WORD_0 src1_sel:DWORD
	s_nop 1
	v_cndmask_b32_e64 v6, v16, v13, s[4:5]
; %bb.74:
	s_or_b64 exec, exec, s[6:7]
	v_and_b32_e32 v13, 0xffff0000, v12
	v_lshlrev_b32_e32 v12, 16, v7
	v_fmac_f32_e32 v13, v12, v22
	s_mov_b32 s3, 0x7f800000
	v_and_b32_e32 v12, 0x7f800000, v13
	v_cmp_ne_u32_e64 s[4:5], s3, v12
                                        ; implicit-def: $vgpr12
	s_and_saveexec_b64 s[6:7], s[4:5]
	s_xor_b64 s[4:5], exec, s[6:7]
; %bb.75:
	v_bfe_u32 v12, v13, 16, 1
	s_movk_i32 s3, 0x7fff
	v_add3_u32 v12, v13, v12, s3
                                        ; implicit-def: $vgpr13
; %bb.76:
	s_andn2_saveexec_b64 s[6:7], s[4:5]
; %bb.77:
	v_mov_b32_e32 v12, 0
	v_or_b32_e32 v16, 0x10000, v13
	v_cmp_eq_u32_sdwa s[4:5], v13, v12 src0_sel:WORD_0 src1_sel:DWORD
	s_nop 1
	v_cndmask_b32_e64 v12, v16, v13, s[4:5]
; %bb.78:
	s_or_b64 exec, exec, s[6:7]
	v_and_b32_e32 v13, 0xffff0000, v6
	v_and_b32_e32 v6, 0xffff0000, v7
	v_fmac_f32_e32 v13, v6, v21
	s_mov_b32 s3, 0x7f800000
	v_and_b32_e32 v6, 0x7f800000, v13
	v_cmp_ne_u32_e64 s[4:5], s3, v6
                                        ; implicit-def: $vgpr6
	s_and_saveexec_b64 s[6:7], s[4:5]
	s_xor_b64 s[4:5], exec, s[6:7]
; %bb.79:
	v_bfe_u32 v6, v13, 16, 1
	s_movk_i32 s3, 0x7fff
	v_add3_u32 v6, v13, v6, s3
                                        ; implicit-def: $vgpr13
; %bb.80:
	s_andn2_saveexec_b64 s[6:7], s[4:5]
; %bb.81:
	v_mov_b32_e32 v6, 0
	v_or_b32_e32 v7, 0x10000, v13
	v_cmp_eq_u32_sdwa s[4:5], v13, v6 src0_sel:WORD_0 src1_sel:DWORD
	s_nop 1
	v_cndmask_b32_e64 v6, v7, v13, s[4:5]
; %bb.82:
	s_or_b64 exec, exec, s[6:7]
	v_and_b32_e32 v12, 0xffff0000, v12
	v_lshlrev_b32_e32 v7, 16, v8
	v_fmac_f32_e32 v12, v7, v20
	s_mov_b32 s3, 0x7f800000
	v_and_b32_e32 v7, 0x7f800000, v12
	v_cmp_ne_u32_e64 s[4:5], s3, v7
                                        ; implicit-def: $vgpr7
	s_and_saveexec_b64 s[6:7], s[4:5]
	s_xor_b64 s[4:5], exec, s[6:7]
; %bb.83:
	v_bfe_u32 v7, v12, 16, 1
	s_movk_i32 s3, 0x7fff
	v_add3_u32 v7, v12, v7, s3
                                        ; implicit-def: $vgpr12
; %bb.84:
	s_andn2_saveexec_b64 s[6:7], s[4:5]
; %bb.85:
	v_mov_b32_e32 v7, 0
	v_or_b32_e32 v13, 0x10000, v12
	v_cmp_eq_u32_sdwa s[4:5], v12, v7 src0_sel:WORD_0 src1_sel:DWORD
	s_nop 1
	v_cndmask_b32_e64 v7, v13, v12, s[4:5]
; %bb.86:
	s_or_b64 exec, exec, s[6:7]
	v_and_b32_e32 v6, 0xffff0000, v6
	v_and_b32_e32 v8, 0xffff0000, v8
	v_fmac_f32_e32 v6, v8, v19
	s_mov_b32 s3, 0x7f800000
	v_and_b32_e32 v8, 0x7f800000, v6
	v_cmp_ne_u32_e64 s[4:5], s3, v8
                                        ; implicit-def: $vgpr8
	s_and_saveexec_b64 s[6:7], s[4:5]
	s_xor_b64 s[4:5], exec, s[6:7]
; %bb.87:
	v_bfe_u32 v8, v6, 16, 1
	s_movk_i32 s3, 0x7fff
	v_add3_u32 v8, v6, v8, s3
                                        ; implicit-def: $vgpr6
; %bb.88:
	s_andn2_saveexec_b64 s[6:7], s[4:5]
; %bb.89:
	v_mov_b32_e32 v8, 0
	v_or_b32_e32 v12, 0x10000, v6
	v_cmp_eq_u32_sdwa s[4:5], v6, v8 src0_sel:WORD_0 src1_sel:DWORD
	s_nop 1
	v_cndmask_b32_e64 v8, v12, v6, s[4:5]
; %bb.90:
	s_or_b64 exec, exec, s[6:7]
	v_and_b32_e32 v7, 0xffff0000, v7
	v_lshlrev_b32_e32 v6, 16, v9
	v_fmac_f32_e32 v7, v6, v18
	s_mov_b32 s3, 0x7f800000
	v_and_b32_e32 v6, 0x7f800000, v7
	v_cmp_ne_u32_e64 s[4:5], s3, v6
                                        ; implicit-def: $vgpr6
	s_and_saveexec_b64 s[6:7], s[4:5]
	s_xor_b64 s[4:5], exec, s[6:7]
; %bb.91:
	v_bfe_u32 v6, v7, 16, 1
	s_movk_i32 s3, 0x7fff
	v_add3_u32 v6, v7, v6, s3
                                        ; implicit-def: $vgpr7
; %bb.92:
	s_andn2_saveexec_b64 s[6:7], s[4:5]
; %bb.93:
	v_mov_b32_e32 v6, 0
	v_or_b32_e32 v12, 0x10000, v7
	v_cmp_eq_u32_sdwa s[4:5], v7, v6 src0_sel:WORD_0 src1_sel:DWORD
	s_nop 1
	v_cndmask_b32_e64 v6, v12, v7, s[4:5]
; %bb.94:
	s_or_b64 exec, exec, s[6:7]
	v_and_b32_e32 v8, 0xffff0000, v8
	v_and_b32_e32 v7, 0xffff0000, v9
	v_fmac_f32_e32 v8, v7, v1
	s_mov_b32 s3, 0x7f800000
	v_and_b32_e32 v7, 0x7f800000, v8
	v_cmp_ne_u32_e64 s[4:5], s3, v7
                                        ; implicit-def: $vgpr7
	s_and_saveexec_b64 s[6:7], s[4:5]
	s_xor_b64 s[4:5], exec, s[6:7]
; %bb.95:
	v_bfe_u32 v7, v8, 16, 1
	s_movk_i32 s3, 0x7fff
	v_add3_u32 v7, v8, v7, s3
                                        ; implicit-def: $vgpr8
; %bb.96:
	s_andn2_saveexec_b64 s[6:7], s[4:5]
; %bb.97:
	v_mov_b32_e32 v7, 0
	v_or_b32_e32 v9, 0x10000, v8
	v_cmp_eq_u32_sdwa s[4:5], v8, v7 src0_sel:WORD_0 src1_sel:DWORD
	s_nop 1
	v_cndmask_b32_e64 v7, v9, v8, s[4:5]
; %bb.98:
	s_or_b64 exec, exec, s[6:7]
	s_waitcnt vmcnt(0)
	v_lshlrev_b32_e32 v8, 16, v2
	v_mul_f32_e32 v9, v24, v8
	s_mov_b32 s3, 0x7f800000
	v_and_b32_e32 v8, 0x7f800000, v9
	v_cmp_ne_u32_e64 s[4:5], s3, v8
                                        ; implicit-def: $vgpr8
	s_and_saveexec_b64 s[6:7], s[4:5]
	s_xor_b64 s[4:5], exec, s[6:7]
; %bb.99:
	v_bfe_u32 v8, v9, 16, 1
	s_movk_i32 s3, 0x7fff
	v_add3_u32 v8, v9, v8, s3
                                        ; implicit-def: $vgpr9
; %bb.100:
	s_andn2_saveexec_b64 s[6:7], s[4:5]
; %bb.101:
	v_mov_b32_e32 v8, 0
	v_or_b32_e32 v12, 0x10000, v9
	v_cmp_eq_u32_sdwa s[4:5], v9, v8 src0_sel:WORD_0 src1_sel:DWORD
	s_nop 1
	v_cndmask_b32_e64 v8, v12, v9, s[4:5]
; %bb.102:
	s_or_b64 exec, exec, s[6:7]
	v_and_b32_e32 v2, 0xffff0000, v2
	v_mul_f32_e32 v9, v23, v2
	s_mov_b32 s3, 0x7f800000
	v_and_b32_e32 v2, 0x7f800000, v9
	v_cmp_ne_u32_e64 s[4:5], s3, v2
                                        ; implicit-def: $vgpr2
	s_and_saveexec_b64 s[6:7], s[4:5]
	s_xor_b64 s[4:5], exec, s[6:7]
; %bb.103:
	v_bfe_u32 v2, v9, 16, 1
	s_movk_i32 s3, 0x7fff
	v_add3_u32 v2, v9, v2, s3
                                        ; implicit-def: $vgpr9
; %bb.104:
	s_andn2_saveexec_b64 s[6:7], s[4:5]
; %bb.105:
	v_mov_b32_e32 v2, 0
	v_or_b32_e32 v12, 0x10000, v9
	v_cmp_eq_u32_sdwa s[4:5], v9, v2 src0_sel:WORD_0 src1_sel:DWORD
	s_nop 1
	v_cndmask_b32_e64 v2, v12, v9, s[4:5]
; %bb.106:
	s_or_b64 exec, exec, s[6:7]
	v_and_b32_e32 v9, 0xffff0000, v8
	v_lshlrev_b32_e32 v8, 16, v3
	v_fmac_f32_e32 v9, v8, v22
	s_mov_b32 s3, 0x7f800000
	v_and_b32_e32 v8, 0x7f800000, v9
	v_cmp_ne_u32_e64 s[4:5], s3, v8
                                        ; implicit-def: $vgpr8
	s_and_saveexec_b64 s[6:7], s[4:5]
	s_xor_b64 s[4:5], exec, s[6:7]
; %bb.107:
	v_bfe_u32 v8, v9, 16, 1
	s_movk_i32 s3, 0x7fff
	v_add3_u32 v8, v9, v8, s3
                                        ; implicit-def: $vgpr9
; %bb.108:
	s_andn2_saveexec_b64 s[6:7], s[4:5]
; %bb.109:
	v_mov_b32_e32 v8, 0
	v_or_b32_e32 v12, 0x10000, v9
	v_cmp_eq_u32_sdwa s[4:5], v9, v8 src0_sel:WORD_0 src1_sel:DWORD
	s_nop 1
	v_cndmask_b32_e64 v8, v12, v9, s[4:5]
; %bb.110:
	s_or_b64 exec, exec, s[6:7]
	v_and_b32_e32 v9, 0xffff0000, v2
	v_and_b32_e32 v2, 0xffff0000, v3
	v_fmac_f32_e32 v9, v2, v21
	s_mov_b32 s3, 0x7f800000
	v_and_b32_e32 v2, 0x7f800000, v9
	v_cmp_ne_u32_e64 s[4:5], s3, v2
                                        ; implicit-def: $vgpr2
	s_and_saveexec_b64 s[6:7], s[4:5]
	s_xor_b64 s[4:5], exec, s[6:7]
; %bb.111:
	v_bfe_u32 v2, v9, 16, 1
	s_movk_i32 s3, 0x7fff
	v_add3_u32 v2, v9, v2, s3
                                        ; implicit-def: $vgpr9
; %bb.112:
	s_andn2_saveexec_b64 s[6:7], s[4:5]
; %bb.113:
	v_mov_b32_e32 v2, 0
	v_or_b32_e32 v3, 0x10000, v9
	v_cmp_eq_u32_sdwa s[4:5], v9, v2 src0_sel:WORD_0 src1_sel:DWORD
	s_nop 1
	v_cndmask_b32_e64 v2, v3, v9, s[4:5]
; %bb.114:
	s_or_b64 exec, exec, s[6:7]
	v_and_b32_e32 v8, 0xffff0000, v8
	v_lshlrev_b32_e32 v3, 16, v4
	v_fmac_f32_e32 v8, v3, v20
	s_mov_b32 s3, 0x7f800000
	v_and_b32_e32 v3, 0x7f800000, v8
	v_cmp_ne_u32_e64 s[4:5], s3, v3
                                        ; implicit-def: $vgpr3
	s_and_saveexec_b64 s[6:7], s[4:5]
	s_xor_b64 s[4:5], exec, s[6:7]
; %bb.115:
	v_bfe_u32 v3, v8, 16, 1
	s_movk_i32 s3, 0x7fff
	v_add3_u32 v3, v8, v3, s3
                                        ; implicit-def: $vgpr8
; %bb.116:
	s_andn2_saveexec_b64 s[6:7], s[4:5]
; %bb.117:
	v_mov_b32_e32 v3, 0
	v_or_b32_e32 v9, 0x10000, v8
	v_cmp_eq_u32_sdwa s[4:5], v8, v3 src0_sel:WORD_0 src1_sel:DWORD
	s_nop 1
	v_cndmask_b32_e64 v3, v9, v8, s[4:5]
; %bb.118:
	s_or_b64 exec, exec, s[6:7]
	v_and_b32_e32 v2, 0xffff0000, v2
	v_and_b32_e32 v4, 0xffff0000, v4
	v_fmac_f32_e32 v2, v4, v19
	s_mov_b32 s3, 0x7f800000
	v_and_b32_e32 v4, 0x7f800000, v2
	v_cmp_ne_u32_e64 s[4:5], s3, v4
                                        ; implicit-def: $vgpr4
	s_and_saveexec_b64 s[6:7], s[4:5]
	s_xor_b64 s[4:5], exec, s[6:7]
; %bb.119:
	v_bfe_u32 v4, v2, 16, 1
	s_movk_i32 s3, 0x7fff
	v_add3_u32 v4, v2, v4, s3
                                        ; implicit-def: $vgpr2
; %bb.120:
	s_andn2_saveexec_b64 s[6:7], s[4:5]
; %bb.121:
	v_mov_b32_e32 v4, 0
	v_or_b32_e32 v8, 0x10000, v2
	v_cmp_eq_u32_sdwa s[4:5], v2, v4 src0_sel:WORD_0 src1_sel:DWORD
	s_nop 1
	v_cndmask_b32_e64 v4, v8, v2, s[4:5]
; %bb.122:
	s_or_b64 exec, exec, s[6:7]
	v_and_b32_e32 v3, 0xffff0000, v3
	v_lshlrev_b32_e32 v2, 16, v5
	v_fmac_f32_e32 v3, v2, v18
	s_mov_b32 s3, 0x7f800000
	v_and_b32_e32 v2, 0x7f800000, v3
	v_cmp_ne_u32_e64 s[4:5], s3, v2
                                        ; implicit-def: $vgpr2
	s_and_saveexec_b64 s[6:7], s[4:5]
	s_xor_b64 s[4:5], exec, s[6:7]
; %bb.123:
	v_bfe_u32 v2, v3, 16, 1
	s_movk_i32 s3, 0x7fff
	v_add3_u32 v2, v3, v2, s3
                                        ; implicit-def: $vgpr3
; %bb.124:
	s_andn2_saveexec_b64 s[6:7], s[4:5]
; %bb.125:
	v_mov_b32_e32 v2, 0
	v_or_b32_e32 v8, 0x10000, v3
	v_cmp_eq_u32_sdwa s[4:5], v3, v2 src0_sel:WORD_0 src1_sel:DWORD
	s_nop 1
	v_cndmask_b32_e64 v2, v8, v3, s[4:5]
; %bb.126:
	s_or_b64 exec, exec, s[6:7]
	v_and_b32_e32 v3, 0xffff0000, v4
	v_and_b32_e32 v4, 0xffff0000, v5
	v_fmac_f32_e32 v3, v4, v1
	s_mov_b32 s3, 0x7f800000
	v_and_b32_e32 v1, 0x7f800000, v3
	v_cmp_ne_u32_e64 s[4:5], s3, v1
                                        ; implicit-def: $vgpr1
	s_and_saveexec_b64 s[6:7], s[4:5]
	s_xor_b64 s[4:5], exec, s[6:7]
; %bb.127:
	v_bfe_u32 v1, v3, 16, 1
	s_movk_i32 s3, 0x7fff
	v_add3_u32 v1, v3, v1, s3
                                        ; implicit-def: $vgpr3
; %bb.128:
	s_andn2_saveexec_b64 s[6:7], s[4:5]
; %bb.129:
	v_mov_b32_e32 v1, 0
	v_or_b32_e32 v4, 0x10000, v3
	v_cmp_eq_u32_sdwa s[4:5], v3, v1 src0_sel:WORD_0 src1_sel:DWORD
	s_nop 1
	v_cndmask_b32_e64 v1, v4, v3, s[4:5]
; %bb.130:
	s_or_b64 exec, exec, s[6:7]
	v_and_b32_e32 v3, 0xffff0000, v6
	v_and_b32_e32 v4, 0xffff0000, v7
	v_add_f32_e32 v3, v3, v4
	v_cndmask_b32_e32 v4, 0, v3, vcc
	v_and_b32_e32 v3, 0xffff0000, v10
	v_and_b32_e32 v5, 0xffff0000, v11
	v_add_f32_e32 v3, v3, v5
	v_cndmask_b32_e32 v9, 0, v3, vcc
	;; [unrolled: 4-line block ×3, first 2 shown]
	v_and_b32_e32 v3, 0xffff0000, v1
	v_mbcnt_lo_u32_b32 v1, -1, 0
	v_mbcnt_hi_u32_b32 v14, -1, v1
	v_and_b32_e32 v2, 0xffff0000, v2
	v_mov_b32_e32 v6, v3
	v_and_b32_e32 v1, 64, v14
	v_pk_add_f32 v[2:3], v[6:7], v[2:3] op_sel_hi:[0,1]
	v_add_u32_e32 v15, 64, v1
	v_xor_b32_e32 v1, 32, v14
	v_cndmask_b32_e32 v5, 0, v2, vcc
	v_cmp_lt_i32_e32 vcc, v1, v15
	v_xor_b32_e32 v6, 8, v14
	v_xor_b32_e32 v7, 4, v14
	v_cndmask_b32_e32 v1, v14, v1, vcc
	v_lshlrev_b32_e32 v1, 2, v1
	ds_bpermute_b32 v2, v1, v8
	ds_bpermute_b32 v3, v1, v9
	;; [unrolled: 1-line block ×4, first 2 shown]
	v_xor_b32_e32 v1, 16, v14
	v_cmp_lt_i32_e32 vcc, v1, v15
	s_waitcnt lgkmcnt(2)
	v_pk_add_f32 v[2:3], v[8:9], v[2:3]
	v_xor_b32_e32 v12, 2, v14
	v_cndmask_b32_e32 v1, v14, v1, vcc
	v_lshlrev_b32_e32 v1, 2, v1
	s_waitcnt lgkmcnt(0)
	v_pk_add_f32 v[4:5], v[4:5], v[10:11]
	ds_bpermute_b32 v8, v1, v2
	ds_bpermute_b32 v9, v1, v3
	;; [unrolled: 1-line block ×4, first 2 shown]
	v_cmp_lt_i32_e32 vcc, v6, v15
	s_waitcnt lgkmcnt(2)
	v_pk_add_f32 v[2:3], v[2:3], v[8:9]
	v_cndmask_b32_e32 v6, v14, v6, vcc
	v_lshlrev_b32_e32 v6, 2, v6
	s_waitcnt lgkmcnt(0)
	v_pk_add_f32 v[4:5], v[4:5], v[10:11]
	ds_bpermute_b32 v8, v6, v2
	ds_bpermute_b32 v9, v6, v3
	;; [unrolled: 1-line block ×4, first 2 shown]
	v_cmp_lt_i32_e32 vcc, v7, v15
	s_waitcnt lgkmcnt(2)
	v_pk_add_f32 v[2:3], v[2:3], v[8:9]
	v_cndmask_b32_e32 v7, v14, v7, vcc
	v_lshlrev_b32_e32 v7, 2, v7
	v_cmp_lt_i32_e32 vcc, v12, v15
	s_waitcnt lgkmcnt(0)
	v_pk_add_f32 v[4:5], v[4:5], v[10:11]
	ds_bpermute_b32 v13, v7, v3
	v_cndmask_b32_e32 v16, v14, v12, vcc
	ds_bpermute_b32 v12, v7, v2
	ds_bpermute_b32 v10, v7, v4
	;; [unrolled: 1-line block ×3, first 2 shown]
	v_lshlrev_b32_e32 v8, 2, v16
	v_xor_b32_e32 v9, 1, v14
	s_waitcnt lgkmcnt(2)
	v_pk_add_f32 v[2:3], v[2:3], v[12:13]
	ds_bpermute_b32 v12, v8, v2
	s_waitcnt lgkmcnt(1)
	v_pk_add_f32 v[4:5], v[4:5], v[10:11]
	ds_bpermute_b32 v13, v8, v3
	ds_bpermute_b32 v10, v8, v4
	;; [unrolled: 1-line block ×3, first 2 shown]
	v_cmp_lt_i32_e32 vcc, v9, v15
	s_waitcnt lgkmcnt(2)
	v_pk_add_f32 v[2:3], v[2:3], v[12:13]
	v_cndmask_b32_e32 v9, v14, v9, vcc
	s_waitcnt lgkmcnt(0)
	v_pk_add_f32 v[4:5], v[4:5], v[10:11]
	v_lshlrev_b32_e32 v9, 2, v9
	ds_bpermute_b32 v11, v9, v2
	ds_bpermute_b32 v14, v9, v3
	;; [unrolled: 1-line block ×4, first 2 shown]
	v_and_b32_e32 v13, 63, v0
	v_cmp_gt_u32_e32 vcc, 4, v13
	s_and_saveexec_b64 s[10:11], vcc
	s_cbranch_execz .LBB5_132
; %bb.131:
	v_cmp_eq_u32_e32 vcc, 1, v13
	v_cmp_eq_u32_e64 s[4:5], 2, v13
	v_lshrrev_b32_e32 v15, 4, v0
	s_waitcnt lgkmcnt(2)
	v_cndmask_b32_e32 v11, v11, v14, vcc
	v_cndmask_b32_e32 v2, v2, v3, vcc
	s_waitcnt lgkmcnt(1)
	v_cndmask_b32_e64 v11, v11, v12, s[4:5]
	v_cmp_eq_u32_e64 s[6:7], 3, v13
	v_cndmask_b32_e64 v2, v2, v4, s[4:5]
	v_and_b32_e32 v15, 60, v15
	s_waitcnt lgkmcnt(0)
	v_cndmask_b32_e64 v10, v11, v10, s[6:7]
	v_cndmask_b32_e64 v2, v2, v5, s[6:7]
	v_lshl_or_b32 v15, v13, 8, v15
	v_add_f32_e32 v2, v2, v10
	ds_write_b32 v15, v2
.LBB5_132:
	s_or_b64 exec, exec, s[10:11]
	v_cmp_gt_u32_e32 vcc, 64, v0
	s_waitcnt lgkmcnt(0)
	s_barrier
	s_and_saveexec_b64 s[4:5], vcc
	s_cbranch_execz .LBB5_145
; %bb.133:
	s_load_dword s0, s[0:1], 0x2c
	v_and_b32_e32 v3, 15, v0
	v_mov_b32_e32 v2, 0
	s_waitcnt lgkmcnt(0)
	s_and_b32 s0, 0xffff, s0
	s_lshr_b32 s0, s0, 6
	v_cmp_gt_u32_e32 vcc, s0, v3
	s_and_saveexec_b64 s[0:1], vcc
	s_cbranch_execz .LBB5_135
; %bb.134:
	v_lshlrev_b32_e32 v2, 2, v3
	v_lshlrev_b32_e32 v3, 4, v0
	s_movk_i32 s3, 0x3f00
	v_and_or_b32 v2, v3, s3, v2
	ds_read_b32 v2, v2
.LBB5_135:
	s_or_b64 exec, exec, s[0:1]
	s_waitcnt lgkmcnt(0)
	ds_bpermute_b32 v3, v6, v2
	s_waitcnt lgkmcnt(0)
	v_add_f32_e32 v2, v2, v3
	ds_bpermute_b32 v3, v7, v2
	s_waitcnt lgkmcnt(0)
	v_add_f32_e32 v2, v2, v3
	;; [unrolled: 3-line block ×4, first 2 shown]
	ds_bpermute_b32 v1, v1, v3
	v_and_b32_e32 v2, 31, v0
	v_cmp_eq_u32_e32 vcc, 0, v2
	s_and_b64 exec, exec, vcc
	s_cbranch_execz .LBB5_145
; %bb.136:
	s_mov_b32 s0, 0x7f800000
	v_and_b32_e32 v2, 0x7f800000, v3
	v_cmp_ne_u32_e32 vcc, s0, v2
                                        ; implicit-def: $vgpr2
	s_and_saveexec_b64 s[0:1], vcc
	s_xor_b64 s[0:1], exec, s[0:1]
; %bb.137:
	v_bfe_u32 v2, v3, 16, 1
	s_movk_i32 s3, 0x7fff
	v_add3_u32 v2, v3, v2, s3
                                        ; implicit-def: $vgpr3
; %bb.138:
	s_andn2_saveexec_b64 s[0:1], s[0:1]
; %bb.139:
	v_mov_b32_e32 v2, 0
	v_or_b32_e32 v4, 0x10000, v3
	v_cmp_eq_u32_sdwa vcc, v3, v2 src0_sel:WORD_0 src1_sel:DWORD
	s_nop 1
	v_cndmask_b32_e32 v2, v4, v3, vcc
; %bb.140:
	s_or_b64 exec, exec, s[0:1]
	s_mov_b32 s0, 0x7f800000
	s_waitcnt lgkmcnt(0)
	v_and_b32_e32 v3, 0x7f800000, v1
	v_cmp_ne_u32_e32 vcc, s0, v3
                                        ; implicit-def: $vgpr3
	s_and_saveexec_b64 s[0:1], vcc
	s_xor_b64 s[0:1], exec, s[0:1]
; %bb.141:
	v_bfe_u32 v3, v1, 16, 1
	s_movk_i32 s3, 0x7fff
	v_add3_u32 v3, v1, v3, s3
                                        ; implicit-def: $vgpr1
; %bb.142:
	s_andn2_saveexec_b64 s[0:1], s[0:1]
; %bb.143:
	v_mov_b32_e32 v3, 0
	v_or_b32_e32 v4, 0x10000, v1
	v_cmp_eq_u32_sdwa vcc, v1, v3 src0_sel:WORD_0 src1_sel:DWORD
	s_nop 1
	v_cndmask_b32_e32 v3, v4, v1, vcc
; %bb.144:
	s_or_b64 exec, exec, s[0:1]
	s_lshl_b32 s0, s2, 1
	s_and_b32 s0, s0, 0x7ffffffe
	v_lshrrev_b32_e32 v0, 5, v0
	v_mov_b32_e32 v4, s8
	v_mov_b32_e32 v5, s9
	v_or_b32_e32 v0, s0, v0
	v_mov_b32_e32 v1, 0
	s_mov_b32 s0, 0x7060302
	v_lshl_add_u64 v[0:1], v[0:1], 2, v[4:5]
	v_perm_b32 v2, v3, v2, s0
	global_store_dword v[0:1], v2, off
.LBB5_145:
	s_endpgm
	.section	.rodata,"a",@progbits
	.p2align	6, 0x0
	.amdhsa_kernel _Z14LLGemm1_kernelIN3c108BFloat16ELi4EEvPKT_S4_PS2_i
		.amdhsa_group_segment_fixed_size 1024
		.amdhsa_private_segment_fixed_size 0
		.amdhsa_kernarg_size 288
		.amdhsa_user_sgpr_count 2
		.amdhsa_user_sgpr_dispatch_ptr 0
		.amdhsa_user_sgpr_queue_ptr 0
		.amdhsa_user_sgpr_kernarg_segment_ptr 1
		.amdhsa_user_sgpr_dispatch_id 0
		.amdhsa_user_sgpr_kernarg_preload_length 0
		.amdhsa_user_sgpr_kernarg_preload_offset 0
		.amdhsa_user_sgpr_private_segment_size 0
		.amdhsa_uses_dynamic_stack 0
		.amdhsa_enable_private_segment 0
		.amdhsa_system_sgpr_workgroup_id_x 1
		.amdhsa_system_sgpr_workgroup_id_y 0
		.amdhsa_system_sgpr_workgroup_id_z 0
		.amdhsa_system_sgpr_workgroup_info 0
		.amdhsa_system_vgpr_workitem_id 0
		.amdhsa_next_free_vgpr 28
		.amdhsa_next_free_sgpr 14
		.amdhsa_accum_offset 28
		.amdhsa_reserve_vcc 1
		.amdhsa_float_round_mode_32 0
		.amdhsa_float_round_mode_16_64 0
		.amdhsa_float_denorm_mode_32 3
		.amdhsa_float_denorm_mode_16_64 3
		.amdhsa_dx10_clamp 1
		.amdhsa_ieee_mode 1
		.amdhsa_fp16_overflow 0
		.amdhsa_tg_split 0
		.amdhsa_exception_fp_ieee_invalid_op 0
		.amdhsa_exception_fp_denorm_src 0
		.amdhsa_exception_fp_ieee_div_zero 0
		.amdhsa_exception_fp_ieee_overflow 0
		.amdhsa_exception_fp_ieee_underflow 0
		.amdhsa_exception_fp_ieee_inexact 0
		.amdhsa_exception_int_div_zero 0
	.end_amdhsa_kernel
	.section	.text._Z14LLGemm1_kernelIN3c108BFloat16ELi4EEvPKT_S4_PS2_i,"axG",@progbits,_Z14LLGemm1_kernelIN3c108BFloat16ELi4EEvPKT_S4_PS2_i,comdat
.Lfunc_end5:
	.size	_Z14LLGemm1_kernelIN3c108BFloat16ELi4EEvPKT_S4_PS2_i, .Lfunc_end5-_Z14LLGemm1_kernelIN3c108BFloat16ELi4EEvPKT_S4_PS2_i
                                        ; -- End function
	.section	.AMDGPU.csdata,"",@progbits
; Kernel info:
; codeLenInByte = 4804
; NumSgprs: 20
; NumVgprs: 28
; NumAgprs: 0
; TotalNumVgprs: 28
; ScratchSize: 0
; MemoryBound: 0
; FloatMode: 240
; IeeeMode: 1
; LDSByteSize: 1024 bytes/workgroup (compile time only)
; SGPRBlocks: 2
; VGPRBlocks: 3
; NumSGPRsForWavesPerEU: 20
; NumVGPRsForWavesPerEU: 28
; AccumOffset: 28
; Occupancy: 8
; WaveLimiterHint : 0
; COMPUTE_PGM_RSRC2:SCRATCH_EN: 0
; COMPUTE_PGM_RSRC2:USER_SGPR: 2
; COMPUTE_PGM_RSRC2:TRAP_HANDLER: 0
; COMPUTE_PGM_RSRC2:TGID_X_EN: 1
; COMPUTE_PGM_RSRC2:TGID_Y_EN: 0
; COMPUTE_PGM_RSRC2:TGID_Z_EN: 0
; COMPUTE_PGM_RSRC2:TIDIG_COMP_CNT: 0
; COMPUTE_PGM_RSRC3_GFX90A:ACCUM_OFFSET: 6
; COMPUTE_PGM_RSRC3_GFX90A:TG_SPLIT: 0
	.section	.text._Z14LLGemm1_kernelIN3c108BFloat16ELi8EEvPKT_S4_PS2_i,"axG",@progbits,_Z14LLGemm1_kernelIN3c108BFloat16ELi8EEvPKT_S4_PS2_i,comdat
	.protected	_Z14LLGemm1_kernelIN3c108BFloat16ELi8EEvPKT_S4_PS2_i ; -- Begin function _Z14LLGemm1_kernelIN3c108BFloat16ELi8EEvPKT_S4_PS2_i
	.globl	_Z14LLGemm1_kernelIN3c108BFloat16ELi8EEvPKT_S4_PS2_i
	.p2align	8
	.type	_Z14LLGemm1_kernelIN3c108BFloat16ELi8EEvPKT_S4_PS2_i,@function
_Z14LLGemm1_kernelIN3c108BFloat16ELi8EEvPKT_S4_PS2_i: ; @_Z14LLGemm1_kernelIN3c108BFloat16ELi8EEvPKT_S4_PS2_i
; %bb.0:
	s_load_dword s3, s[0:1], 0x18
	s_load_dwordx4 s[4:7], s[0:1], 0x0
	s_load_dwordx2 s[8:9], s[0:1], 0x10
	v_lshlrev_b32_e32 v1, 3, v0
	s_mov_b32 s13, 0
	s_waitcnt lgkmcnt(0)
	v_cmp_gt_i32_e32 vcc, s3, v1
	v_mov_b32_e32 v34, 0
	v_mov_b32_e32 v1, 0
	v_mov_b32_e32 v36, 0
	v_mov_b32_e32 v35, 0
	v_mov_b32_e32 v38, 0
	v_mov_b32_e32 v37, 0
	v_mov_b32_e32 v40, 0
	v_mov_b32_e32 v39, 0
                                        ; implicit-def: $vgpr2
                                        ; implicit-def: $vgpr6
                                        ; implicit-def: $vgpr10
                                        ; implicit-def: $vgpr14
                                        ; implicit-def: $vgpr18
                                        ; implicit-def: $vgpr22
                                        ; implicit-def: $vgpr26
                                        ; implicit-def: $vgpr30
	s_and_saveexec_b64 s[10:11], vcc
	s_cbranch_execz .LBB6_2
; %bb.1:
	s_mul_i32 s12, s2, s3
	s_and_b32 s12, s12, 0x1fffffff
	v_add_u32_e32 v2, s12, v0
	s_lshr_b32 s12, s3, 3
	v_mov_b32_e32 v3, 0
	s_add_i32 s3, s12, s12
	v_lshl_add_u64 v[4:5], v[2:3], 4, s[4:5]
	v_add_u32_e32 v2, s3, v2
	v_lshl_add_u64 v[6:7], s[12:13], 4, v[4:5]
	global_load_dwordx4 v[30:33], v[4:5], off nt
	global_load_dwordx4 v[26:29], v[6:7], off nt
	v_lshl_add_u64 v[4:5], v[2:3], 4, s[4:5]
	v_add_u32_e32 v2, s12, v2
	v_lshl_add_u64 v[6:7], v[2:3], 4, s[4:5]
	v_add_u32_e32 v2, s12, v2
	global_load_dwordx4 v[22:25], v[4:5], off nt
	global_load_dwordx4 v[18:21], v[6:7], off nt
	v_lshl_add_u64 v[4:5], v[2:3], 4, s[4:5]
	v_add_u32_e32 v2, s12, v2
	v_lshl_add_u64 v[6:7], v[2:3], 4, s[4:5]
	v_add_u32_e32 v2, s12, v2
	v_lshlrev_b32_e32 v1, 4, v0
	v_lshl_add_u64 v[34:35], v[2:3], 4, s[4:5]
	v_add_u32_e32 v2, s12, v2
	global_load_dwordx4 v[40:43], v1, s[6:7]
	global_load_dwordx4 v[14:17], v[4:5], off nt
	global_load_dwordx4 v[10:13], v[6:7], off nt
	v_lshl_add_u64 v[36:37], v[2:3], 4, s[4:5]
	global_load_dwordx4 v[6:9], v[34:35], off nt
	global_load_dwordx4 v[2:5], v[36:37], off nt
	s_waitcnt vmcnt(4)
	v_and_b32_e32 v39, 0xffff0000, v40
	v_lshlrev_b32_e32 v40, 16, v40
	v_and_b32_e32 v37, 0xffff0000, v41
	v_lshlrev_b32_e32 v38, 16, v41
	;; [unrolled: 2-line block ×4, first 2 shown]
.LBB6_2:
	s_or_b64 exec, exec, s[10:11]
	v_lshlrev_b32_e32 v41, 16, v30
	v_mul_f32_e32 v42, v40, v41
	s_mov_b32 s3, 0x7f800000
	v_and_b32_e32 v41, 0x7f800000, v42
	v_cmp_ne_u32_e64 s[4:5], s3, v41
                                        ; implicit-def: $vgpr41
	s_and_saveexec_b64 s[6:7], s[4:5]
	s_xor_b64 s[4:5], exec, s[6:7]
; %bb.3:
	v_bfe_u32 v41, v42, 16, 1
	s_movk_i32 s3, 0x7fff
	v_add3_u32 v41, v42, v41, s3
                                        ; implicit-def: $vgpr42
; %bb.4:
	s_andn2_saveexec_b64 s[6:7], s[4:5]
; %bb.5:
	v_mov_b32_e32 v41, 0
	v_or_b32_e32 v43, 0x10000, v42
	v_cmp_eq_u32_sdwa s[4:5], v42, v41 src0_sel:WORD_0 src1_sel:DWORD
	s_nop 1
	v_cndmask_b32_e64 v41, v43, v42, s[4:5]
; %bb.6:
	s_or_b64 exec, exec, s[6:7]
	v_and_b32_e32 v30, 0xffff0000, v30
	v_mul_f32_e32 v42, v39, v30
	s_mov_b32 s3, 0x7f800000
	v_and_b32_e32 v30, 0x7f800000, v42
	v_cmp_ne_u32_e64 s[4:5], s3, v30
                                        ; implicit-def: $vgpr30
	s_and_saveexec_b64 s[6:7], s[4:5]
	s_xor_b64 s[4:5], exec, s[6:7]
; %bb.7:
	v_bfe_u32 v30, v42, 16, 1
	s_movk_i32 s3, 0x7fff
	v_add3_u32 v30, v42, v30, s3
                                        ; implicit-def: $vgpr42
; %bb.8:
	s_andn2_saveexec_b64 s[6:7], s[4:5]
; %bb.9:
	v_mov_b32_e32 v30, 0
	v_or_b32_e32 v43, 0x10000, v42
	v_cmp_eq_u32_sdwa s[4:5], v42, v30 src0_sel:WORD_0 src1_sel:DWORD
	s_nop 1
	v_cndmask_b32_e64 v30, v43, v42, s[4:5]
; %bb.10:
	s_or_b64 exec, exec, s[6:7]
	v_and_b32_e32 v42, 0xffff0000, v41
	v_lshlrev_b32_e32 v41, 16, v31
	v_fmac_f32_e32 v42, v41, v38
	s_mov_b32 s3, 0x7f800000
	v_and_b32_e32 v41, 0x7f800000, v42
	v_cmp_ne_u32_e64 s[4:5], s3, v41
                                        ; implicit-def: $vgpr41
	s_and_saveexec_b64 s[6:7], s[4:5]
	s_xor_b64 s[4:5], exec, s[6:7]
; %bb.11:
	v_bfe_u32 v41, v42, 16, 1
	s_movk_i32 s3, 0x7fff
	v_add3_u32 v41, v42, v41, s3
                                        ; implicit-def: $vgpr42
; %bb.12:
	s_andn2_saveexec_b64 s[6:7], s[4:5]
; %bb.13:
	v_mov_b32_e32 v41, 0
	v_or_b32_e32 v43, 0x10000, v42
	v_cmp_eq_u32_sdwa s[4:5], v42, v41 src0_sel:WORD_0 src1_sel:DWORD
	s_nop 1
	v_cndmask_b32_e64 v41, v43, v42, s[4:5]
; %bb.14:
	s_or_b64 exec, exec, s[6:7]
	v_and_b32_e32 v42, 0xffff0000, v30
	v_and_b32_e32 v30, 0xffff0000, v31
	v_fmac_f32_e32 v42, v30, v37
	s_mov_b32 s3, 0x7f800000
	v_and_b32_e32 v30, 0x7f800000, v42
	v_cmp_ne_u32_e64 s[4:5], s3, v30
                                        ; implicit-def: $vgpr30
	s_and_saveexec_b64 s[6:7], s[4:5]
	s_xor_b64 s[4:5], exec, s[6:7]
; %bb.15:
	v_bfe_u32 v30, v42, 16, 1
	s_movk_i32 s3, 0x7fff
	v_add3_u32 v30, v42, v30, s3
                                        ; implicit-def: $vgpr42
; %bb.16:
	s_andn2_saveexec_b64 s[6:7], s[4:5]
; %bb.17:
	v_mov_b32_e32 v30, 0
	v_or_b32_e32 v31, 0x10000, v42
	v_cmp_eq_u32_sdwa s[4:5], v42, v30 src0_sel:WORD_0 src1_sel:DWORD
	s_nop 1
	v_cndmask_b32_e64 v30, v31, v42, s[4:5]
; %bb.18:
	s_or_b64 exec, exec, s[6:7]
	v_and_b32_e32 v41, 0xffff0000, v41
	v_lshlrev_b32_e32 v31, 16, v32
	v_fmac_f32_e32 v41, v31, v36
	s_mov_b32 s3, 0x7f800000
	v_and_b32_e32 v31, 0x7f800000, v41
	v_cmp_ne_u32_e64 s[4:5], s3, v31
                                        ; implicit-def: $vgpr31
	s_and_saveexec_b64 s[6:7], s[4:5]
	s_xor_b64 s[4:5], exec, s[6:7]
; %bb.19:
	v_bfe_u32 v31, v41, 16, 1
	s_movk_i32 s3, 0x7fff
	v_add3_u32 v31, v41, v31, s3
                                        ; implicit-def: $vgpr41
; %bb.20:
	s_andn2_saveexec_b64 s[6:7], s[4:5]
; %bb.21:
	v_mov_b32_e32 v31, 0
	v_or_b32_e32 v42, 0x10000, v41
	v_cmp_eq_u32_sdwa s[4:5], v41, v31 src0_sel:WORD_0 src1_sel:DWORD
	s_nop 1
	v_cndmask_b32_e64 v31, v42, v41, s[4:5]
; %bb.22:
	s_or_b64 exec, exec, s[6:7]
	v_and_b32_e32 v30, 0xffff0000, v30
	v_and_b32_e32 v32, 0xffff0000, v32
	v_fmac_f32_e32 v30, v32, v35
	s_mov_b32 s3, 0x7f800000
	v_and_b32_e32 v32, 0x7f800000, v30
	v_cmp_ne_u32_e64 s[4:5], s3, v32
                                        ; implicit-def: $vgpr32
	s_and_saveexec_b64 s[6:7], s[4:5]
	s_xor_b64 s[4:5], exec, s[6:7]
; %bb.23:
	v_bfe_u32 v32, v30, 16, 1
	s_movk_i32 s3, 0x7fff
	v_add3_u32 v32, v30, v32, s3
                                        ; implicit-def: $vgpr30
; %bb.24:
	s_andn2_saveexec_b64 s[6:7], s[4:5]
; %bb.25:
	v_mov_b32_e32 v32, 0
	v_or_b32_e32 v41, 0x10000, v30
	v_cmp_eq_u32_sdwa s[4:5], v30, v32 src0_sel:WORD_0 src1_sel:DWORD
	s_nop 1
	v_cndmask_b32_e64 v32, v41, v30, s[4:5]
; %bb.26:
	s_or_b64 exec, exec, s[6:7]
	v_and_b32_e32 v31, 0xffff0000, v31
	v_lshlrev_b32_e32 v30, 16, v33
	v_fmac_f32_e32 v31, v30, v34
	s_mov_b32 s3, 0x7f800000
	v_and_b32_e32 v30, 0x7f800000, v31
	v_cmp_ne_u32_e64 s[4:5], s3, v30
                                        ; implicit-def: $vgpr30
	s_and_saveexec_b64 s[6:7], s[4:5]
	s_xor_b64 s[4:5], exec, s[6:7]
; %bb.27:
	v_bfe_u32 v30, v31, 16, 1
	s_movk_i32 s3, 0x7fff
	v_add3_u32 v30, v31, v30, s3
                                        ; implicit-def: $vgpr31
; %bb.28:
	s_andn2_saveexec_b64 s[6:7], s[4:5]
; %bb.29:
	v_mov_b32_e32 v30, 0
	v_or_b32_e32 v41, 0x10000, v31
	v_cmp_eq_u32_sdwa s[4:5], v31, v30 src0_sel:WORD_0 src1_sel:DWORD
	s_nop 1
	v_cndmask_b32_e64 v30, v41, v31, s[4:5]
; %bb.30:
	s_or_b64 exec, exec, s[6:7]
	v_and_b32_e32 v32, 0xffff0000, v32
	v_and_b32_e32 v31, 0xffff0000, v33
	v_fmac_f32_e32 v32, v31, v1
	s_mov_b32 s3, 0x7f800000
	v_and_b32_e32 v31, 0x7f800000, v32
	v_cmp_ne_u32_e64 s[4:5], s3, v31
                                        ; implicit-def: $vgpr31
	s_and_saveexec_b64 s[6:7], s[4:5]
	s_xor_b64 s[4:5], exec, s[6:7]
; %bb.31:
	v_bfe_u32 v31, v32, 16, 1
	s_movk_i32 s3, 0x7fff
	v_add3_u32 v31, v32, v31, s3
                                        ; implicit-def: $vgpr32
; %bb.32:
	s_andn2_saveexec_b64 s[6:7], s[4:5]
; %bb.33:
	v_mov_b32_e32 v31, 0
	v_or_b32_e32 v33, 0x10000, v32
	v_cmp_eq_u32_sdwa s[4:5], v32, v31 src0_sel:WORD_0 src1_sel:DWORD
	s_nop 1
	v_cndmask_b32_e64 v31, v33, v32, s[4:5]
; %bb.34:
	s_or_b64 exec, exec, s[6:7]
	v_lshlrev_b32_e32 v32, 16, v26
	v_mul_f32_e32 v33, v40, v32
	s_mov_b32 s3, 0x7f800000
	v_and_b32_e32 v32, 0x7f800000, v33
	v_cmp_ne_u32_e64 s[4:5], s3, v32
                                        ; implicit-def: $vgpr32
	s_and_saveexec_b64 s[6:7], s[4:5]
	s_xor_b64 s[4:5], exec, s[6:7]
; %bb.35:
	v_bfe_u32 v32, v33, 16, 1
	s_movk_i32 s3, 0x7fff
	v_add3_u32 v32, v33, v32, s3
                                        ; implicit-def: $vgpr33
; %bb.36:
	s_andn2_saveexec_b64 s[6:7], s[4:5]
; %bb.37:
	v_mov_b32_e32 v32, 0
	v_or_b32_e32 v41, 0x10000, v33
	v_cmp_eq_u32_sdwa s[4:5], v33, v32 src0_sel:WORD_0 src1_sel:DWORD
	s_nop 1
	v_cndmask_b32_e64 v32, v41, v33, s[4:5]
; %bb.38:
	s_or_b64 exec, exec, s[6:7]
	v_and_b32_e32 v26, 0xffff0000, v26
	v_mul_f32_e32 v33, v39, v26
	s_mov_b32 s3, 0x7f800000
	v_and_b32_e32 v26, 0x7f800000, v33
	v_cmp_ne_u32_e64 s[4:5], s3, v26
                                        ; implicit-def: $vgpr26
	s_and_saveexec_b64 s[6:7], s[4:5]
	s_xor_b64 s[4:5], exec, s[6:7]
; %bb.39:
	v_bfe_u32 v26, v33, 16, 1
	s_movk_i32 s3, 0x7fff
	v_add3_u32 v26, v33, v26, s3
                                        ; implicit-def: $vgpr33
; %bb.40:
	s_andn2_saveexec_b64 s[6:7], s[4:5]
; %bb.41:
	v_mov_b32_e32 v26, 0
	v_or_b32_e32 v41, 0x10000, v33
	v_cmp_eq_u32_sdwa s[4:5], v33, v26 src0_sel:WORD_0 src1_sel:DWORD
	s_nop 1
	v_cndmask_b32_e64 v26, v41, v33, s[4:5]
; %bb.42:
	s_or_b64 exec, exec, s[6:7]
	v_and_b32_e32 v33, 0xffff0000, v32
	v_lshlrev_b32_e32 v32, 16, v27
	v_fmac_f32_e32 v33, v32, v38
	s_mov_b32 s3, 0x7f800000
	v_and_b32_e32 v32, 0x7f800000, v33
	v_cmp_ne_u32_e64 s[4:5], s3, v32
                                        ; implicit-def: $vgpr32
	s_and_saveexec_b64 s[6:7], s[4:5]
	s_xor_b64 s[4:5], exec, s[6:7]
; %bb.43:
	v_bfe_u32 v32, v33, 16, 1
	s_movk_i32 s3, 0x7fff
	v_add3_u32 v32, v33, v32, s3
                                        ; implicit-def: $vgpr33
; %bb.44:
	s_andn2_saveexec_b64 s[6:7], s[4:5]
; %bb.45:
	v_mov_b32_e32 v32, 0
	v_or_b32_e32 v41, 0x10000, v33
	v_cmp_eq_u32_sdwa s[4:5], v33, v32 src0_sel:WORD_0 src1_sel:DWORD
	s_nop 1
	v_cndmask_b32_e64 v32, v41, v33, s[4:5]
; %bb.46:
	s_or_b64 exec, exec, s[6:7]
	v_and_b32_e32 v33, 0xffff0000, v26
	v_and_b32_e32 v26, 0xffff0000, v27
	v_fmac_f32_e32 v33, v26, v37
	s_mov_b32 s3, 0x7f800000
	v_and_b32_e32 v26, 0x7f800000, v33
	v_cmp_ne_u32_e64 s[4:5], s3, v26
                                        ; implicit-def: $vgpr26
	s_and_saveexec_b64 s[6:7], s[4:5]
	s_xor_b64 s[4:5], exec, s[6:7]
; %bb.47:
	v_bfe_u32 v26, v33, 16, 1
	s_movk_i32 s3, 0x7fff
	v_add3_u32 v26, v33, v26, s3
                                        ; implicit-def: $vgpr33
; %bb.48:
	s_andn2_saveexec_b64 s[6:7], s[4:5]
; %bb.49:
	v_mov_b32_e32 v26, 0
	v_or_b32_e32 v27, 0x10000, v33
	v_cmp_eq_u32_sdwa s[4:5], v33, v26 src0_sel:WORD_0 src1_sel:DWORD
	s_nop 1
	v_cndmask_b32_e64 v26, v27, v33, s[4:5]
; %bb.50:
	s_or_b64 exec, exec, s[6:7]
	v_and_b32_e32 v32, 0xffff0000, v32
	v_lshlrev_b32_e32 v27, 16, v28
	v_fmac_f32_e32 v32, v27, v36
	s_mov_b32 s3, 0x7f800000
	v_and_b32_e32 v27, 0x7f800000, v32
	v_cmp_ne_u32_e64 s[4:5], s3, v27
                                        ; implicit-def: $vgpr27
	s_and_saveexec_b64 s[6:7], s[4:5]
	s_xor_b64 s[4:5], exec, s[6:7]
; %bb.51:
	v_bfe_u32 v27, v32, 16, 1
	s_movk_i32 s3, 0x7fff
	v_add3_u32 v27, v32, v27, s3
                                        ; implicit-def: $vgpr32
; %bb.52:
	s_andn2_saveexec_b64 s[6:7], s[4:5]
; %bb.53:
	v_mov_b32_e32 v27, 0
	v_or_b32_e32 v33, 0x10000, v32
	v_cmp_eq_u32_sdwa s[4:5], v32, v27 src0_sel:WORD_0 src1_sel:DWORD
	s_nop 1
	v_cndmask_b32_e64 v27, v33, v32, s[4:5]
; %bb.54:
	s_or_b64 exec, exec, s[6:7]
	v_and_b32_e32 v26, 0xffff0000, v26
	v_and_b32_e32 v28, 0xffff0000, v28
	v_fmac_f32_e32 v26, v28, v35
	s_mov_b32 s3, 0x7f800000
	v_and_b32_e32 v28, 0x7f800000, v26
	v_cmp_ne_u32_e64 s[4:5], s3, v28
                                        ; implicit-def: $vgpr28
	s_and_saveexec_b64 s[6:7], s[4:5]
	s_xor_b64 s[4:5], exec, s[6:7]
; %bb.55:
	v_bfe_u32 v28, v26, 16, 1
	s_movk_i32 s3, 0x7fff
	v_add3_u32 v28, v26, v28, s3
                                        ; implicit-def: $vgpr26
; %bb.56:
	s_andn2_saveexec_b64 s[6:7], s[4:5]
; %bb.57:
	v_mov_b32_e32 v28, 0
	v_or_b32_e32 v32, 0x10000, v26
	v_cmp_eq_u32_sdwa s[4:5], v26, v28 src0_sel:WORD_0 src1_sel:DWORD
	s_nop 1
	v_cndmask_b32_e64 v28, v32, v26, s[4:5]
; %bb.58:
	s_or_b64 exec, exec, s[6:7]
	v_and_b32_e32 v27, 0xffff0000, v27
	v_lshlrev_b32_e32 v26, 16, v29
	v_fmac_f32_e32 v27, v26, v34
	s_mov_b32 s3, 0x7f800000
	v_and_b32_e32 v26, 0x7f800000, v27
	v_cmp_ne_u32_e64 s[4:5], s3, v26
                                        ; implicit-def: $vgpr26
	s_and_saveexec_b64 s[6:7], s[4:5]
	s_xor_b64 s[4:5], exec, s[6:7]
; %bb.59:
	v_bfe_u32 v26, v27, 16, 1
	s_movk_i32 s3, 0x7fff
	v_add3_u32 v26, v27, v26, s3
                                        ; implicit-def: $vgpr27
; %bb.60:
	s_andn2_saveexec_b64 s[6:7], s[4:5]
; %bb.61:
	v_mov_b32_e32 v26, 0
	v_or_b32_e32 v32, 0x10000, v27
	v_cmp_eq_u32_sdwa s[4:5], v27, v26 src0_sel:WORD_0 src1_sel:DWORD
	s_nop 1
	v_cndmask_b32_e64 v26, v32, v27, s[4:5]
; %bb.62:
	s_or_b64 exec, exec, s[6:7]
	v_and_b32_e32 v28, 0xffff0000, v28
	v_and_b32_e32 v27, 0xffff0000, v29
	v_fmac_f32_e32 v28, v27, v1
	s_mov_b32 s3, 0x7f800000
	v_and_b32_e32 v27, 0x7f800000, v28
	v_cmp_ne_u32_e64 s[4:5], s3, v27
                                        ; implicit-def: $vgpr27
	s_and_saveexec_b64 s[6:7], s[4:5]
	s_xor_b64 s[4:5], exec, s[6:7]
; %bb.63:
	v_bfe_u32 v27, v28, 16, 1
	s_movk_i32 s3, 0x7fff
	v_add3_u32 v27, v28, v27, s3
                                        ; implicit-def: $vgpr28
; %bb.64:
	s_andn2_saveexec_b64 s[6:7], s[4:5]
; %bb.65:
	v_mov_b32_e32 v27, 0
	v_or_b32_e32 v29, 0x10000, v28
	v_cmp_eq_u32_sdwa s[4:5], v28, v27 src0_sel:WORD_0 src1_sel:DWORD
	s_nop 1
	v_cndmask_b32_e64 v27, v29, v28, s[4:5]
; %bb.66:
	s_or_b64 exec, exec, s[6:7]
	v_lshlrev_b32_e32 v28, 16, v22
	v_mul_f32_e32 v29, v40, v28
	s_mov_b32 s3, 0x7f800000
	v_and_b32_e32 v28, 0x7f800000, v29
	v_cmp_ne_u32_e64 s[4:5], s3, v28
                                        ; implicit-def: $vgpr28
	s_and_saveexec_b64 s[6:7], s[4:5]
	s_xor_b64 s[4:5], exec, s[6:7]
; %bb.67:
	v_bfe_u32 v28, v29, 16, 1
	s_movk_i32 s3, 0x7fff
	v_add3_u32 v28, v29, v28, s3
                                        ; implicit-def: $vgpr29
; %bb.68:
	s_andn2_saveexec_b64 s[6:7], s[4:5]
; %bb.69:
	v_mov_b32_e32 v28, 0
	v_or_b32_e32 v32, 0x10000, v29
	v_cmp_eq_u32_sdwa s[4:5], v29, v28 src0_sel:WORD_0 src1_sel:DWORD
	s_nop 1
	v_cndmask_b32_e64 v28, v32, v29, s[4:5]
; %bb.70:
	s_or_b64 exec, exec, s[6:7]
	v_and_b32_e32 v22, 0xffff0000, v22
	v_mul_f32_e32 v29, v39, v22
	s_mov_b32 s3, 0x7f800000
	v_and_b32_e32 v22, 0x7f800000, v29
	v_cmp_ne_u32_e64 s[4:5], s3, v22
                                        ; implicit-def: $vgpr22
	s_and_saveexec_b64 s[6:7], s[4:5]
	s_xor_b64 s[4:5], exec, s[6:7]
; %bb.71:
	v_bfe_u32 v22, v29, 16, 1
	s_movk_i32 s3, 0x7fff
	v_add3_u32 v22, v29, v22, s3
                                        ; implicit-def: $vgpr29
; %bb.72:
	s_andn2_saveexec_b64 s[6:7], s[4:5]
; %bb.73:
	v_mov_b32_e32 v22, 0
	v_or_b32_e32 v32, 0x10000, v29
	v_cmp_eq_u32_sdwa s[4:5], v29, v22 src0_sel:WORD_0 src1_sel:DWORD
	s_nop 1
	v_cndmask_b32_e64 v22, v32, v29, s[4:5]
; %bb.74:
	s_or_b64 exec, exec, s[6:7]
	v_and_b32_e32 v29, 0xffff0000, v28
	v_lshlrev_b32_e32 v28, 16, v23
	v_fmac_f32_e32 v29, v28, v38
	s_mov_b32 s3, 0x7f800000
	v_and_b32_e32 v28, 0x7f800000, v29
	v_cmp_ne_u32_e64 s[4:5], s3, v28
                                        ; implicit-def: $vgpr28
	s_and_saveexec_b64 s[6:7], s[4:5]
	s_xor_b64 s[4:5], exec, s[6:7]
; %bb.75:
	v_bfe_u32 v28, v29, 16, 1
	s_movk_i32 s3, 0x7fff
	v_add3_u32 v28, v29, v28, s3
                                        ; implicit-def: $vgpr29
; %bb.76:
	s_andn2_saveexec_b64 s[6:7], s[4:5]
; %bb.77:
	v_mov_b32_e32 v28, 0
	v_or_b32_e32 v32, 0x10000, v29
	v_cmp_eq_u32_sdwa s[4:5], v29, v28 src0_sel:WORD_0 src1_sel:DWORD
	s_nop 1
	v_cndmask_b32_e64 v28, v32, v29, s[4:5]
; %bb.78:
	s_or_b64 exec, exec, s[6:7]
	v_and_b32_e32 v29, 0xffff0000, v22
	v_and_b32_e32 v22, 0xffff0000, v23
	v_fmac_f32_e32 v29, v22, v37
	s_mov_b32 s3, 0x7f800000
	v_and_b32_e32 v22, 0x7f800000, v29
	v_cmp_ne_u32_e64 s[4:5], s3, v22
                                        ; implicit-def: $vgpr22
	s_and_saveexec_b64 s[6:7], s[4:5]
	s_xor_b64 s[4:5], exec, s[6:7]
; %bb.79:
	v_bfe_u32 v22, v29, 16, 1
	s_movk_i32 s3, 0x7fff
	v_add3_u32 v22, v29, v22, s3
                                        ; implicit-def: $vgpr29
; %bb.80:
	s_andn2_saveexec_b64 s[6:7], s[4:5]
; %bb.81:
	v_mov_b32_e32 v22, 0
	v_or_b32_e32 v23, 0x10000, v29
	v_cmp_eq_u32_sdwa s[4:5], v29, v22 src0_sel:WORD_0 src1_sel:DWORD
	s_nop 1
	v_cndmask_b32_e64 v22, v23, v29, s[4:5]
; %bb.82:
	s_or_b64 exec, exec, s[6:7]
	v_and_b32_e32 v28, 0xffff0000, v28
	v_lshlrev_b32_e32 v23, 16, v24
	v_fmac_f32_e32 v28, v23, v36
	s_mov_b32 s3, 0x7f800000
	v_and_b32_e32 v23, 0x7f800000, v28
	v_cmp_ne_u32_e64 s[4:5], s3, v23
                                        ; implicit-def: $vgpr23
	s_and_saveexec_b64 s[6:7], s[4:5]
	s_xor_b64 s[4:5], exec, s[6:7]
; %bb.83:
	v_bfe_u32 v23, v28, 16, 1
	s_movk_i32 s3, 0x7fff
	v_add3_u32 v23, v28, v23, s3
                                        ; implicit-def: $vgpr28
; %bb.84:
	s_andn2_saveexec_b64 s[6:7], s[4:5]
; %bb.85:
	v_mov_b32_e32 v23, 0
	v_or_b32_e32 v29, 0x10000, v28
	v_cmp_eq_u32_sdwa s[4:5], v28, v23 src0_sel:WORD_0 src1_sel:DWORD
	s_nop 1
	v_cndmask_b32_e64 v23, v29, v28, s[4:5]
; %bb.86:
	s_or_b64 exec, exec, s[6:7]
	v_and_b32_e32 v22, 0xffff0000, v22
	v_and_b32_e32 v24, 0xffff0000, v24
	v_fmac_f32_e32 v22, v24, v35
	s_mov_b32 s3, 0x7f800000
	v_and_b32_e32 v24, 0x7f800000, v22
	v_cmp_ne_u32_e64 s[4:5], s3, v24
                                        ; implicit-def: $vgpr24
	s_and_saveexec_b64 s[6:7], s[4:5]
	s_xor_b64 s[4:5], exec, s[6:7]
; %bb.87:
	v_bfe_u32 v24, v22, 16, 1
	s_movk_i32 s3, 0x7fff
	v_add3_u32 v24, v22, v24, s3
                                        ; implicit-def: $vgpr22
; %bb.88:
	s_andn2_saveexec_b64 s[6:7], s[4:5]
; %bb.89:
	v_mov_b32_e32 v24, 0
	v_or_b32_e32 v28, 0x10000, v22
	v_cmp_eq_u32_sdwa s[4:5], v22, v24 src0_sel:WORD_0 src1_sel:DWORD
	s_nop 1
	v_cndmask_b32_e64 v24, v28, v22, s[4:5]
; %bb.90:
	s_or_b64 exec, exec, s[6:7]
	v_and_b32_e32 v23, 0xffff0000, v23
	v_lshlrev_b32_e32 v22, 16, v25
	v_fmac_f32_e32 v23, v22, v34
	s_mov_b32 s3, 0x7f800000
	v_and_b32_e32 v22, 0x7f800000, v23
	v_cmp_ne_u32_e64 s[4:5], s3, v22
                                        ; implicit-def: $vgpr22
	s_and_saveexec_b64 s[6:7], s[4:5]
	s_xor_b64 s[4:5], exec, s[6:7]
; %bb.91:
	v_bfe_u32 v22, v23, 16, 1
	s_movk_i32 s3, 0x7fff
	v_add3_u32 v22, v23, v22, s3
                                        ; implicit-def: $vgpr23
; %bb.92:
	s_andn2_saveexec_b64 s[6:7], s[4:5]
; %bb.93:
	v_mov_b32_e32 v22, 0
	v_or_b32_e32 v28, 0x10000, v23
	v_cmp_eq_u32_sdwa s[4:5], v23, v22 src0_sel:WORD_0 src1_sel:DWORD
	s_nop 1
	v_cndmask_b32_e64 v22, v28, v23, s[4:5]
; %bb.94:
	s_or_b64 exec, exec, s[6:7]
	v_and_b32_e32 v24, 0xffff0000, v24
	v_and_b32_e32 v23, 0xffff0000, v25
	v_fmac_f32_e32 v24, v23, v1
	s_mov_b32 s3, 0x7f800000
	v_and_b32_e32 v23, 0x7f800000, v24
	v_cmp_ne_u32_e64 s[4:5], s3, v23
                                        ; implicit-def: $vgpr23
	s_and_saveexec_b64 s[6:7], s[4:5]
	s_xor_b64 s[4:5], exec, s[6:7]
; %bb.95:
	v_bfe_u32 v23, v24, 16, 1
	s_movk_i32 s3, 0x7fff
	v_add3_u32 v23, v24, v23, s3
                                        ; implicit-def: $vgpr24
; %bb.96:
	s_andn2_saveexec_b64 s[6:7], s[4:5]
; %bb.97:
	v_mov_b32_e32 v23, 0
	v_or_b32_e32 v25, 0x10000, v24
	v_cmp_eq_u32_sdwa s[4:5], v24, v23 src0_sel:WORD_0 src1_sel:DWORD
	s_nop 1
	v_cndmask_b32_e64 v23, v25, v24, s[4:5]
; %bb.98:
	s_or_b64 exec, exec, s[6:7]
	v_lshlrev_b32_e32 v24, 16, v18
	v_mul_f32_e32 v25, v40, v24
	s_mov_b32 s3, 0x7f800000
	v_and_b32_e32 v24, 0x7f800000, v25
	v_cmp_ne_u32_e64 s[4:5], s3, v24
                                        ; implicit-def: $vgpr24
	s_and_saveexec_b64 s[6:7], s[4:5]
	s_xor_b64 s[4:5], exec, s[6:7]
; %bb.99:
	v_bfe_u32 v24, v25, 16, 1
	s_movk_i32 s3, 0x7fff
	v_add3_u32 v24, v25, v24, s3
                                        ; implicit-def: $vgpr25
; %bb.100:
	s_andn2_saveexec_b64 s[6:7], s[4:5]
; %bb.101:
	v_mov_b32_e32 v24, 0
	v_or_b32_e32 v28, 0x10000, v25
	v_cmp_eq_u32_sdwa s[4:5], v25, v24 src0_sel:WORD_0 src1_sel:DWORD
	s_nop 1
	v_cndmask_b32_e64 v24, v28, v25, s[4:5]
; %bb.102:
	s_or_b64 exec, exec, s[6:7]
	v_and_b32_e32 v18, 0xffff0000, v18
	v_mul_f32_e32 v25, v39, v18
	s_mov_b32 s3, 0x7f800000
	v_and_b32_e32 v18, 0x7f800000, v25
	v_cmp_ne_u32_e64 s[4:5], s3, v18
                                        ; implicit-def: $vgpr18
	s_and_saveexec_b64 s[6:7], s[4:5]
	s_xor_b64 s[4:5], exec, s[6:7]
; %bb.103:
	v_bfe_u32 v18, v25, 16, 1
	s_movk_i32 s3, 0x7fff
	v_add3_u32 v18, v25, v18, s3
                                        ; implicit-def: $vgpr25
; %bb.104:
	s_andn2_saveexec_b64 s[6:7], s[4:5]
; %bb.105:
	v_mov_b32_e32 v18, 0
	v_or_b32_e32 v28, 0x10000, v25
	v_cmp_eq_u32_sdwa s[4:5], v25, v18 src0_sel:WORD_0 src1_sel:DWORD
	s_nop 1
	v_cndmask_b32_e64 v18, v28, v25, s[4:5]
; %bb.106:
	s_or_b64 exec, exec, s[6:7]
	v_and_b32_e32 v25, 0xffff0000, v24
	v_lshlrev_b32_e32 v24, 16, v19
	v_fmac_f32_e32 v25, v24, v38
	s_mov_b32 s3, 0x7f800000
	v_and_b32_e32 v24, 0x7f800000, v25
	v_cmp_ne_u32_e64 s[4:5], s3, v24
                                        ; implicit-def: $vgpr24
	s_and_saveexec_b64 s[6:7], s[4:5]
	s_xor_b64 s[4:5], exec, s[6:7]
; %bb.107:
	v_bfe_u32 v24, v25, 16, 1
	s_movk_i32 s3, 0x7fff
	v_add3_u32 v24, v25, v24, s3
                                        ; implicit-def: $vgpr25
; %bb.108:
	s_andn2_saveexec_b64 s[6:7], s[4:5]
; %bb.109:
	v_mov_b32_e32 v24, 0
	v_or_b32_e32 v28, 0x10000, v25
	v_cmp_eq_u32_sdwa s[4:5], v25, v24 src0_sel:WORD_0 src1_sel:DWORD
	s_nop 1
	v_cndmask_b32_e64 v24, v28, v25, s[4:5]
; %bb.110:
	s_or_b64 exec, exec, s[6:7]
	v_and_b32_e32 v25, 0xffff0000, v18
	v_and_b32_e32 v18, 0xffff0000, v19
	v_fmac_f32_e32 v25, v18, v37
	s_mov_b32 s3, 0x7f800000
	v_and_b32_e32 v18, 0x7f800000, v25
	v_cmp_ne_u32_e64 s[4:5], s3, v18
                                        ; implicit-def: $vgpr18
	s_and_saveexec_b64 s[6:7], s[4:5]
	s_xor_b64 s[4:5], exec, s[6:7]
; %bb.111:
	v_bfe_u32 v18, v25, 16, 1
	s_movk_i32 s3, 0x7fff
	v_add3_u32 v18, v25, v18, s3
                                        ; implicit-def: $vgpr25
; %bb.112:
	s_andn2_saveexec_b64 s[6:7], s[4:5]
; %bb.113:
	v_mov_b32_e32 v18, 0
	v_or_b32_e32 v19, 0x10000, v25
	v_cmp_eq_u32_sdwa s[4:5], v25, v18 src0_sel:WORD_0 src1_sel:DWORD
	s_nop 1
	v_cndmask_b32_e64 v18, v19, v25, s[4:5]
; %bb.114:
	s_or_b64 exec, exec, s[6:7]
	v_and_b32_e32 v24, 0xffff0000, v24
	v_lshlrev_b32_e32 v19, 16, v20
	v_fmac_f32_e32 v24, v19, v36
	s_mov_b32 s3, 0x7f800000
	v_and_b32_e32 v19, 0x7f800000, v24
	v_cmp_ne_u32_e64 s[4:5], s3, v19
                                        ; implicit-def: $vgpr19
	s_and_saveexec_b64 s[6:7], s[4:5]
	s_xor_b64 s[4:5], exec, s[6:7]
; %bb.115:
	v_bfe_u32 v19, v24, 16, 1
	s_movk_i32 s3, 0x7fff
	v_add3_u32 v19, v24, v19, s3
                                        ; implicit-def: $vgpr24
; %bb.116:
	s_andn2_saveexec_b64 s[6:7], s[4:5]
; %bb.117:
	v_mov_b32_e32 v19, 0
	v_or_b32_e32 v25, 0x10000, v24
	v_cmp_eq_u32_sdwa s[4:5], v24, v19 src0_sel:WORD_0 src1_sel:DWORD
	s_nop 1
	v_cndmask_b32_e64 v19, v25, v24, s[4:5]
; %bb.118:
	s_or_b64 exec, exec, s[6:7]
	v_and_b32_e32 v18, 0xffff0000, v18
	v_and_b32_e32 v20, 0xffff0000, v20
	v_fmac_f32_e32 v18, v20, v35
	s_mov_b32 s3, 0x7f800000
	v_and_b32_e32 v20, 0x7f800000, v18
	v_cmp_ne_u32_e64 s[4:5], s3, v20
                                        ; implicit-def: $vgpr20
	s_and_saveexec_b64 s[6:7], s[4:5]
	s_xor_b64 s[4:5], exec, s[6:7]
; %bb.119:
	v_bfe_u32 v20, v18, 16, 1
	s_movk_i32 s3, 0x7fff
	v_add3_u32 v20, v18, v20, s3
                                        ; implicit-def: $vgpr18
; %bb.120:
	s_andn2_saveexec_b64 s[6:7], s[4:5]
; %bb.121:
	v_mov_b32_e32 v20, 0
	v_or_b32_e32 v24, 0x10000, v18
	v_cmp_eq_u32_sdwa s[4:5], v18, v20 src0_sel:WORD_0 src1_sel:DWORD
	s_nop 1
	v_cndmask_b32_e64 v20, v24, v18, s[4:5]
; %bb.122:
	s_or_b64 exec, exec, s[6:7]
	v_and_b32_e32 v19, 0xffff0000, v19
	v_lshlrev_b32_e32 v18, 16, v21
	v_fmac_f32_e32 v19, v18, v34
	s_mov_b32 s3, 0x7f800000
	v_and_b32_e32 v18, 0x7f800000, v19
	v_cmp_ne_u32_e64 s[4:5], s3, v18
                                        ; implicit-def: $vgpr18
	s_and_saveexec_b64 s[6:7], s[4:5]
	s_xor_b64 s[4:5], exec, s[6:7]
; %bb.123:
	v_bfe_u32 v18, v19, 16, 1
	s_movk_i32 s3, 0x7fff
	v_add3_u32 v18, v19, v18, s3
                                        ; implicit-def: $vgpr19
; %bb.124:
	s_andn2_saveexec_b64 s[6:7], s[4:5]
; %bb.125:
	v_mov_b32_e32 v18, 0
	v_or_b32_e32 v24, 0x10000, v19
	v_cmp_eq_u32_sdwa s[4:5], v19, v18 src0_sel:WORD_0 src1_sel:DWORD
	s_nop 1
	v_cndmask_b32_e64 v18, v24, v19, s[4:5]
; %bb.126:
	s_or_b64 exec, exec, s[6:7]
	v_and_b32_e32 v20, 0xffff0000, v20
	v_and_b32_e32 v19, 0xffff0000, v21
	v_fmac_f32_e32 v20, v19, v1
	s_mov_b32 s3, 0x7f800000
	v_and_b32_e32 v19, 0x7f800000, v20
	v_cmp_ne_u32_e64 s[4:5], s3, v19
                                        ; implicit-def: $vgpr19
	s_and_saveexec_b64 s[6:7], s[4:5]
	s_xor_b64 s[4:5], exec, s[6:7]
; %bb.127:
	v_bfe_u32 v19, v20, 16, 1
	s_movk_i32 s3, 0x7fff
	v_add3_u32 v19, v20, v19, s3
                                        ; implicit-def: $vgpr20
; %bb.128:
	s_andn2_saveexec_b64 s[6:7], s[4:5]
; %bb.129:
	v_mov_b32_e32 v19, 0
	v_or_b32_e32 v21, 0x10000, v20
	v_cmp_eq_u32_sdwa s[4:5], v20, v19 src0_sel:WORD_0 src1_sel:DWORD
	s_nop 1
	v_cndmask_b32_e64 v19, v21, v20, s[4:5]
; %bb.130:
	s_or_b64 exec, exec, s[6:7]
	s_waitcnt vmcnt(3)
	v_lshlrev_b32_e32 v20, 16, v14
	v_mul_f32_e32 v21, v40, v20
	s_mov_b32 s3, 0x7f800000
	v_and_b32_e32 v20, 0x7f800000, v21
	v_cmp_ne_u32_e64 s[4:5], s3, v20
                                        ; implicit-def: $vgpr20
	s_and_saveexec_b64 s[6:7], s[4:5]
	s_xor_b64 s[4:5], exec, s[6:7]
; %bb.131:
	v_bfe_u32 v20, v21, 16, 1
	s_movk_i32 s3, 0x7fff
	v_add3_u32 v20, v21, v20, s3
                                        ; implicit-def: $vgpr21
; %bb.132:
	s_andn2_saveexec_b64 s[6:7], s[4:5]
; %bb.133:
	v_mov_b32_e32 v20, 0
	v_or_b32_e32 v24, 0x10000, v21
	v_cmp_eq_u32_sdwa s[4:5], v21, v20 src0_sel:WORD_0 src1_sel:DWORD
	s_nop 1
	v_cndmask_b32_e64 v20, v24, v21, s[4:5]
; %bb.134:
	s_or_b64 exec, exec, s[6:7]
	v_and_b32_e32 v14, 0xffff0000, v14
	v_mul_f32_e32 v21, v39, v14
	s_mov_b32 s3, 0x7f800000
	v_and_b32_e32 v14, 0x7f800000, v21
	v_cmp_ne_u32_e64 s[4:5], s3, v14
                                        ; implicit-def: $vgpr14
	s_and_saveexec_b64 s[6:7], s[4:5]
	s_xor_b64 s[4:5], exec, s[6:7]
; %bb.135:
	v_bfe_u32 v14, v21, 16, 1
	s_movk_i32 s3, 0x7fff
	v_add3_u32 v14, v21, v14, s3
                                        ; implicit-def: $vgpr21
; %bb.136:
	s_andn2_saveexec_b64 s[6:7], s[4:5]
; %bb.137:
	v_mov_b32_e32 v14, 0
	v_or_b32_e32 v24, 0x10000, v21
	v_cmp_eq_u32_sdwa s[4:5], v21, v14 src0_sel:WORD_0 src1_sel:DWORD
	s_nop 1
	v_cndmask_b32_e64 v14, v24, v21, s[4:5]
; %bb.138:
	s_or_b64 exec, exec, s[6:7]
	v_and_b32_e32 v21, 0xffff0000, v20
	v_lshlrev_b32_e32 v20, 16, v15
	v_fmac_f32_e32 v21, v20, v38
	s_mov_b32 s3, 0x7f800000
	v_and_b32_e32 v20, 0x7f800000, v21
	v_cmp_ne_u32_e64 s[4:5], s3, v20
                                        ; implicit-def: $vgpr20
	s_and_saveexec_b64 s[6:7], s[4:5]
	s_xor_b64 s[4:5], exec, s[6:7]
; %bb.139:
	v_bfe_u32 v20, v21, 16, 1
	s_movk_i32 s3, 0x7fff
	v_add3_u32 v20, v21, v20, s3
                                        ; implicit-def: $vgpr21
; %bb.140:
	s_andn2_saveexec_b64 s[6:7], s[4:5]
; %bb.141:
	v_mov_b32_e32 v20, 0
	v_or_b32_e32 v24, 0x10000, v21
	v_cmp_eq_u32_sdwa s[4:5], v21, v20 src0_sel:WORD_0 src1_sel:DWORD
	s_nop 1
	v_cndmask_b32_e64 v20, v24, v21, s[4:5]
; %bb.142:
	s_or_b64 exec, exec, s[6:7]
	v_and_b32_e32 v21, 0xffff0000, v14
	v_and_b32_e32 v14, 0xffff0000, v15
	v_fmac_f32_e32 v21, v14, v37
	s_mov_b32 s3, 0x7f800000
	v_and_b32_e32 v14, 0x7f800000, v21
	v_cmp_ne_u32_e64 s[4:5], s3, v14
                                        ; implicit-def: $vgpr14
	s_and_saveexec_b64 s[6:7], s[4:5]
	s_xor_b64 s[4:5], exec, s[6:7]
; %bb.143:
	v_bfe_u32 v14, v21, 16, 1
	s_movk_i32 s3, 0x7fff
	v_add3_u32 v14, v21, v14, s3
                                        ; implicit-def: $vgpr21
; %bb.144:
	s_andn2_saveexec_b64 s[6:7], s[4:5]
; %bb.145:
	v_mov_b32_e32 v14, 0
	v_or_b32_e32 v15, 0x10000, v21
	v_cmp_eq_u32_sdwa s[4:5], v21, v14 src0_sel:WORD_0 src1_sel:DWORD
	s_nop 1
	v_cndmask_b32_e64 v14, v15, v21, s[4:5]
; %bb.146:
	s_or_b64 exec, exec, s[6:7]
	v_and_b32_e32 v20, 0xffff0000, v20
	v_lshlrev_b32_e32 v15, 16, v16
	v_fmac_f32_e32 v20, v15, v36
	s_mov_b32 s3, 0x7f800000
	v_and_b32_e32 v15, 0x7f800000, v20
	v_cmp_ne_u32_e64 s[4:5], s3, v15
                                        ; implicit-def: $vgpr15
	s_and_saveexec_b64 s[6:7], s[4:5]
	s_xor_b64 s[4:5], exec, s[6:7]
; %bb.147:
	v_bfe_u32 v15, v20, 16, 1
	s_movk_i32 s3, 0x7fff
	v_add3_u32 v15, v20, v15, s3
                                        ; implicit-def: $vgpr20
; %bb.148:
	s_andn2_saveexec_b64 s[6:7], s[4:5]
; %bb.149:
	v_mov_b32_e32 v15, 0
	v_or_b32_e32 v21, 0x10000, v20
	v_cmp_eq_u32_sdwa s[4:5], v20, v15 src0_sel:WORD_0 src1_sel:DWORD
	s_nop 1
	v_cndmask_b32_e64 v15, v21, v20, s[4:5]
; %bb.150:
	s_or_b64 exec, exec, s[6:7]
	v_and_b32_e32 v14, 0xffff0000, v14
	v_and_b32_e32 v16, 0xffff0000, v16
	v_fmac_f32_e32 v14, v16, v35
	s_mov_b32 s3, 0x7f800000
	v_and_b32_e32 v16, 0x7f800000, v14
	v_cmp_ne_u32_e64 s[4:5], s3, v16
                                        ; implicit-def: $vgpr16
	s_and_saveexec_b64 s[6:7], s[4:5]
	s_xor_b64 s[4:5], exec, s[6:7]
; %bb.151:
	v_bfe_u32 v16, v14, 16, 1
	s_movk_i32 s3, 0x7fff
	v_add3_u32 v16, v14, v16, s3
                                        ; implicit-def: $vgpr14
; %bb.152:
	s_andn2_saveexec_b64 s[6:7], s[4:5]
; %bb.153:
	v_mov_b32_e32 v16, 0
	v_or_b32_e32 v20, 0x10000, v14
	v_cmp_eq_u32_sdwa s[4:5], v14, v16 src0_sel:WORD_0 src1_sel:DWORD
	s_nop 1
	v_cndmask_b32_e64 v16, v20, v14, s[4:5]
; %bb.154:
	s_or_b64 exec, exec, s[6:7]
	v_and_b32_e32 v15, 0xffff0000, v15
	v_lshlrev_b32_e32 v14, 16, v17
	v_fmac_f32_e32 v15, v14, v34
	s_mov_b32 s3, 0x7f800000
	v_and_b32_e32 v14, 0x7f800000, v15
	v_cmp_ne_u32_e64 s[4:5], s3, v14
                                        ; implicit-def: $vgpr14
	s_and_saveexec_b64 s[6:7], s[4:5]
	s_xor_b64 s[4:5], exec, s[6:7]
; %bb.155:
	v_bfe_u32 v14, v15, 16, 1
	s_movk_i32 s3, 0x7fff
	v_add3_u32 v14, v15, v14, s3
                                        ; implicit-def: $vgpr15
; %bb.156:
	s_andn2_saveexec_b64 s[6:7], s[4:5]
; %bb.157:
	v_mov_b32_e32 v14, 0
	v_or_b32_e32 v20, 0x10000, v15
	v_cmp_eq_u32_sdwa s[4:5], v15, v14 src0_sel:WORD_0 src1_sel:DWORD
	s_nop 1
	v_cndmask_b32_e64 v14, v20, v15, s[4:5]
; %bb.158:
	s_or_b64 exec, exec, s[6:7]
	v_and_b32_e32 v16, 0xffff0000, v16
	v_and_b32_e32 v15, 0xffff0000, v17
	v_fmac_f32_e32 v16, v15, v1
	s_mov_b32 s3, 0x7f800000
	v_and_b32_e32 v15, 0x7f800000, v16
	v_cmp_ne_u32_e64 s[4:5], s3, v15
                                        ; implicit-def: $vgpr15
	s_and_saveexec_b64 s[6:7], s[4:5]
	s_xor_b64 s[4:5], exec, s[6:7]
; %bb.159:
	v_bfe_u32 v15, v16, 16, 1
	s_movk_i32 s3, 0x7fff
	v_add3_u32 v15, v16, v15, s3
                                        ; implicit-def: $vgpr16
; %bb.160:
	s_andn2_saveexec_b64 s[6:7], s[4:5]
; %bb.161:
	v_mov_b32_e32 v15, 0
	v_or_b32_e32 v17, 0x10000, v16
	v_cmp_eq_u32_sdwa s[4:5], v16, v15 src0_sel:WORD_0 src1_sel:DWORD
	s_nop 1
	v_cndmask_b32_e64 v15, v17, v16, s[4:5]
; %bb.162:
	s_or_b64 exec, exec, s[6:7]
	s_waitcnt vmcnt(2)
	v_lshlrev_b32_e32 v16, 16, v10
	v_mul_f32_e32 v17, v40, v16
	s_mov_b32 s3, 0x7f800000
	v_and_b32_e32 v16, 0x7f800000, v17
	v_cmp_ne_u32_e64 s[4:5], s3, v16
                                        ; implicit-def: $vgpr16
	s_and_saveexec_b64 s[6:7], s[4:5]
	s_xor_b64 s[4:5], exec, s[6:7]
; %bb.163:
	v_bfe_u32 v16, v17, 16, 1
	s_movk_i32 s3, 0x7fff
	v_add3_u32 v16, v17, v16, s3
                                        ; implicit-def: $vgpr17
; %bb.164:
	s_andn2_saveexec_b64 s[6:7], s[4:5]
; %bb.165:
	v_mov_b32_e32 v16, 0
	v_or_b32_e32 v20, 0x10000, v17
	v_cmp_eq_u32_sdwa s[4:5], v17, v16 src0_sel:WORD_0 src1_sel:DWORD
	s_nop 1
	v_cndmask_b32_e64 v16, v20, v17, s[4:5]
; %bb.166:
	s_or_b64 exec, exec, s[6:7]
	v_and_b32_e32 v10, 0xffff0000, v10
	v_mul_f32_e32 v17, v39, v10
	s_mov_b32 s3, 0x7f800000
	v_and_b32_e32 v10, 0x7f800000, v17
	v_cmp_ne_u32_e64 s[4:5], s3, v10
                                        ; implicit-def: $vgpr10
	s_and_saveexec_b64 s[6:7], s[4:5]
	s_xor_b64 s[4:5], exec, s[6:7]
; %bb.167:
	v_bfe_u32 v10, v17, 16, 1
	s_movk_i32 s3, 0x7fff
	v_add3_u32 v10, v17, v10, s3
                                        ; implicit-def: $vgpr17
; %bb.168:
	s_andn2_saveexec_b64 s[6:7], s[4:5]
; %bb.169:
	v_mov_b32_e32 v10, 0
	v_or_b32_e32 v20, 0x10000, v17
	v_cmp_eq_u32_sdwa s[4:5], v17, v10 src0_sel:WORD_0 src1_sel:DWORD
	s_nop 1
	v_cndmask_b32_e64 v10, v20, v17, s[4:5]
; %bb.170:
	s_or_b64 exec, exec, s[6:7]
	v_and_b32_e32 v17, 0xffff0000, v16
	v_lshlrev_b32_e32 v16, 16, v11
	v_fmac_f32_e32 v17, v16, v38
	s_mov_b32 s3, 0x7f800000
	v_and_b32_e32 v16, 0x7f800000, v17
	v_cmp_ne_u32_e64 s[4:5], s3, v16
                                        ; implicit-def: $vgpr16
	s_and_saveexec_b64 s[6:7], s[4:5]
	s_xor_b64 s[4:5], exec, s[6:7]
; %bb.171:
	v_bfe_u32 v16, v17, 16, 1
	s_movk_i32 s3, 0x7fff
	v_add3_u32 v16, v17, v16, s3
                                        ; implicit-def: $vgpr17
; %bb.172:
	s_andn2_saveexec_b64 s[6:7], s[4:5]
; %bb.173:
	v_mov_b32_e32 v16, 0
	v_or_b32_e32 v20, 0x10000, v17
	v_cmp_eq_u32_sdwa s[4:5], v17, v16 src0_sel:WORD_0 src1_sel:DWORD
	s_nop 1
	v_cndmask_b32_e64 v16, v20, v17, s[4:5]
; %bb.174:
	s_or_b64 exec, exec, s[6:7]
	v_and_b32_e32 v17, 0xffff0000, v10
	v_and_b32_e32 v10, 0xffff0000, v11
	v_fmac_f32_e32 v17, v10, v37
	s_mov_b32 s3, 0x7f800000
	v_and_b32_e32 v10, 0x7f800000, v17
	v_cmp_ne_u32_e64 s[4:5], s3, v10
                                        ; implicit-def: $vgpr10
	s_and_saveexec_b64 s[6:7], s[4:5]
	s_xor_b64 s[4:5], exec, s[6:7]
; %bb.175:
	v_bfe_u32 v10, v17, 16, 1
	s_movk_i32 s3, 0x7fff
	v_add3_u32 v10, v17, v10, s3
                                        ; implicit-def: $vgpr17
; %bb.176:
	s_andn2_saveexec_b64 s[6:7], s[4:5]
; %bb.177:
	v_mov_b32_e32 v10, 0
	v_or_b32_e32 v11, 0x10000, v17
	v_cmp_eq_u32_sdwa s[4:5], v17, v10 src0_sel:WORD_0 src1_sel:DWORD
	s_nop 1
	v_cndmask_b32_e64 v10, v11, v17, s[4:5]
; %bb.178:
	s_or_b64 exec, exec, s[6:7]
	v_and_b32_e32 v16, 0xffff0000, v16
	v_lshlrev_b32_e32 v11, 16, v12
	v_fmac_f32_e32 v16, v11, v36
	s_mov_b32 s3, 0x7f800000
	v_and_b32_e32 v11, 0x7f800000, v16
	v_cmp_ne_u32_e64 s[4:5], s3, v11
                                        ; implicit-def: $vgpr11
	s_and_saveexec_b64 s[6:7], s[4:5]
	s_xor_b64 s[4:5], exec, s[6:7]
; %bb.179:
	v_bfe_u32 v11, v16, 16, 1
	s_movk_i32 s3, 0x7fff
	v_add3_u32 v11, v16, v11, s3
                                        ; implicit-def: $vgpr16
; %bb.180:
	s_andn2_saveexec_b64 s[6:7], s[4:5]
; %bb.181:
	v_mov_b32_e32 v11, 0
	v_or_b32_e32 v17, 0x10000, v16
	v_cmp_eq_u32_sdwa s[4:5], v16, v11 src0_sel:WORD_0 src1_sel:DWORD
	s_nop 1
	v_cndmask_b32_e64 v11, v17, v16, s[4:5]
; %bb.182:
	s_or_b64 exec, exec, s[6:7]
	v_and_b32_e32 v10, 0xffff0000, v10
	v_and_b32_e32 v12, 0xffff0000, v12
	v_fmac_f32_e32 v10, v12, v35
	s_mov_b32 s3, 0x7f800000
	v_and_b32_e32 v12, 0x7f800000, v10
	v_cmp_ne_u32_e64 s[4:5], s3, v12
                                        ; implicit-def: $vgpr12
	s_and_saveexec_b64 s[6:7], s[4:5]
	s_xor_b64 s[4:5], exec, s[6:7]
; %bb.183:
	v_bfe_u32 v12, v10, 16, 1
	s_movk_i32 s3, 0x7fff
	v_add3_u32 v12, v10, v12, s3
                                        ; implicit-def: $vgpr10
; %bb.184:
	s_andn2_saveexec_b64 s[6:7], s[4:5]
; %bb.185:
	v_mov_b32_e32 v12, 0
	v_or_b32_e32 v16, 0x10000, v10
	v_cmp_eq_u32_sdwa s[4:5], v10, v12 src0_sel:WORD_0 src1_sel:DWORD
	s_nop 1
	v_cndmask_b32_e64 v12, v16, v10, s[4:5]
; %bb.186:
	s_or_b64 exec, exec, s[6:7]
	v_and_b32_e32 v11, 0xffff0000, v11
	v_lshlrev_b32_e32 v10, 16, v13
	v_fmac_f32_e32 v11, v10, v34
	s_mov_b32 s3, 0x7f800000
	v_and_b32_e32 v10, 0x7f800000, v11
	v_cmp_ne_u32_e64 s[4:5], s3, v10
                                        ; implicit-def: $vgpr10
	s_and_saveexec_b64 s[6:7], s[4:5]
	s_xor_b64 s[4:5], exec, s[6:7]
; %bb.187:
	v_bfe_u32 v10, v11, 16, 1
	s_movk_i32 s3, 0x7fff
	v_add3_u32 v10, v11, v10, s3
                                        ; implicit-def: $vgpr11
; %bb.188:
	s_andn2_saveexec_b64 s[6:7], s[4:5]
; %bb.189:
	v_mov_b32_e32 v10, 0
	v_or_b32_e32 v16, 0x10000, v11
	v_cmp_eq_u32_sdwa s[4:5], v11, v10 src0_sel:WORD_0 src1_sel:DWORD
	s_nop 1
	v_cndmask_b32_e64 v10, v16, v11, s[4:5]
; %bb.190:
	s_or_b64 exec, exec, s[6:7]
	v_and_b32_e32 v12, 0xffff0000, v12
	v_and_b32_e32 v11, 0xffff0000, v13
	v_fmac_f32_e32 v12, v11, v1
	s_mov_b32 s3, 0x7f800000
	v_and_b32_e32 v11, 0x7f800000, v12
	v_cmp_ne_u32_e64 s[4:5], s3, v11
                                        ; implicit-def: $vgpr11
	s_and_saveexec_b64 s[6:7], s[4:5]
	s_xor_b64 s[4:5], exec, s[6:7]
; %bb.191:
	v_bfe_u32 v11, v12, 16, 1
	s_movk_i32 s3, 0x7fff
	v_add3_u32 v11, v12, v11, s3
                                        ; implicit-def: $vgpr12
; %bb.192:
	s_andn2_saveexec_b64 s[6:7], s[4:5]
; %bb.193:
	v_mov_b32_e32 v11, 0
	v_or_b32_e32 v13, 0x10000, v12
	v_cmp_eq_u32_sdwa s[4:5], v12, v11 src0_sel:WORD_0 src1_sel:DWORD
	s_nop 1
	v_cndmask_b32_e64 v11, v13, v12, s[4:5]
; %bb.194:
	s_or_b64 exec, exec, s[6:7]
	s_waitcnt vmcnt(1)
	v_lshlrev_b32_e32 v12, 16, v6
	v_mul_f32_e32 v13, v40, v12
	s_mov_b32 s3, 0x7f800000
	v_and_b32_e32 v12, 0x7f800000, v13
	v_cmp_ne_u32_e64 s[4:5], s3, v12
                                        ; implicit-def: $vgpr12
	s_and_saveexec_b64 s[6:7], s[4:5]
	s_xor_b64 s[4:5], exec, s[6:7]
; %bb.195:
	v_bfe_u32 v12, v13, 16, 1
	s_movk_i32 s3, 0x7fff
	v_add3_u32 v12, v13, v12, s3
                                        ; implicit-def: $vgpr13
; %bb.196:
	s_andn2_saveexec_b64 s[6:7], s[4:5]
; %bb.197:
	v_mov_b32_e32 v12, 0
	v_or_b32_e32 v16, 0x10000, v13
	v_cmp_eq_u32_sdwa s[4:5], v13, v12 src0_sel:WORD_0 src1_sel:DWORD
	s_nop 1
	v_cndmask_b32_e64 v12, v16, v13, s[4:5]
; %bb.198:
	s_or_b64 exec, exec, s[6:7]
	v_and_b32_e32 v6, 0xffff0000, v6
	v_mul_f32_e32 v13, v39, v6
	s_mov_b32 s3, 0x7f800000
	v_and_b32_e32 v6, 0x7f800000, v13
	v_cmp_ne_u32_e64 s[4:5], s3, v6
                                        ; implicit-def: $vgpr6
	s_and_saveexec_b64 s[6:7], s[4:5]
	s_xor_b64 s[4:5], exec, s[6:7]
; %bb.199:
	v_bfe_u32 v6, v13, 16, 1
	s_movk_i32 s3, 0x7fff
	v_add3_u32 v6, v13, v6, s3
                                        ; implicit-def: $vgpr13
; %bb.200:
	s_andn2_saveexec_b64 s[6:7], s[4:5]
; %bb.201:
	v_mov_b32_e32 v6, 0
	v_or_b32_e32 v16, 0x10000, v13
	v_cmp_eq_u32_sdwa s[4:5], v13, v6 src0_sel:WORD_0 src1_sel:DWORD
	s_nop 1
	v_cndmask_b32_e64 v6, v16, v13, s[4:5]
; %bb.202:
	s_or_b64 exec, exec, s[6:7]
	v_and_b32_e32 v13, 0xffff0000, v12
	v_lshlrev_b32_e32 v12, 16, v7
	v_fmac_f32_e32 v13, v12, v38
	s_mov_b32 s3, 0x7f800000
	v_and_b32_e32 v12, 0x7f800000, v13
	v_cmp_ne_u32_e64 s[4:5], s3, v12
                                        ; implicit-def: $vgpr12
	s_and_saveexec_b64 s[6:7], s[4:5]
	s_xor_b64 s[4:5], exec, s[6:7]
; %bb.203:
	v_bfe_u32 v12, v13, 16, 1
	s_movk_i32 s3, 0x7fff
	v_add3_u32 v12, v13, v12, s3
                                        ; implicit-def: $vgpr13
; %bb.204:
	s_andn2_saveexec_b64 s[6:7], s[4:5]
; %bb.205:
	v_mov_b32_e32 v12, 0
	v_or_b32_e32 v16, 0x10000, v13
	v_cmp_eq_u32_sdwa s[4:5], v13, v12 src0_sel:WORD_0 src1_sel:DWORD
	s_nop 1
	v_cndmask_b32_e64 v12, v16, v13, s[4:5]
; %bb.206:
	s_or_b64 exec, exec, s[6:7]
	v_and_b32_e32 v13, 0xffff0000, v6
	v_and_b32_e32 v6, 0xffff0000, v7
	v_fmac_f32_e32 v13, v6, v37
	s_mov_b32 s3, 0x7f800000
	v_and_b32_e32 v6, 0x7f800000, v13
	v_cmp_ne_u32_e64 s[4:5], s3, v6
                                        ; implicit-def: $vgpr6
	s_and_saveexec_b64 s[6:7], s[4:5]
	s_xor_b64 s[4:5], exec, s[6:7]
; %bb.207:
	v_bfe_u32 v6, v13, 16, 1
	s_movk_i32 s3, 0x7fff
	v_add3_u32 v6, v13, v6, s3
                                        ; implicit-def: $vgpr13
; %bb.208:
	s_andn2_saveexec_b64 s[6:7], s[4:5]
; %bb.209:
	v_mov_b32_e32 v6, 0
	v_or_b32_e32 v7, 0x10000, v13
	v_cmp_eq_u32_sdwa s[4:5], v13, v6 src0_sel:WORD_0 src1_sel:DWORD
	s_nop 1
	v_cndmask_b32_e64 v6, v7, v13, s[4:5]
; %bb.210:
	s_or_b64 exec, exec, s[6:7]
	v_and_b32_e32 v12, 0xffff0000, v12
	v_lshlrev_b32_e32 v7, 16, v8
	v_fmac_f32_e32 v12, v7, v36
	s_mov_b32 s3, 0x7f800000
	v_and_b32_e32 v7, 0x7f800000, v12
	v_cmp_ne_u32_e64 s[4:5], s3, v7
                                        ; implicit-def: $vgpr7
	s_and_saveexec_b64 s[6:7], s[4:5]
	s_xor_b64 s[4:5], exec, s[6:7]
; %bb.211:
	v_bfe_u32 v7, v12, 16, 1
	s_movk_i32 s3, 0x7fff
	v_add3_u32 v7, v12, v7, s3
                                        ; implicit-def: $vgpr12
; %bb.212:
	s_andn2_saveexec_b64 s[6:7], s[4:5]
; %bb.213:
	v_mov_b32_e32 v7, 0
	v_or_b32_e32 v13, 0x10000, v12
	v_cmp_eq_u32_sdwa s[4:5], v12, v7 src0_sel:WORD_0 src1_sel:DWORD
	s_nop 1
	v_cndmask_b32_e64 v7, v13, v12, s[4:5]
; %bb.214:
	s_or_b64 exec, exec, s[6:7]
	v_and_b32_e32 v6, 0xffff0000, v6
	v_and_b32_e32 v8, 0xffff0000, v8
	v_fmac_f32_e32 v6, v8, v35
	s_mov_b32 s3, 0x7f800000
	v_and_b32_e32 v8, 0x7f800000, v6
	v_cmp_ne_u32_e64 s[4:5], s3, v8
                                        ; implicit-def: $vgpr8
	s_and_saveexec_b64 s[6:7], s[4:5]
	s_xor_b64 s[4:5], exec, s[6:7]
; %bb.215:
	v_bfe_u32 v8, v6, 16, 1
	s_movk_i32 s3, 0x7fff
	v_add3_u32 v8, v6, v8, s3
                                        ; implicit-def: $vgpr6
; %bb.216:
	s_andn2_saveexec_b64 s[6:7], s[4:5]
; %bb.217:
	v_mov_b32_e32 v8, 0
	v_or_b32_e32 v12, 0x10000, v6
	v_cmp_eq_u32_sdwa s[4:5], v6, v8 src0_sel:WORD_0 src1_sel:DWORD
	s_nop 1
	v_cndmask_b32_e64 v8, v12, v6, s[4:5]
; %bb.218:
	s_or_b64 exec, exec, s[6:7]
	v_and_b32_e32 v7, 0xffff0000, v7
	v_lshlrev_b32_e32 v6, 16, v9
	v_fmac_f32_e32 v7, v6, v34
	s_mov_b32 s3, 0x7f800000
	v_and_b32_e32 v6, 0x7f800000, v7
	v_cmp_ne_u32_e64 s[4:5], s3, v6
                                        ; implicit-def: $vgpr6
	s_and_saveexec_b64 s[6:7], s[4:5]
	s_xor_b64 s[4:5], exec, s[6:7]
; %bb.219:
	v_bfe_u32 v6, v7, 16, 1
	s_movk_i32 s3, 0x7fff
	v_add3_u32 v6, v7, v6, s3
                                        ; implicit-def: $vgpr7
; %bb.220:
	s_andn2_saveexec_b64 s[6:7], s[4:5]
; %bb.221:
	v_mov_b32_e32 v6, 0
	v_or_b32_e32 v12, 0x10000, v7
	v_cmp_eq_u32_sdwa s[4:5], v7, v6 src0_sel:WORD_0 src1_sel:DWORD
	s_nop 1
	v_cndmask_b32_e64 v6, v12, v7, s[4:5]
; %bb.222:
	s_or_b64 exec, exec, s[6:7]
	v_and_b32_e32 v8, 0xffff0000, v8
	v_and_b32_e32 v7, 0xffff0000, v9
	v_fmac_f32_e32 v8, v7, v1
	s_mov_b32 s3, 0x7f800000
	v_and_b32_e32 v7, 0x7f800000, v8
	v_cmp_ne_u32_e64 s[4:5], s3, v7
                                        ; implicit-def: $vgpr7
	s_and_saveexec_b64 s[6:7], s[4:5]
	s_xor_b64 s[4:5], exec, s[6:7]
; %bb.223:
	v_bfe_u32 v7, v8, 16, 1
	s_movk_i32 s3, 0x7fff
	v_add3_u32 v7, v8, v7, s3
                                        ; implicit-def: $vgpr8
; %bb.224:
	s_andn2_saveexec_b64 s[6:7], s[4:5]
; %bb.225:
	v_mov_b32_e32 v7, 0
	v_or_b32_e32 v9, 0x10000, v8
	v_cmp_eq_u32_sdwa s[4:5], v8, v7 src0_sel:WORD_0 src1_sel:DWORD
	s_nop 1
	v_cndmask_b32_e64 v7, v9, v8, s[4:5]
; %bb.226:
	s_or_b64 exec, exec, s[6:7]
	s_waitcnt vmcnt(0)
	v_lshlrev_b32_e32 v8, 16, v2
	v_mul_f32_e32 v9, v40, v8
	s_mov_b32 s3, 0x7f800000
	v_and_b32_e32 v8, 0x7f800000, v9
	v_cmp_ne_u32_e64 s[4:5], s3, v8
                                        ; implicit-def: $vgpr8
	s_and_saveexec_b64 s[6:7], s[4:5]
	s_xor_b64 s[4:5], exec, s[6:7]
; %bb.227:
	v_bfe_u32 v8, v9, 16, 1
	s_movk_i32 s3, 0x7fff
	v_add3_u32 v8, v9, v8, s3
                                        ; implicit-def: $vgpr9
; %bb.228:
	s_andn2_saveexec_b64 s[6:7], s[4:5]
; %bb.229:
	v_mov_b32_e32 v8, 0
	v_or_b32_e32 v12, 0x10000, v9
	v_cmp_eq_u32_sdwa s[4:5], v9, v8 src0_sel:WORD_0 src1_sel:DWORD
	s_nop 1
	v_cndmask_b32_e64 v8, v12, v9, s[4:5]
; %bb.230:
	s_or_b64 exec, exec, s[6:7]
	v_and_b32_e32 v2, 0xffff0000, v2
	v_mul_f32_e32 v9, v39, v2
	s_mov_b32 s3, 0x7f800000
	v_and_b32_e32 v2, 0x7f800000, v9
	v_cmp_ne_u32_e64 s[4:5], s3, v2
                                        ; implicit-def: $vgpr2
	s_and_saveexec_b64 s[6:7], s[4:5]
	s_xor_b64 s[4:5], exec, s[6:7]
; %bb.231:
	v_bfe_u32 v2, v9, 16, 1
	s_movk_i32 s3, 0x7fff
	v_add3_u32 v2, v9, v2, s3
                                        ; implicit-def: $vgpr9
; %bb.232:
	s_andn2_saveexec_b64 s[6:7], s[4:5]
; %bb.233:
	v_mov_b32_e32 v2, 0
	v_or_b32_e32 v12, 0x10000, v9
	v_cmp_eq_u32_sdwa s[4:5], v9, v2 src0_sel:WORD_0 src1_sel:DWORD
	s_nop 1
	v_cndmask_b32_e64 v2, v12, v9, s[4:5]
; %bb.234:
	s_or_b64 exec, exec, s[6:7]
	v_and_b32_e32 v9, 0xffff0000, v8
	v_lshlrev_b32_e32 v8, 16, v3
	v_fmac_f32_e32 v9, v8, v38
	s_mov_b32 s3, 0x7f800000
	v_and_b32_e32 v8, 0x7f800000, v9
	v_cmp_ne_u32_e64 s[4:5], s3, v8
                                        ; implicit-def: $vgpr8
	s_and_saveexec_b64 s[6:7], s[4:5]
	s_xor_b64 s[4:5], exec, s[6:7]
; %bb.235:
	v_bfe_u32 v8, v9, 16, 1
	s_movk_i32 s3, 0x7fff
	v_add3_u32 v8, v9, v8, s3
                                        ; implicit-def: $vgpr9
; %bb.236:
	s_andn2_saveexec_b64 s[6:7], s[4:5]
; %bb.237:
	v_mov_b32_e32 v8, 0
	v_or_b32_e32 v12, 0x10000, v9
	v_cmp_eq_u32_sdwa s[4:5], v9, v8 src0_sel:WORD_0 src1_sel:DWORD
	s_nop 1
	v_cndmask_b32_e64 v8, v12, v9, s[4:5]
; %bb.238:
	s_or_b64 exec, exec, s[6:7]
	v_and_b32_e32 v9, 0xffff0000, v2
	v_and_b32_e32 v2, 0xffff0000, v3
	v_fmac_f32_e32 v9, v2, v37
	s_mov_b32 s3, 0x7f800000
	v_and_b32_e32 v2, 0x7f800000, v9
	v_cmp_ne_u32_e64 s[4:5], s3, v2
                                        ; implicit-def: $vgpr2
	s_and_saveexec_b64 s[6:7], s[4:5]
	s_xor_b64 s[4:5], exec, s[6:7]
; %bb.239:
	v_bfe_u32 v2, v9, 16, 1
	s_movk_i32 s3, 0x7fff
	v_add3_u32 v2, v9, v2, s3
                                        ; implicit-def: $vgpr9
; %bb.240:
	s_andn2_saveexec_b64 s[6:7], s[4:5]
; %bb.241:
	v_mov_b32_e32 v2, 0
	v_or_b32_e32 v3, 0x10000, v9
	v_cmp_eq_u32_sdwa s[4:5], v9, v2 src0_sel:WORD_0 src1_sel:DWORD
	s_nop 1
	v_cndmask_b32_e64 v2, v3, v9, s[4:5]
; %bb.242:
	s_or_b64 exec, exec, s[6:7]
	v_and_b32_e32 v8, 0xffff0000, v8
	v_lshlrev_b32_e32 v3, 16, v4
	v_fmac_f32_e32 v8, v3, v36
	s_mov_b32 s3, 0x7f800000
	v_and_b32_e32 v3, 0x7f800000, v8
	v_cmp_ne_u32_e64 s[4:5], s3, v3
                                        ; implicit-def: $vgpr3
	s_and_saveexec_b64 s[6:7], s[4:5]
	s_xor_b64 s[4:5], exec, s[6:7]
; %bb.243:
	v_bfe_u32 v3, v8, 16, 1
	s_movk_i32 s3, 0x7fff
	v_add3_u32 v3, v8, v3, s3
                                        ; implicit-def: $vgpr8
; %bb.244:
	s_andn2_saveexec_b64 s[6:7], s[4:5]
; %bb.245:
	v_mov_b32_e32 v3, 0
	v_or_b32_e32 v9, 0x10000, v8
	v_cmp_eq_u32_sdwa s[4:5], v8, v3 src0_sel:WORD_0 src1_sel:DWORD
	s_nop 1
	v_cndmask_b32_e64 v3, v9, v8, s[4:5]
; %bb.246:
	s_or_b64 exec, exec, s[6:7]
	v_and_b32_e32 v8, 0xffff0000, v2
	v_and_b32_e32 v2, 0xffff0000, v4
	v_fmac_f32_e32 v8, v2, v35
	s_mov_b32 s3, 0x7f800000
	v_and_b32_e32 v2, 0x7f800000, v8
	v_cmp_ne_u32_e64 s[4:5], s3, v2
                                        ; implicit-def: $vgpr2
	s_and_saveexec_b64 s[6:7], s[4:5]
	s_xor_b64 s[4:5], exec, s[6:7]
; %bb.247:
	v_bfe_u32 v2, v8, 16, 1
	s_movk_i32 s3, 0x7fff
	v_add3_u32 v2, v8, v2, s3
                                        ; implicit-def: $vgpr8
; %bb.248:
	s_andn2_saveexec_b64 s[6:7], s[4:5]
; %bb.249:
	v_mov_b32_e32 v2, 0
	v_or_b32_e32 v4, 0x10000, v8
	v_cmp_eq_u32_sdwa s[4:5], v8, v2 src0_sel:WORD_0 src1_sel:DWORD
	s_nop 1
	v_cndmask_b32_e64 v2, v4, v8, s[4:5]
; %bb.250:
	s_or_b64 exec, exec, s[6:7]
	v_and_b32_e32 v4, 0xffff0000, v3
	v_lshlrev_b32_e32 v3, 16, v5
	v_fmac_f32_e32 v4, v3, v34
	s_mov_b32 s3, 0x7f800000
	v_and_b32_e32 v3, 0x7f800000, v4
	v_cmp_ne_u32_e64 s[4:5], s3, v3
                                        ; implicit-def: $vgpr3
	s_and_saveexec_b64 s[6:7], s[4:5]
	s_xor_b64 s[4:5], exec, s[6:7]
; %bb.251:
	v_bfe_u32 v3, v4, 16, 1
	s_movk_i32 s3, 0x7fff
	v_add3_u32 v3, v4, v3, s3
                                        ; implicit-def: $vgpr4
; %bb.252:
	s_andn2_saveexec_b64 s[6:7], s[4:5]
; %bb.253:
	v_mov_b32_e32 v3, 0
	v_or_b32_e32 v8, 0x10000, v4
	v_cmp_eq_u32_sdwa s[4:5], v4, v3 src0_sel:WORD_0 src1_sel:DWORD
	s_nop 1
	v_cndmask_b32_e64 v3, v8, v4, s[4:5]
; %bb.254:
	s_or_b64 exec, exec, s[6:7]
	v_and_b32_e32 v2, 0xffff0000, v2
	v_and_b32_e32 v4, 0xffff0000, v5
	v_fmac_f32_e32 v2, v4, v1
	s_mov_b32 s3, 0x7f800000
	v_and_b32_e32 v1, 0x7f800000, v2
	v_cmp_ne_u32_e64 s[4:5], s3, v1
                                        ; implicit-def: $vgpr1
	s_and_saveexec_b64 s[6:7], s[4:5]
	s_xor_b64 s[4:5], exec, s[6:7]
; %bb.255:
	v_bfe_u32 v1, v2, 16, 1
	s_movk_i32 s3, 0x7fff
	v_add3_u32 v1, v2, v1, s3
                                        ; implicit-def: $vgpr2
; %bb.256:
	s_andn2_saveexec_b64 s[6:7], s[4:5]
; %bb.257:
	v_mov_b32_e32 v1, 0
	v_or_b32_e32 v4, 0x10000, v2
	v_cmp_eq_u32_sdwa s[4:5], v2, v1 src0_sel:WORD_0 src1_sel:DWORD
	s_nop 1
	v_cndmask_b32_e64 v1, v4, v2, s[4:5]
; %bb.258:
	s_or_b64 exec, exec, s[6:7]
	v_and_b32_e32 v2, 0xffff0000, v6
	v_and_b32_e32 v4, 0xffff0000, v7
	v_add_f32_e32 v2, v2, v4
	v_and_b32_e32 v4, 0xffff0000, v10
	v_and_b32_e32 v5, 0xffff0000, v11
	v_add_f32_e32 v4, v4, v5
	v_cndmask_b32_e32 v5, 0, v4, vcc
	v_and_b32_e32 v4, 0xffff0000, v14
	v_and_b32_e32 v6, 0xffff0000, v15
	v_add_f32_e32 v4, v4, v6
	v_and_b32_e32 v6, 0xffff0000, v18
	v_and_b32_e32 v7, 0xffff0000, v19
	v_add_f32_e32 v6, v6, v7
	v_cndmask_b32_e32 v7, 0, v6, vcc
	v_and_b32_e32 v6, 0xffff0000, v22
	v_and_b32_e32 v8, 0xffff0000, v23
	v_add_f32_e32 v6, v6, v8
	v_and_b32_e32 v8, 0xffff0000, v26
	v_and_b32_e32 v9, 0xffff0000, v27
	v_add_f32_e32 v8, v8, v9
	v_and_b32_e32 v11, 0xffff0000, v1
	v_mbcnt_lo_u32_b32 v1, -1, 0
	v_cndmask_b32_e32 v9, 0, v8, vcc
	v_and_b32_e32 v8, 0xffff0000, v30
	v_and_b32_e32 v10, 0xffff0000, v31
	v_mbcnt_hi_u32_b32 v21, -1, v1
	v_add_f32_e32 v8, v8, v10
	v_and_b32_e32 v10, 0xffff0000, v3
	v_mov_b32_e32 v12, v11
	v_and_b32_e32 v1, 64, v21
	v_pk_add_f32 v[10:11], v[12:13], v[10:11] op_sel_hi:[0,1]
	v_add_u32_e32 v26, 64, v1
	v_xor_b32_e32 v1, 32, v21
	v_cndmask_b32_e32 v2, 0, v2, vcc
	v_cndmask_b32_e32 v4, 0, v4, vcc
	;; [unrolled: 1-line block ×5, first 2 shown]
	v_cmp_lt_i32_e32 vcc, v1, v26
	v_xor_b32_e32 v18, 8, v21
	v_xor_b32_e32 v19, 4, v21
	v_cndmask_b32_e32 v1, v21, v1, vcc
	v_lshlrev_b32_e32 v1, 2, v1
	ds_bpermute_b32 v12, v1, v6
	ds_bpermute_b32 v13, v1, v7
	;; [unrolled: 1-line block ×8, first 2 shown]
	v_xor_b32_e32 v1, 16, v21
	v_cmp_lt_i32_e32 vcc, v1, v26
	s_waitcnt lgkmcnt(6)
	v_pk_add_f32 v[6:7], v[6:7], v[12:13]
	s_waitcnt lgkmcnt(4)
	v_pk_add_f32 v[8:9], v[8:9], v[10:11]
	v_cndmask_b32_e32 v1, v21, v1, vcc
	v_lshlrev_b32_e32 v1, 2, v1
	ds_bpermute_b32 v12, v1, v6
	ds_bpermute_b32 v13, v1, v7
	v_cmp_lt_i32_e32 vcc, v18, v26
	ds_bpermute_b32 v10, v1, v8
	ds_bpermute_b32 v11, v1, v9
	v_cndmask_b32_e32 v18, v21, v18, vcc
	v_lshlrev_b32_e32 v18, 2, v18
	s_waitcnt lgkmcnt(2)
	v_pk_add_f32 v[6:7], v[6:7], v[12:13]
	ds_bpermute_b32 v12, v18, v6
	ds_bpermute_b32 v13, v18, v7
	v_cmp_lt_i32_e32 vcc, v19, v26
	v_pk_add_f32 v[4:5], v[4:5], v[14:15]
	v_pk_add_f32 v[2:3], v[2:3], v[16:17]
	v_cndmask_b32_e32 v19, v21, v19, vcc
	v_lshlrev_b32_e32 v19, 2, v19
	s_waitcnt lgkmcnt(0)
	v_pk_add_f32 v[6:7], v[6:7], v[12:13]
	ds_bpermute_b32 v14, v1, v4
	ds_bpermute_b32 v15, v1, v5
	;; [unrolled: 1-line block ×6, first 2 shown]
	v_pk_add_f32 v[8:9], v[8:9], v[10:11]
	ds_bpermute_b32 v10, v18, v8
	ds_bpermute_b32 v11, v18, v9
	s_waitcnt lgkmcnt(6)
	v_pk_add_f32 v[4:5], v[4:5], v[14:15]
	s_waitcnt lgkmcnt(4)
	v_pk_add_f32 v[2:3], v[2:3], v[16:17]
	;; [unrolled: 2-line block ×3, first 2 shown]
	ds_bpermute_b32 v12, v18, v4
	ds_bpermute_b32 v13, v18, v5
	;; [unrolled: 1-line block ×4, first 2 shown]
	s_waitcnt lgkmcnt(4)
	v_pk_add_f32 v[8:9], v[8:9], v[10:11]
	ds_bpermute_b32 v10, v19, v8
	ds_bpermute_b32 v11, v19, v9
	v_xor_b32_e32 v20, 2, v21
	s_waitcnt lgkmcnt(4)
	v_pk_add_f32 v[4:5], v[4:5], v[12:13]
	s_waitcnt lgkmcnt(2)
	v_pk_add_f32 v[2:3], v[2:3], v[14:15]
	v_cmp_lt_i32_e32 vcc, v20, v26
	ds_bpermute_b32 v12, v19, v4
	ds_bpermute_b32 v13, v19, v5
	;; [unrolled: 1-line block ×4, first 2 shown]
	v_cndmask_b32_e32 v20, v21, v20, vcc
	v_lshlrev_b32_e32 v20, 2, v20
	s_waitcnt lgkmcnt(4)
	v_pk_add_f32 v[8:9], v[8:9], v[10:11]
	ds_bpermute_b32 v10, v20, v8
	ds_bpermute_b32 v11, v20, v9
	s_waitcnt lgkmcnt(4)
	v_pk_add_f32 v[12:13], v[4:5], v[12:13]
	s_waitcnt lgkmcnt(2)
	v_pk_add_f32 v[14:15], v[2:3], v[14:15]
	ds_bpermute_b32 v16, v20, v6
	ds_bpermute_b32 v17, v20, v7
	;; [unrolled: 1-line block ×6, first 2 shown]
	s_waitcnt lgkmcnt(6)
	v_pk_add_f32 v[8:9], v[8:9], v[10:11]
	v_xor_b32_e32 v10, 1, v21
	v_cmp_lt_i32_e32 vcc, v10, v26
	s_waitcnt lgkmcnt(4)
	v_pk_add_f32 v[4:5], v[6:7], v[16:17]
	s_waitcnt lgkmcnt(2)
	v_pk_add_f32 v[2:3], v[12:13], v[22:23]
	v_cndmask_b32_e32 v10, v21, v10, vcc
	s_waitcnt lgkmcnt(0)
	v_pk_add_f32 v[6:7], v[14:15], v[24:25]
	v_lshlrev_b32_e32 v21, 2, v10
	ds_bpermute_b32 v16, v21, v8
	ds_bpermute_b32 v17, v21, v9
	ds_bpermute_b32 v12, v21, v4
	ds_bpermute_b32 v13, v21, v5
	ds_bpermute_b32 v10, v21, v2
	ds_bpermute_b32 v11, v21, v3
	ds_bpermute_b32 v14, v21, v6
	ds_bpermute_b32 v15, v21, v7
	v_and_b32_e32 v22, 63, v0
	v_cmp_gt_u32_e32 vcc, 8, v22
	s_and_saveexec_b64 s[4:5], vcc
	s_cbranch_execz .LBB6_260
; %bb.259:
	s_waitcnt lgkmcnt(6)
	v_pk_add_f32 v[8:9], v[8:9], v[16:17]
	v_cmp_eq_u32_e32 vcc, 1, v22
	s_waitcnt lgkmcnt(4)
	v_pk_add_f32 v[4:5], v[4:5], v[12:13]
	s_waitcnt lgkmcnt(2)
	v_pk_add_f32 v[2:3], v[2:3], v[10:11]
	v_cndmask_b32_e32 v8, v8, v9, vcc
	v_cmp_eq_u32_e32 vcc, 2, v22
	s_waitcnt lgkmcnt(0)
	v_pk_add_f32 v[6:7], v[6:7], v[14:15]
	v_lshrrev_b32_e32 v10, 4, v0
	v_cndmask_b32_e32 v4, v8, v4, vcc
	v_cmp_eq_u32_e32 vcc, 3, v22
	v_and_b32_e32 v10, 60, v10
	v_lshl_or_b32 v10, v22, 8, v10
	v_cndmask_b32_e32 v4, v4, v5, vcc
	v_cmp_eq_u32_e32 vcc, 4, v22
	s_nop 1
	v_cndmask_b32_e32 v2, v4, v2, vcc
	v_cmp_eq_u32_e32 vcc, 5, v22
	s_nop 1
	;; [unrolled: 3-line block ×4, first 2 shown]
	v_cndmask_b32_e32 v2, v2, v7, vcc
	ds_write_b32 v10, v2
.LBB6_260:
	s_or_b64 exec, exec, s[4:5]
	s_movk_i32 s3, 0x80
	v_cmp_gt_u32_e32 vcc, s3, v0
	s_waitcnt lgkmcnt(0)
	s_barrier
	s_and_saveexec_b64 s[4:5], vcc
	s_cbranch_execz .LBB6_273
; %bb.261:
	s_load_dword s0, s[0:1], 0x2c
	v_and_b32_e32 v3, 15, v0
	v_mov_b32_e32 v2, 0
	s_waitcnt lgkmcnt(0)
	s_and_b32 s0, 0xffff, s0
	s_lshr_b32 s0, s0, 6
	v_cmp_gt_u32_e32 vcc, s0, v3
	s_and_saveexec_b64 s[0:1], vcc
	s_cbranch_execz .LBB6_263
; %bb.262:
	v_lshlrev_b32_e32 v2, 2, v3
	v_lshlrev_b32_e32 v3, 4, v0
	s_movk_i32 s3, 0x3f00
	v_and_or_b32 v2, v3, s3, v2
	ds_read_b32 v2, v2
.LBB6_263:
	s_or_b64 exec, exec, s[0:1]
	s_waitcnt lgkmcnt(0)
	ds_bpermute_b32 v3, v18, v2
	s_waitcnt lgkmcnt(0)
	v_add_f32_e32 v2, v2, v3
	ds_bpermute_b32 v3, v19, v2
	s_waitcnt lgkmcnt(0)
	v_add_f32_e32 v2, v2, v3
	;; [unrolled: 3-line block ×4, first 2 shown]
	ds_bpermute_b32 v1, v1, v3
	v_and_b32_e32 v2, 31, v0
	v_cmp_eq_u32_e32 vcc, 0, v2
	s_and_b64 exec, exec, vcc
	s_cbranch_execz .LBB6_273
; %bb.264:
	s_mov_b32 s0, 0x7f800000
	v_and_b32_e32 v2, 0x7f800000, v3
	v_cmp_ne_u32_e32 vcc, s0, v2
                                        ; implicit-def: $vgpr2
	s_and_saveexec_b64 s[0:1], vcc
	s_xor_b64 s[0:1], exec, s[0:1]
; %bb.265:
	v_bfe_u32 v2, v3, 16, 1
	s_movk_i32 s3, 0x7fff
	v_add3_u32 v2, v3, v2, s3
                                        ; implicit-def: $vgpr3
; %bb.266:
	s_andn2_saveexec_b64 s[0:1], s[0:1]
; %bb.267:
	v_mov_b32_e32 v2, 0
	v_or_b32_e32 v4, 0x10000, v3
	v_cmp_eq_u32_sdwa vcc, v3, v2 src0_sel:WORD_0 src1_sel:DWORD
	s_nop 1
	v_cndmask_b32_e32 v2, v4, v3, vcc
; %bb.268:
	s_or_b64 exec, exec, s[0:1]
	s_mov_b32 s0, 0x7f800000
	s_waitcnt lgkmcnt(0)
	v_and_b32_e32 v3, 0x7f800000, v1
	v_cmp_ne_u32_e32 vcc, s0, v3
                                        ; implicit-def: $vgpr3
	s_and_saveexec_b64 s[0:1], vcc
	s_xor_b64 s[0:1], exec, s[0:1]
; %bb.269:
	v_bfe_u32 v3, v1, 16, 1
	s_movk_i32 s3, 0x7fff
	v_add3_u32 v3, v1, v3, s3
                                        ; implicit-def: $vgpr1
; %bb.270:
	s_andn2_saveexec_b64 s[0:1], s[0:1]
; %bb.271:
	v_mov_b32_e32 v3, 0
	v_or_b32_e32 v4, 0x10000, v1
	v_cmp_eq_u32_sdwa vcc, v1, v3 src0_sel:WORD_0 src1_sel:DWORD
	s_nop 1
	v_cndmask_b32_e32 v3, v4, v1, vcc
; %bb.272:
	s_or_b64 exec, exec, s[0:1]
	s_lshl_b32 s0, s2, 2
	s_and_b32 s0, s0, 0x7ffffffc
	v_lshrrev_b32_e32 v0, 5, v0
	v_mov_b32_e32 v4, s8
	v_mov_b32_e32 v5, s9
	v_or_b32_e32 v0, s0, v0
	v_mov_b32_e32 v1, 0
	s_mov_b32 s0, 0x7060302
	v_lshl_add_u64 v[0:1], v[0:1], 2, v[4:5]
	v_perm_b32 v2, v3, v2, s0
	global_store_dword v[0:1], v2, off
.LBB6_273:
	s_endpgm
	.section	.rodata,"a",@progbits
	.p2align	6, 0x0
	.amdhsa_kernel _Z14LLGemm1_kernelIN3c108BFloat16ELi8EEvPKT_S4_PS2_i
		.amdhsa_group_segment_fixed_size 2048
		.amdhsa_private_segment_fixed_size 0
		.amdhsa_kernarg_size 288
		.amdhsa_user_sgpr_count 2
		.amdhsa_user_sgpr_dispatch_ptr 0
		.amdhsa_user_sgpr_queue_ptr 0
		.amdhsa_user_sgpr_kernarg_segment_ptr 1
		.amdhsa_user_sgpr_dispatch_id 0
		.amdhsa_user_sgpr_kernarg_preload_length 0
		.amdhsa_user_sgpr_kernarg_preload_offset 0
		.amdhsa_user_sgpr_private_segment_size 0
		.amdhsa_uses_dynamic_stack 0
		.amdhsa_enable_private_segment 0
		.amdhsa_system_sgpr_workgroup_id_x 1
		.amdhsa_system_sgpr_workgroup_id_y 0
		.amdhsa_system_sgpr_workgroup_id_z 0
		.amdhsa_system_sgpr_workgroup_info 0
		.amdhsa_system_vgpr_workitem_id 0
		.amdhsa_next_free_vgpr 44
		.amdhsa_next_free_sgpr 14
		.amdhsa_accum_offset 44
		.amdhsa_reserve_vcc 1
		.amdhsa_float_round_mode_32 0
		.amdhsa_float_round_mode_16_64 0
		.amdhsa_float_denorm_mode_32 3
		.amdhsa_float_denorm_mode_16_64 3
		.amdhsa_dx10_clamp 1
		.amdhsa_ieee_mode 1
		.amdhsa_fp16_overflow 0
		.amdhsa_tg_split 0
		.amdhsa_exception_fp_ieee_invalid_op 0
		.amdhsa_exception_fp_denorm_src 0
		.amdhsa_exception_fp_ieee_div_zero 0
		.amdhsa_exception_fp_ieee_overflow 0
		.amdhsa_exception_fp_ieee_underflow 0
		.amdhsa_exception_fp_ieee_inexact 0
		.amdhsa_exception_int_div_zero 0
	.end_amdhsa_kernel
	.section	.text._Z14LLGemm1_kernelIN3c108BFloat16ELi8EEvPKT_S4_PS2_i,"axG",@progbits,_Z14LLGemm1_kernelIN3c108BFloat16ELi8EEvPKT_S4_PS2_i,comdat
.Lfunc_end6:
	.size	_Z14LLGemm1_kernelIN3c108BFloat16ELi8EEvPKT_S4_PS2_i, .Lfunc_end6-_Z14LLGemm1_kernelIN3c108BFloat16ELi8EEvPKT_S4_PS2_i
                                        ; -- End function
	.section	.AMDGPU.csdata,"",@progbits
; Kernel info:
; codeLenInByte = 8784
; NumSgprs: 20
; NumVgprs: 44
; NumAgprs: 0
; TotalNumVgprs: 44
; ScratchSize: 0
; MemoryBound: 0
; FloatMode: 240
; IeeeMode: 1
; LDSByteSize: 2048 bytes/workgroup (compile time only)
; SGPRBlocks: 2
; VGPRBlocks: 5
; NumSGPRsForWavesPerEU: 20
; NumVGPRsForWavesPerEU: 44
; AccumOffset: 44
; Occupancy: 8
; WaveLimiterHint : 0
; COMPUTE_PGM_RSRC2:SCRATCH_EN: 0
; COMPUTE_PGM_RSRC2:USER_SGPR: 2
; COMPUTE_PGM_RSRC2:TRAP_HANDLER: 0
; COMPUTE_PGM_RSRC2:TGID_X_EN: 1
; COMPUTE_PGM_RSRC2:TGID_Y_EN: 0
; COMPUTE_PGM_RSRC2:TGID_Z_EN: 0
; COMPUTE_PGM_RSRC2:TIDIG_COMP_CNT: 0
; COMPUTE_PGM_RSRC3_GFX90A:ACCUM_OFFSET: 10
; COMPUTE_PGM_RSRC3_GFX90A:TG_SPLIT: 0
	.section	.text._Z14LLGemm1_kernelIN3c108BFloat16ELi16EEvPKT_S4_PS2_i,"axG",@progbits,_Z14LLGemm1_kernelIN3c108BFloat16ELi16EEvPKT_S4_PS2_i,comdat
	.protected	_Z14LLGemm1_kernelIN3c108BFloat16ELi16EEvPKT_S4_PS2_i ; -- Begin function _Z14LLGemm1_kernelIN3c108BFloat16ELi16EEvPKT_S4_PS2_i
	.globl	_Z14LLGemm1_kernelIN3c108BFloat16ELi16EEvPKT_S4_PS2_i
	.p2align	8
	.type	_Z14LLGemm1_kernelIN3c108BFloat16ELi16EEvPKT_S4_PS2_i,@function
_Z14LLGemm1_kernelIN3c108BFloat16ELi16EEvPKT_S4_PS2_i: ; @_Z14LLGemm1_kernelIN3c108BFloat16ELi16EEvPKT_S4_PS2_i
; %bb.0:
	s_load_dword s3, s[0:1], 0x18
	s_load_dwordx4 s[4:7], s[0:1], 0x0
	s_load_dwordx2 s[8:9], s[0:1], 0x10
	v_lshlrev_b32_e32 v1, 3, v0
	s_mov_b32 s13, 0
	s_waitcnt lgkmcnt(0)
	v_cmp_gt_i32_e32 vcc, s3, v1
	v_mov_b32_e32 v1, 0
	v_mov_b32_e32 v66, 0
	;; [unrolled: 1-line block ×8, first 2 shown]
                                        ; implicit-def: $vgpr2
                                        ; implicit-def: $vgpr6
                                        ; implicit-def: $vgpr10
                                        ; implicit-def: $vgpr14
                                        ; implicit-def: $vgpr18
                                        ; implicit-def: $vgpr22
                                        ; implicit-def: $vgpr26
                                        ; implicit-def: $vgpr30
                                        ; implicit-def: $vgpr34
                                        ; implicit-def: $vgpr38
                                        ; implicit-def: $vgpr42
                                        ; implicit-def: $vgpr46
                                        ; implicit-def: $vgpr50
                                        ; implicit-def: $vgpr54
                                        ; implicit-def: $vgpr58
                                        ; implicit-def: $vgpr62
	s_and_saveexec_b64 s[10:11], vcc
	s_cbranch_execz .LBB7_2
; %bb.1:
	v_lshlrev_b32_e32 v1, 4, v0
	global_load_dwordx4 v[72:75], v1, s[6:7]
	s_mul_i32 s6, s2, s3
	s_lshl_b32 s6, s6, 1
	s_lshr_b32 s12, s3, 3
	s_and_b32 s6, s6, 0x1ffffffe
	s_add_i32 s7, s12, s12
	v_add_u32_e32 v2, s6, v0
	v_add_u32_e32 v4, s7, v2
	;; [unrolled: 1-line block ×4, first 2 shown]
	v_mov_b32_e32 v3, 0
	v_add_u32_e32 v10, s12, v8
	s_and_b32 s3, s3, -8
	v_mov_b32_e32 v5, v3
	v_mov_b32_e32 v7, v3
	;; [unrolled: 1-line block ×3, first 2 shown]
	v_lshl_add_u64 v[16:17], v[2:3], 4, s[4:5]
	v_add_u32_e32 v12, s12, v10
	v_mov_b32_e32 v11, v3
	v_mov_b32_e32 v13, v3
	v_add_u32_e32 v2, s3, v2
	v_lshl_add_u64 v[18:19], s[12:13], 4, v[16:17]
	v_lshl_add_u64 v[20:21], v[4:5], 4, s[4:5]
	global_load_dwordx4 v[62:65], v[16:17], off nt
	global_load_dwordx4 v[58:61], v[18:19], off nt
	v_lshl_add_u64 v[16:17], v[6:7], 4, s[4:5]
	v_lshl_add_u64 v[6:7], v[8:9], 4, s[4:5]
	v_add_u32_e32 v14, s12, v12
	v_mov_b32_e32 v15, v3
	v_lshl_add_u64 v[4:5], v[2:3], 4, s[4:5]
	global_load_dwordx4 v[54:57], v[20:21], off nt
	global_load_dwordx4 v[50:53], v[16:17], off nt
	v_lshl_add_u64 v[8:9], v[10:11], 4, s[4:5]
	global_load_dwordx4 v[46:49], v[6:7], off nt
	global_load_dwordx4 v[42:45], v[8:9], off nt
	v_lshl_add_u64 v[6:7], v[12:13], 4, s[4:5]
	v_lshl_add_u32 v2, s12, 1, v14
	v_lshl_add_u64 v[8:9], v[14:15], 4, s[4:5]
	global_load_dwordx4 v[38:41], v[6:7], off nt
	global_load_dwordx4 v[34:37], v[8:9], off nt
	v_lshl_add_u64 v[6:7], v[2:3], 4, s[4:5]
	v_add_u32_e32 v2, s12, v2
	v_lshl_add_u64 v[8:9], v[2:3], 4, s[4:5]
	v_add_u32_e32 v2, s12, v2
	global_load_dwordx4 v[30:33], v[4:5], off nt
	global_load_dwordx4 v[26:29], v[6:7], off nt
	v_lshl_add_u64 v[4:5], v[2:3], 4, s[4:5]
	v_add_u32_e32 v2, s12, v2
	v_lshl_add_u64 v[6:7], v[2:3], 4, s[4:5]
	v_add_u32_e32 v2, s12, v2
	;; [unrolled: 2-line block ×4, first 2 shown]
	v_lshl_add_u64 v[2:3], v[2:3], 4, s[4:5]
	global_load_dwordx4 v[22:25], v[8:9], off nt
	global_load_dwordx4 v[18:21], v[4:5], off nt
	;; [unrolled: 1-line block ×3, first 2 shown]
	s_nop 0
	global_load_dwordx4 v[10:13], v[10:11], off nt
	s_nop 0
	global_load_dwordx4 v[6:9], v[66:67], off nt
	;; [unrolled: 2-line block ×3, first 2 shown]
	s_waitcnt vmcnt(16)
	v_and_b32_e32 v71, 0xffff0000, v72
	v_lshlrev_b32_e32 v72, 16, v72
	v_and_b32_e32 v69, 0xffff0000, v73
	v_lshlrev_b32_e32 v70, 16, v73
	;; [unrolled: 2-line block ×4, first 2 shown]
.LBB7_2:
	s_or_b64 exec, exec, s[10:11]
	s_waitcnt vmcnt(15)
	v_lshlrev_b32_e32 v73, 16, v62
	v_mul_f32_e32 v74, v72, v73
	s_mov_b32 s3, 0x7f800000
	v_and_b32_e32 v73, 0x7f800000, v74
	v_cmp_ne_u32_e64 s[4:5], s3, v73
                                        ; implicit-def: $vgpr73
	s_and_saveexec_b64 s[6:7], s[4:5]
	s_xor_b64 s[4:5], exec, s[6:7]
; %bb.3:
	v_bfe_u32 v73, v74, 16, 1
	s_movk_i32 s3, 0x7fff
	v_add3_u32 v73, v74, v73, s3
                                        ; implicit-def: $vgpr74
; %bb.4:
	s_andn2_saveexec_b64 s[6:7], s[4:5]
; %bb.5:
	v_mov_b32_e32 v73, 0
	v_or_b32_e32 v75, 0x10000, v74
	v_cmp_eq_u32_sdwa s[4:5], v74, v73 src0_sel:WORD_0 src1_sel:DWORD
	s_nop 1
	v_cndmask_b32_e64 v73, v75, v74, s[4:5]
; %bb.6:
	s_or_b64 exec, exec, s[6:7]
	v_and_b32_e32 v62, 0xffff0000, v62
	v_mul_f32_e32 v74, v71, v62
	s_mov_b32 s3, 0x7f800000
	v_and_b32_e32 v62, 0x7f800000, v74
	v_cmp_ne_u32_e64 s[4:5], s3, v62
                                        ; implicit-def: $vgpr62
	s_and_saveexec_b64 s[6:7], s[4:5]
	s_xor_b64 s[4:5], exec, s[6:7]
; %bb.7:
	v_bfe_u32 v62, v74, 16, 1
	s_movk_i32 s3, 0x7fff
	v_add3_u32 v62, v74, v62, s3
                                        ; implicit-def: $vgpr74
; %bb.8:
	s_andn2_saveexec_b64 s[6:7], s[4:5]
; %bb.9:
	v_mov_b32_e32 v62, 0
	v_or_b32_e32 v75, 0x10000, v74
	v_cmp_eq_u32_sdwa s[4:5], v74, v62 src0_sel:WORD_0 src1_sel:DWORD
	s_nop 1
	v_cndmask_b32_e64 v62, v75, v74, s[4:5]
; %bb.10:
	s_or_b64 exec, exec, s[6:7]
	v_and_b32_e32 v74, 0xffff0000, v73
	v_lshlrev_b32_e32 v73, 16, v63
	v_fmac_f32_e32 v74, v73, v70
	s_mov_b32 s3, 0x7f800000
	v_and_b32_e32 v73, 0x7f800000, v74
	v_cmp_ne_u32_e64 s[4:5], s3, v73
                                        ; implicit-def: $vgpr73
	s_and_saveexec_b64 s[6:7], s[4:5]
	s_xor_b64 s[4:5], exec, s[6:7]
; %bb.11:
	v_bfe_u32 v73, v74, 16, 1
	s_movk_i32 s3, 0x7fff
	v_add3_u32 v73, v74, v73, s3
                                        ; implicit-def: $vgpr74
; %bb.12:
	s_andn2_saveexec_b64 s[6:7], s[4:5]
; %bb.13:
	v_mov_b32_e32 v73, 0
	v_or_b32_e32 v75, 0x10000, v74
	v_cmp_eq_u32_sdwa s[4:5], v74, v73 src0_sel:WORD_0 src1_sel:DWORD
	s_nop 1
	v_cndmask_b32_e64 v73, v75, v74, s[4:5]
; %bb.14:
	s_or_b64 exec, exec, s[6:7]
	v_and_b32_e32 v74, 0xffff0000, v62
	v_and_b32_e32 v62, 0xffff0000, v63
	v_fmac_f32_e32 v74, v62, v69
	s_mov_b32 s3, 0x7f800000
	v_and_b32_e32 v62, 0x7f800000, v74
	v_cmp_ne_u32_e64 s[4:5], s3, v62
                                        ; implicit-def: $vgpr62
	s_and_saveexec_b64 s[6:7], s[4:5]
	s_xor_b64 s[4:5], exec, s[6:7]
; %bb.15:
	v_bfe_u32 v62, v74, 16, 1
	s_movk_i32 s3, 0x7fff
	v_add3_u32 v62, v74, v62, s3
                                        ; implicit-def: $vgpr74
; %bb.16:
	s_andn2_saveexec_b64 s[6:7], s[4:5]
; %bb.17:
	v_mov_b32_e32 v62, 0
	v_or_b32_e32 v63, 0x10000, v74
	v_cmp_eq_u32_sdwa s[4:5], v74, v62 src0_sel:WORD_0 src1_sel:DWORD
	s_nop 1
	v_cndmask_b32_e64 v62, v63, v74, s[4:5]
; %bb.18:
	s_or_b64 exec, exec, s[6:7]
	v_and_b32_e32 v73, 0xffff0000, v73
	v_lshlrev_b32_e32 v63, 16, v64
	v_fmac_f32_e32 v73, v63, v68
	s_mov_b32 s3, 0x7f800000
	v_and_b32_e32 v63, 0x7f800000, v73
	v_cmp_ne_u32_e64 s[4:5], s3, v63
                                        ; implicit-def: $vgpr63
	s_and_saveexec_b64 s[6:7], s[4:5]
	s_xor_b64 s[4:5], exec, s[6:7]
; %bb.19:
	v_bfe_u32 v63, v73, 16, 1
	s_movk_i32 s3, 0x7fff
	v_add3_u32 v63, v73, v63, s3
                                        ; implicit-def: $vgpr73
; %bb.20:
	s_andn2_saveexec_b64 s[6:7], s[4:5]
; %bb.21:
	v_mov_b32_e32 v63, 0
	v_or_b32_e32 v74, 0x10000, v73
	v_cmp_eq_u32_sdwa s[4:5], v73, v63 src0_sel:WORD_0 src1_sel:DWORD
	s_nop 1
	v_cndmask_b32_e64 v63, v74, v73, s[4:5]
; %bb.22:
	s_or_b64 exec, exec, s[6:7]
	v_and_b32_e32 v62, 0xffff0000, v62
	v_and_b32_e32 v64, 0xffff0000, v64
	v_fmac_f32_e32 v62, v64, v67
	s_mov_b32 s3, 0x7f800000
	v_and_b32_e32 v64, 0x7f800000, v62
	v_cmp_ne_u32_e64 s[4:5], s3, v64
                                        ; implicit-def: $vgpr64
	s_and_saveexec_b64 s[6:7], s[4:5]
	s_xor_b64 s[4:5], exec, s[6:7]
; %bb.23:
	v_bfe_u32 v64, v62, 16, 1
	s_movk_i32 s3, 0x7fff
	v_add3_u32 v64, v62, v64, s3
                                        ; implicit-def: $vgpr62
; %bb.24:
	s_andn2_saveexec_b64 s[6:7], s[4:5]
; %bb.25:
	v_mov_b32_e32 v64, 0
	v_or_b32_e32 v73, 0x10000, v62
	v_cmp_eq_u32_sdwa s[4:5], v62, v64 src0_sel:WORD_0 src1_sel:DWORD
	s_nop 1
	v_cndmask_b32_e64 v64, v73, v62, s[4:5]
; %bb.26:
	s_or_b64 exec, exec, s[6:7]
	v_and_b32_e32 v63, 0xffff0000, v63
	v_lshlrev_b32_e32 v62, 16, v65
	v_fmac_f32_e32 v63, v62, v1
	s_mov_b32 s3, 0x7f800000
	v_and_b32_e32 v62, 0x7f800000, v63
	v_cmp_ne_u32_e64 s[4:5], s3, v62
                                        ; implicit-def: $vgpr62
	s_and_saveexec_b64 s[6:7], s[4:5]
	s_xor_b64 s[4:5], exec, s[6:7]
; %bb.27:
	v_bfe_u32 v62, v63, 16, 1
	s_movk_i32 s3, 0x7fff
	v_add3_u32 v62, v63, v62, s3
                                        ; implicit-def: $vgpr63
; %bb.28:
	s_andn2_saveexec_b64 s[6:7], s[4:5]
; %bb.29:
	v_mov_b32_e32 v62, 0
	v_or_b32_e32 v73, 0x10000, v63
	v_cmp_eq_u32_sdwa s[4:5], v63, v62 src0_sel:WORD_0 src1_sel:DWORD
	s_nop 1
	v_cndmask_b32_e64 v62, v73, v63, s[4:5]
; %bb.30:
	s_or_b64 exec, exec, s[6:7]
	v_and_b32_e32 v64, 0xffff0000, v64
	v_and_b32_e32 v63, 0xffff0000, v65
	v_fmac_f32_e32 v64, v63, v66
	s_mov_b32 s3, 0x7f800000
	v_and_b32_e32 v63, 0x7f800000, v64
	v_cmp_ne_u32_e64 s[4:5], s3, v63
                                        ; implicit-def: $vgpr63
	s_and_saveexec_b64 s[6:7], s[4:5]
	s_xor_b64 s[4:5], exec, s[6:7]
; %bb.31:
	v_bfe_u32 v63, v64, 16, 1
	s_movk_i32 s3, 0x7fff
	v_add3_u32 v63, v64, v63, s3
                                        ; implicit-def: $vgpr64
; %bb.32:
	s_andn2_saveexec_b64 s[6:7], s[4:5]
; %bb.33:
	v_mov_b32_e32 v63, 0
	v_or_b32_e32 v65, 0x10000, v64
	v_cmp_eq_u32_sdwa s[4:5], v64, v63 src0_sel:WORD_0 src1_sel:DWORD
	s_nop 1
	v_cndmask_b32_e64 v63, v65, v64, s[4:5]
; %bb.34:
	s_or_b64 exec, exec, s[6:7]
	s_waitcnt vmcnt(14)
	v_lshlrev_b32_e32 v64, 16, v58
	v_mul_f32_e32 v65, v72, v64
	s_mov_b32 s3, 0x7f800000
	v_and_b32_e32 v64, 0x7f800000, v65
	v_cmp_ne_u32_e64 s[4:5], s3, v64
                                        ; implicit-def: $vgpr64
	s_and_saveexec_b64 s[6:7], s[4:5]
	s_xor_b64 s[4:5], exec, s[6:7]
; %bb.35:
	v_bfe_u32 v64, v65, 16, 1
	s_movk_i32 s3, 0x7fff
	v_add3_u32 v64, v65, v64, s3
                                        ; implicit-def: $vgpr65
; %bb.36:
	s_andn2_saveexec_b64 s[6:7], s[4:5]
; %bb.37:
	v_mov_b32_e32 v64, 0
	v_or_b32_e32 v73, 0x10000, v65
	v_cmp_eq_u32_sdwa s[4:5], v65, v64 src0_sel:WORD_0 src1_sel:DWORD
	s_nop 1
	v_cndmask_b32_e64 v64, v73, v65, s[4:5]
; %bb.38:
	s_or_b64 exec, exec, s[6:7]
	v_and_b32_e32 v58, 0xffff0000, v58
	v_mul_f32_e32 v65, v71, v58
	s_mov_b32 s3, 0x7f800000
	v_and_b32_e32 v58, 0x7f800000, v65
	v_cmp_ne_u32_e64 s[4:5], s3, v58
                                        ; implicit-def: $vgpr58
	s_and_saveexec_b64 s[6:7], s[4:5]
	s_xor_b64 s[4:5], exec, s[6:7]
; %bb.39:
	v_bfe_u32 v58, v65, 16, 1
	s_movk_i32 s3, 0x7fff
	v_add3_u32 v58, v65, v58, s3
                                        ; implicit-def: $vgpr65
; %bb.40:
	s_andn2_saveexec_b64 s[6:7], s[4:5]
; %bb.41:
	v_mov_b32_e32 v58, 0
	v_or_b32_e32 v73, 0x10000, v65
	v_cmp_eq_u32_sdwa s[4:5], v65, v58 src0_sel:WORD_0 src1_sel:DWORD
	s_nop 1
	v_cndmask_b32_e64 v58, v73, v65, s[4:5]
; %bb.42:
	s_or_b64 exec, exec, s[6:7]
	v_and_b32_e32 v65, 0xffff0000, v64
	v_lshlrev_b32_e32 v64, 16, v59
	v_fmac_f32_e32 v65, v64, v70
	s_mov_b32 s3, 0x7f800000
	v_and_b32_e32 v64, 0x7f800000, v65
	v_cmp_ne_u32_e64 s[4:5], s3, v64
                                        ; implicit-def: $vgpr64
	s_and_saveexec_b64 s[6:7], s[4:5]
	s_xor_b64 s[4:5], exec, s[6:7]
; %bb.43:
	v_bfe_u32 v64, v65, 16, 1
	s_movk_i32 s3, 0x7fff
	v_add3_u32 v64, v65, v64, s3
                                        ; implicit-def: $vgpr65
; %bb.44:
	s_andn2_saveexec_b64 s[6:7], s[4:5]
; %bb.45:
	v_mov_b32_e32 v64, 0
	v_or_b32_e32 v73, 0x10000, v65
	v_cmp_eq_u32_sdwa s[4:5], v65, v64 src0_sel:WORD_0 src1_sel:DWORD
	s_nop 1
	v_cndmask_b32_e64 v64, v73, v65, s[4:5]
; %bb.46:
	s_or_b64 exec, exec, s[6:7]
	v_and_b32_e32 v65, 0xffff0000, v58
	v_and_b32_e32 v58, 0xffff0000, v59
	v_fmac_f32_e32 v65, v58, v69
	s_mov_b32 s3, 0x7f800000
	v_and_b32_e32 v58, 0x7f800000, v65
	v_cmp_ne_u32_e64 s[4:5], s3, v58
                                        ; implicit-def: $vgpr58
	s_and_saveexec_b64 s[6:7], s[4:5]
	s_xor_b64 s[4:5], exec, s[6:7]
; %bb.47:
	v_bfe_u32 v58, v65, 16, 1
	s_movk_i32 s3, 0x7fff
	v_add3_u32 v58, v65, v58, s3
                                        ; implicit-def: $vgpr65
; %bb.48:
	s_andn2_saveexec_b64 s[6:7], s[4:5]
; %bb.49:
	v_mov_b32_e32 v58, 0
	v_or_b32_e32 v59, 0x10000, v65
	v_cmp_eq_u32_sdwa s[4:5], v65, v58 src0_sel:WORD_0 src1_sel:DWORD
	s_nop 1
	v_cndmask_b32_e64 v58, v59, v65, s[4:5]
; %bb.50:
	s_or_b64 exec, exec, s[6:7]
	v_and_b32_e32 v64, 0xffff0000, v64
	v_lshlrev_b32_e32 v59, 16, v60
	v_fmac_f32_e32 v64, v59, v68
	s_mov_b32 s3, 0x7f800000
	v_and_b32_e32 v59, 0x7f800000, v64
	v_cmp_ne_u32_e64 s[4:5], s3, v59
                                        ; implicit-def: $vgpr59
	s_and_saveexec_b64 s[6:7], s[4:5]
	s_xor_b64 s[4:5], exec, s[6:7]
; %bb.51:
	v_bfe_u32 v59, v64, 16, 1
	s_movk_i32 s3, 0x7fff
	v_add3_u32 v59, v64, v59, s3
                                        ; implicit-def: $vgpr64
; %bb.52:
	s_andn2_saveexec_b64 s[6:7], s[4:5]
; %bb.53:
	v_mov_b32_e32 v59, 0
	v_or_b32_e32 v65, 0x10000, v64
	v_cmp_eq_u32_sdwa s[4:5], v64, v59 src0_sel:WORD_0 src1_sel:DWORD
	s_nop 1
	v_cndmask_b32_e64 v59, v65, v64, s[4:5]
; %bb.54:
	s_or_b64 exec, exec, s[6:7]
	v_and_b32_e32 v58, 0xffff0000, v58
	v_and_b32_e32 v60, 0xffff0000, v60
	v_fmac_f32_e32 v58, v60, v67
	s_mov_b32 s3, 0x7f800000
	v_and_b32_e32 v60, 0x7f800000, v58
	v_cmp_ne_u32_e64 s[4:5], s3, v60
                                        ; implicit-def: $vgpr60
	s_and_saveexec_b64 s[6:7], s[4:5]
	s_xor_b64 s[4:5], exec, s[6:7]
; %bb.55:
	v_bfe_u32 v60, v58, 16, 1
	s_movk_i32 s3, 0x7fff
	v_add3_u32 v60, v58, v60, s3
                                        ; implicit-def: $vgpr58
; %bb.56:
	s_andn2_saveexec_b64 s[6:7], s[4:5]
; %bb.57:
	v_mov_b32_e32 v60, 0
	v_or_b32_e32 v64, 0x10000, v58
	v_cmp_eq_u32_sdwa s[4:5], v58, v60 src0_sel:WORD_0 src1_sel:DWORD
	s_nop 1
	v_cndmask_b32_e64 v60, v64, v58, s[4:5]
; %bb.58:
	s_or_b64 exec, exec, s[6:7]
	v_and_b32_e32 v59, 0xffff0000, v59
	v_lshlrev_b32_e32 v58, 16, v61
	v_fmac_f32_e32 v59, v58, v1
	s_mov_b32 s3, 0x7f800000
	v_and_b32_e32 v58, 0x7f800000, v59
	v_cmp_ne_u32_e64 s[4:5], s3, v58
                                        ; implicit-def: $vgpr58
	s_and_saveexec_b64 s[6:7], s[4:5]
	s_xor_b64 s[4:5], exec, s[6:7]
; %bb.59:
	v_bfe_u32 v58, v59, 16, 1
	s_movk_i32 s3, 0x7fff
	v_add3_u32 v58, v59, v58, s3
                                        ; implicit-def: $vgpr59
; %bb.60:
	s_andn2_saveexec_b64 s[6:7], s[4:5]
; %bb.61:
	v_mov_b32_e32 v58, 0
	v_or_b32_e32 v64, 0x10000, v59
	v_cmp_eq_u32_sdwa s[4:5], v59, v58 src0_sel:WORD_0 src1_sel:DWORD
	s_nop 1
	v_cndmask_b32_e64 v58, v64, v59, s[4:5]
; %bb.62:
	s_or_b64 exec, exec, s[6:7]
	v_and_b32_e32 v60, 0xffff0000, v60
	v_and_b32_e32 v59, 0xffff0000, v61
	v_fmac_f32_e32 v60, v59, v66
	s_mov_b32 s3, 0x7f800000
	v_and_b32_e32 v59, 0x7f800000, v60
	v_cmp_ne_u32_e64 s[4:5], s3, v59
                                        ; implicit-def: $vgpr59
	s_and_saveexec_b64 s[6:7], s[4:5]
	s_xor_b64 s[4:5], exec, s[6:7]
; %bb.63:
	v_bfe_u32 v59, v60, 16, 1
	s_movk_i32 s3, 0x7fff
	v_add3_u32 v59, v60, v59, s3
                                        ; implicit-def: $vgpr60
; %bb.64:
	s_andn2_saveexec_b64 s[6:7], s[4:5]
; %bb.65:
	v_mov_b32_e32 v59, 0
	v_or_b32_e32 v61, 0x10000, v60
	v_cmp_eq_u32_sdwa s[4:5], v60, v59 src0_sel:WORD_0 src1_sel:DWORD
	s_nop 1
	v_cndmask_b32_e64 v59, v61, v60, s[4:5]
; %bb.66:
	s_or_b64 exec, exec, s[6:7]
	s_waitcnt vmcnt(13)
	v_lshlrev_b32_e32 v60, 16, v54
	v_mul_f32_e32 v61, v72, v60
	s_mov_b32 s3, 0x7f800000
	v_and_b32_e32 v60, 0x7f800000, v61
	v_cmp_ne_u32_e64 s[4:5], s3, v60
                                        ; implicit-def: $vgpr60
	s_and_saveexec_b64 s[6:7], s[4:5]
	s_xor_b64 s[4:5], exec, s[6:7]
; %bb.67:
	v_bfe_u32 v60, v61, 16, 1
	s_movk_i32 s3, 0x7fff
	v_add3_u32 v60, v61, v60, s3
                                        ; implicit-def: $vgpr61
; %bb.68:
	s_andn2_saveexec_b64 s[6:7], s[4:5]
; %bb.69:
	v_mov_b32_e32 v60, 0
	v_or_b32_e32 v64, 0x10000, v61
	v_cmp_eq_u32_sdwa s[4:5], v61, v60 src0_sel:WORD_0 src1_sel:DWORD
	s_nop 1
	v_cndmask_b32_e64 v60, v64, v61, s[4:5]
; %bb.70:
	s_or_b64 exec, exec, s[6:7]
	v_and_b32_e32 v54, 0xffff0000, v54
	v_mul_f32_e32 v61, v71, v54
	s_mov_b32 s3, 0x7f800000
	v_and_b32_e32 v54, 0x7f800000, v61
	v_cmp_ne_u32_e64 s[4:5], s3, v54
                                        ; implicit-def: $vgpr54
	s_and_saveexec_b64 s[6:7], s[4:5]
	s_xor_b64 s[4:5], exec, s[6:7]
; %bb.71:
	v_bfe_u32 v54, v61, 16, 1
	s_movk_i32 s3, 0x7fff
	v_add3_u32 v54, v61, v54, s3
                                        ; implicit-def: $vgpr61
; %bb.72:
	s_andn2_saveexec_b64 s[6:7], s[4:5]
; %bb.73:
	v_mov_b32_e32 v54, 0
	v_or_b32_e32 v64, 0x10000, v61
	v_cmp_eq_u32_sdwa s[4:5], v61, v54 src0_sel:WORD_0 src1_sel:DWORD
	s_nop 1
	v_cndmask_b32_e64 v54, v64, v61, s[4:5]
; %bb.74:
	s_or_b64 exec, exec, s[6:7]
	v_and_b32_e32 v61, 0xffff0000, v60
	v_lshlrev_b32_e32 v60, 16, v55
	v_fmac_f32_e32 v61, v60, v70
	s_mov_b32 s3, 0x7f800000
	v_and_b32_e32 v60, 0x7f800000, v61
	v_cmp_ne_u32_e64 s[4:5], s3, v60
                                        ; implicit-def: $vgpr60
	s_and_saveexec_b64 s[6:7], s[4:5]
	s_xor_b64 s[4:5], exec, s[6:7]
; %bb.75:
	v_bfe_u32 v60, v61, 16, 1
	s_movk_i32 s3, 0x7fff
	v_add3_u32 v60, v61, v60, s3
                                        ; implicit-def: $vgpr61
; %bb.76:
	s_andn2_saveexec_b64 s[6:7], s[4:5]
; %bb.77:
	v_mov_b32_e32 v60, 0
	v_or_b32_e32 v64, 0x10000, v61
	v_cmp_eq_u32_sdwa s[4:5], v61, v60 src0_sel:WORD_0 src1_sel:DWORD
	s_nop 1
	v_cndmask_b32_e64 v60, v64, v61, s[4:5]
; %bb.78:
	s_or_b64 exec, exec, s[6:7]
	v_and_b32_e32 v61, 0xffff0000, v54
	v_and_b32_e32 v54, 0xffff0000, v55
	v_fmac_f32_e32 v61, v54, v69
	s_mov_b32 s3, 0x7f800000
	v_and_b32_e32 v54, 0x7f800000, v61
	v_cmp_ne_u32_e64 s[4:5], s3, v54
                                        ; implicit-def: $vgpr54
	s_and_saveexec_b64 s[6:7], s[4:5]
	s_xor_b64 s[4:5], exec, s[6:7]
; %bb.79:
	v_bfe_u32 v54, v61, 16, 1
	s_movk_i32 s3, 0x7fff
	v_add3_u32 v54, v61, v54, s3
                                        ; implicit-def: $vgpr61
; %bb.80:
	s_andn2_saveexec_b64 s[6:7], s[4:5]
; %bb.81:
	v_mov_b32_e32 v54, 0
	v_or_b32_e32 v55, 0x10000, v61
	v_cmp_eq_u32_sdwa s[4:5], v61, v54 src0_sel:WORD_0 src1_sel:DWORD
	s_nop 1
	v_cndmask_b32_e64 v54, v55, v61, s[4:5]
; %bb.82:
	s_or_b64 exec, exec, s[6:7]
	v_and_b32_e32 v60, 0xffff0000, v60
	v_lshlrev_b32_e32 v55, 16, v56
	v_fmac_f32_e32 v60, v55, v68
	s_mov_b32 s3, 0x7f800000
	v_and_b32_e32 v55, 0x7f800000, v60
	v_cmp_ne_u32_e64 s[4:5], s3, v55
                                        ; implicit-def: $vgpr55
	s_and_saveexec_b64 s[6:7], s[4:5]
	s_xor_b64 s[4:5], exec, s[6:7]
; %bb.83:
	v_bfe_u32 v55, v60, 16, 1
	s_movk_i32 s3, 0x7fff
	v_add3_u32 v55, v60, v55, s3
                                        ; implicit-def: $vgpr60
; %bb.84:
	s_andn2_saveexec_b64 s[6:7], s[4:5]
; %bb.85:
	v_mov_b32_e32 v55, 0
	v_or_b32_e32 v61, 0x10000, v60
	v_cmp_eq_u32_sdwa s[4:5], v60, v55 src0_sel:WORD_0 src1_sel:DWORD
	s_nop 1
	v_cndmask_b32_e64 v55, v61, v60, s[4:5]
; %bb.86:
	s_or_b64 exec, exec, s[6:7]
	v_and_b32_e32 v54, 0xffff0000, v54
	v_and_b32_e32 v56, 0xffff0000, v56
	v_fmac_f32_e32 v54, v56, v67
	s_mov_b32 s3, 0x7f800000
	v_and_b32_e32 v56, 0x7f800000, v54
	v_cmp_ne_u32_e64 s[4:5], s3, v56
                                        ; implicit-def: $vgpr56
	s_and_saveexec_b64 s[6:7], s[4:5]
	s_xor_b64 s[4:5], exec, s[6:7]
; %bb.87:
	v_bfe_u32 v56, v54, 16, 1
	s_movk_i32 s3, 0x7fff
	v_add3_u32 v56, v54, v56, s3
                                        ; implicit-def: $vgpr54
; %bb.88:
	s_andn2_saveexec_b64 s[6:7], s[4:5]
; %bb.89:
	v_mov_b32_e32 v56, 0
	v_or_b32_e32 v60, 0x10000, v54
	v_cmp_eq_u32_sdwa s[4:5], v54, v56 src0_sel:WORD_0 src1_sel:DWORD
	s_nop 1
	v_cndmask_b32_e64 v56, v60, v54, s[4:5]
; %bb.90:
	s_or_b64 exec, exec, s[6:7]
	v_and_b32_e32 v55, 0xffff0000, v55
	v_lshlrev_b32_e32 v54, 16, v57
	v_fmac_f32_e32 v55, v54, v1
	s_mov_b32 s3, 0x7f800000
	v_and_b32_e32 v54, 0x7f800000, v55
	v_cmp_ne_u32_e64 s[4:5], s3, v54
                                        ; implicit-def: $vgpr54
	s_and_saveexec_b64 s[6:7], s[4:5]
	s_xor_b64 s[4:5], exec, s[6:7]
; %bb.91:
	v_bfe_u32 v54, v55, 16, 1
	s_movk_i32 s3, 0x7fff
	v_add3_u32 v54, v55, v54, s3
                                        ; implicit-def: $vgpr55
; %bb.92:
	s_andn2_saveexec_b64 s[6:7], s[4:5]
; %bb.93:
	v_mov_b32_e32 v54, 0
	v_or_b32_e32 v60, 0x10000, v55
	v_cmp_eq_u32_sdwa s[4:5], v55, v54 src0_sel:WORD_0 src1_sel:DWORD
	s_nop 1
	v_cndmask_b32_e64 v54, v60, v55, s[4:5]
; %bb.94:
	s_or_b64 exec, exec, s[6:7]
	v_and_b32_e32 v56, 0xffff0000, v56
	v_and_b32_e32 v55, 0xffff0000, v57
	v_fmac_f32_e32 v56, v55, v66
	s_mov_b32 s3, 0x7f800000
	v_and_b32_e32 v55, 0x7f800000, v56
	v_cmp_ne_u32_e64 s[4:5], s3, v55
                                        ; implicit-def: $vgpr55
	s_and_saveexec_b64 s[6:7], s[4:5]
	s_xor_b64 s[4:5], exec, s[6:7]
; %bb.95:
	v_bfe_u32 v55, v56, 16, 1
	s_movk_i32 s3, 0x7fff
	v_add3_u32 v55, v56, v55, s3
                                        ; implicit-def: $vgpr56
; %bb.96:
	s_andn2_saveexec_b64 s[6:7], s[4:5]
; %bb.97:
	v_mov_b32_e32 v55, 0
	v_or_b32_e32 v57, 0x10000, v56
	v_cmp_eq_u32_sdwa s[4:5], v56, v55 src0_sel:WORD_0 src1_sel:DWORD
	s_nop 1
	v_cndmask_b32_e64 v55, v57, v56, s[4:5]
; %bb.98:
	s_or_b64 exec, exec, s[6:7]
	s_waitcnt vmcnt(12)
	v_lshlrev_b32_e32 v56, 16, v50
	v_mul_f32_e32 v57, v72, v56
	s_mov_b32 s3, 0x7f800000
	v_and_b32_e32 v56, 0x7f800000, v57
	v_cmp_ne_u32_e64 s[4:5], s3, v56
                                        ; implicit-def: $vgpr56
	s_and_saveexec_b64 s[6:7], s[4:5]
	s_xor_b64 s[4:5], exec, s[6:7]
; %bb.99:
	v_bfe_u32 v56, v57, 16, 1
	s_movk_i32 s3, 0x7fff
	v_add3_u32 v56, v57, v56, s3
                                        ; implicit-def: $vgpr57
; %bb.100:
	s_andn2_saveexec_b64 s[6:7], s[4:5]
; %bb.101:
	v_mov_b32_e32 v56, 0
	v_or_b32_e32 v60, 0x10000, v57
	v_cmp_eq_u32_sdwa s[4:5], v57, v56 src0_sel:WORD_0 src1_sel:DWORD
	s_nop 1
	v_cndmask_b32_e64 v56, v60, v57, s[4:5]
; %bb.102:
	s_or_b64 exec, exec, s[6:7]
	v_and_b32_e32 v50, 0xffff0000, v50
	v_mul_f32_e32 v57, v71, v50
	s_mov_b32 s3, 0x7f800000
	v_and_b32_e32 v50, 0x7f800000, v57
	v_cmp_ne_u32_e64 s[4:5], s3, v50
                                        ; implicit-def: $vgpr50
	s_and_saveexec_b64 s[6:7], s[4:5]
	s_xor_b64 s[4:5], exec, s[6:7]
; %bb.103:
	v_bfe_u32 v50, v57, 16, 1
	s_movk_i32 s3, 0x7fff
	v_add3_u32 v50, v57, v50, s3
                                        ; implicit-def: $vgpr57
; %bb.104:
	s_andn2_saveexec_b64 s[6:7], s[4:5]
; %bb.105:
	v_mov_b32_e32 v50, 0
	v_or_b32_e32 v60, 0x10000, v57
	v_cmp_eq_u32_sdwa s[4:5], v57, v50 src0_sel:WORD_0 src1_sel:DWORD
	s_nop 1
	v_cndmask_b32_e64 v50, v60, v57, s[4:5]
; %bb.106:
	s_or_b64 exec, exec, s[6:7]
	v_and_b32_e32 v57, 0xffff0000, v56
	v_lshlrev_b32_e32 v56, 16, v51
	v_fmac_f32_e32 v57, v56, v70
	s_mov_b32 s3, 0x7f800000
	v_and_b32_e32 v56, 0x7f800000, v57
	v_cmp_ne_u32_e64 s[4:5], s3, v56
                                        ; implicit-def: $vgpr56
	s_and_saveexec_b64 s[6:7], s[4:5]
	s_xor_b64 s[4:5], exec, s[6:7]
; %bb.107:
	v_bfe_u32 v56, v57, 16, 1
	s_movk_i32 s3, 0x7fff
	v_add3_u32 v56, v57, v56, s3
                                        ; implicit-def: $vgpr57
; %bb.108:
	s_andn2_saveexec_b64 s[6:7], s[4:5]
; %bb.109:
	v_mov_b32_e32 v56, 0
	v_or_b32_e32 v60, 0x10000, v57
	v_cmp_eq_u32_sdwa s[4:5], v57, v56 src0_sel:WORD_0 src1_sel:DWORD
	s_nop 1
	v_cndmask_b32_e64 v56, v60, v57, s[4:5]
; %bb.110:
	s_or_b64 exec, exec, s[6:7]
	v_and_b32_e32 v57, 0xffff0000, v50
	v_and_b32_e32 v50, 0xffff0000, v51
	v_fmac_f32_e32 v57, v50, v69
	s_mov_b32 s3, 0x7f800000
	v_and_b32_e32 v50, 0x7f800000, v57
	v_cmp_ne_u32_e64 s[4:5], s3, v50
                                        ; implicit-def: $vgpr50
	s_and_saveexec_b64 s[6:7], s[4:5]
	s_xor_b64 s[4:5], exec, s[6:7]
; %bb.111:
	v_bfe_u32 v50, v57, 16, 1
	s_movk_i32 s3, 0x7fff
	v_add3_u32 v50, v57, v50, s3
                                        ; implicit-def: $vgpr57
; %bb.112:
	s_andn2_saveexec_b64 s[6:7], s[4:5]
; %bb.113:
	v_mov_b32_e32 v50, 0
	v_or_b32_e32 v51, 0x10000, v57
	v_cmp_eq_u32_sdwa s[4:5], v57, v50 src0_sel:WORD_0 src1_sel:DWORD
	s_nop 1
	v_cndmask_b32_e64 v50, v51, v57, s[4:5]
; %bb.114:
	s_or_b64 exec, exec, s[6:7]
	v_and_b32_e32 v56, 0xffff0000, v56
	v_lshlrev_b32_e32 v51, 16, v52
	v_fmac_f32_e32 v56, v51, v68
	s_mov_b32 s3, 0x7f800000
	v_and_b32_e32 v51, 0x7f800000, v56
	v_cmp_ne_u32_e64 s[4:5], s3, v51
                                        ; implicit-def: $vgpr51
	s_and_saveexec_b64 s[6:7], s[4:5]
	s_xor_b64 s[4:5], exec, s[6:7]
; %bb.115:
	v_bfe_u32 v51, v56, 16, 1
	s_movk_i32 s3, 0x7fff
	v_add3_u32 v51, v56, v51, s3
                                        ; implicit-def: $vgpr56
; %bb.116:
	s_andn2_saveexec_b64 s[6:7], s[4:5]
; %bb.117:
	v_mov_b32_e32 v51, 0
	v_or_b32_e32 v57, 0x10000, v56
	v_cmp_eq_u32_sdwa s[4:5], v56, v51 src0_sel:WORD_0 src1_sel:DWORD
	s_nop 1
	v_cndmask_b32_e64 v51, v57, v56, s[4:5]
; %bb.118:
	s_or_b64 exec, exec, s[6:7]
	v_and_b32_e32 v50, 0xffff0000, v50
	v_and_b32_e32 v52, 0xffff0000, v52
	v_fmac_f32_e32 v50, v52, v67
	s_mov_b32 s3, 0x7f800000
	v_and_b32_e32 v52, 0x7f800000, v50
	v_cmp_ne_u32_e64 s[4:5], s3, v52
                                        ; implicit-def: $vgpr52
	s_and_saveexec_b64 s[6:7], s[4:5]
	s_xor_b64 s[4:5], exec, s[6:7]
; %bb.119:
	v_bfe_u32 v52, v50, 16, 1
	s_movk_i32 s3, 0x7fff
	v_add3_u32 v52, v50, v52, s3
                                        ; implicit-def: $vgpr50
; %bb.120:
	s_andn2_saveexec_b64 s[6:7], s[4:5]
; %bb.121:
	v_mov_b32_e32 v52, 0
	v_or_b32_e32 v56, 0x10000, v50
	v_cmp_eq_u32_sdwa s[4:5], v50, v52 src0_sel:WORD_0 src1_sel:DWORD
	s_nop 1
	v_cndmask_b32_e64 v52, v56, v50, s[4:5]
; %bb.122:
	s_or_b64 exec, exec, s[6:7]
	v_and_b32_e32 v51, 0xffff0000, v51
	v_lshlrev_b32_e32 v50, 16, v53
	v_fmac_f32_e32 v51, v50, v1
	s_mov_b32 s3, 0x7f800000
	v_and_b32_e32 v50, 0x7f800000, v51
	v_cmp_ne_u32_e64 s[4:5], s3, v50
                                        ; implicit-def: $vgpr50
	s_and_saveexec_b64 s[6:7], s[4:5]
	s_xor_b64 s[4:5], exec, s[6:7]
; %bb.123:
	v_bfe_u32 v50, v51, 16, 1
	s_movk_i32 s3, 0x7fff
	v_add3_u32 v50, v51, v50, s3
                                        ; implicit-def: $vgpr51
; %bb.124:
	s_andn2_saveexec_b64 s[6:7], s[4:5]
; %bb.125:
	v_mov_b32_e32 v50, 0
	v_or_b32_e32 v56, 0x10000, v51
	v_cmp_eq_u32_sdwa s[4:5], v51, v50 src0_sel:WORD_0 src1_sel:DWORD
	s_nop 1
	v_cndmask_b32_e64 v50, v56, v51, s[4:5]
; %bb.126:
	s_or_b64 exec, exec, s[6:7]
	v_and_b32_e32 v52, 0xffff0000, v52
	v_and_b32_e32 v51, 0xffff0000, v53
	v_fmac_f32_e32 v52, v51, v66
	s_mov_b32 s3, 0x7f800000
	v_and_b32_e32 v51, 0x7f800000, v52
	v_cmp_ne_u32_e64 s[4:5], s3, v51
                                        ; implicit-def: $vgpr51
	s_and_saveexec_b64 s[6:7], s[4:5]
	s_xor_b64 s[4:5], exec, s[6:7]
; %bb.127:
	v_bfe_u32 v51, v52, 16, 1
	s_movk_i32 s3, 0x7fff
	v_add3_u32 v51, v52, v51, s3
                                        ; implicit-def: $vgpr52
; %bb.128:
	s_andn2_saveexec_b64 s[6:7], s[4:5]
; %bb.129:
	v_mov_b32_e32 v51, 0
	v_or_b32_e32 v53, 0x10000, v52
	v_cmp_eq_u32_sdwa s[4:5], v52, v51 src0_sel:WORD_0 src1_sel:DWORD
	s_nop 1
	v_cndmask_b32_e64 v51, v53, v52, s[4:5]
; %bb.130:
	s_or_b64 exec, exec, s[6:7]
	s_waitcnt vmcnt(11)
	v_lshlrev_b32_e32 v52, 16, v46
	v_mul_f32_e32 v53, v72, v52
	s_mov_b32 s3, 0x7f800000
	v_and_b32_e32 v52, 0x7f800000, v53
	v_cmp_ne_u32_e64 s[4:5], s3, v52
                                        ; implicit-def: $vgpr52
	s_and_saveexec_b64 s[6:7], s[4:5]
	s_xor_b64 s[4:5], exec, s[6:7]
; %bb.131:
	v_bfe_u32 v52, v53, 16, 1
	s_movk_i32 s3, 0x7fff
	v_add3_u32 v52, v53, v52, s3
                                        ; implicit-def: $vgpr53
; %bb.132:
	s_andn2_saveexec_b64 s[6:7], s[4:5]
; %bb.133:
	v_mov_b32_e32 v52, 0
	v_or_b32_e32 v56, 0x10000, v53
	v_cmp_eq_u32_sdwa s[4:5], v53, v52 src0_sel:WORD_0 src1_sel:DWORD
	s_nop 1
	v_cndmask_b32_e64 v52, v56, v53, s[4:5]
; %bb.134:
	s_or_b64 exec, exec, s[6:7]
	v_and_b32_e32 v46, 0xffff0000, v46
	v_mul_f32_e32 v53, v71, v46
	s_mov_b32 s3, 0x7f800000
	v_and_b32_e32 v46, 0x7f800000, v53
	v_cmp_ne_u32_e64 s[4:5], s3, v46
                                        ; implicit-def: $vgpr46
	s_and_saveexec_b64 s[6:7], s[4:5]
	s_xor_b64 s[4:5], exec, s[6:7]
; %bb.135:
	v_bfe_u32 v46, v53, 16, 1
	s_movk_i32 s3, 0x7fff
	v_add3_u32 v46, v53, v46, s3
                                        ; implicit-def: $vgpr53
; %bb.136:
	s_andn2_saveexec_b64 s[6:7], s[4:5]
; %bb.137:
	v_mov_b32_e32 v46, 0
	v_or_b32_e32 v56, 0x10000, v53
	v_cmp_eq_u32_sdwa s[4:5], v53, v46 src0_sel:WORD_0 src1_sel:DWORD
	s_nop 1
	v_cndmask_b32_e64 v46, v56, v53, s[4:5]
; %bb.138:
	s_or_b64 exec, exec, s[6:7]
	v_and_b32_e32 v53, 0xffff0000, v52
	v_lshlrev_b32_e32 v52, 16, v47
	v_fmac_f32_e32 v53, v52, v70
	s_mov_b32 s3, 0x7f800000
	v_and_b32_e32 v52, 0x7f800000, v53
	v_cmp_ne_u32_e64 s[4:5], s3, v52
                                        ; implicit-def: $vgpr52
	s_and_saveexec_b64 s[6:7], s[4:5]
	s_xor_b64 s[4:5], exec, s[6:7]
; %bb.139:
	v_bfe_u32 v52, v53, 16, 1
	s_movk_i32 s3, 0x7fff
	v_add3_u32 v52, v53, v52, s3
                                        ; implicit-def: $vgpr53
; %bb.140:
	s_andn2_saveexec_b64 s[6:7], s[4:5]
; %bb.141:
	v_mov_b32_e32 v52, 0
	v_or_b32_e32 v56, 0x10000, v53
	v_cmp_eq_u32_sdwa s[4:5], v53, v52 src0_sel:WORD_0 src1_sel:DWORD
	s_nop 1
	v_cndmask_b32_e64 v52, v56, v53, s[4:5]
; %bb.142:
	s_or_b64 exec, exec, s[6:7]
	v_and_b32_e32 v53, 0xffff0000, v46
	v_and_b32_e32 v46, 0xffff0000, v47
	v_fmac_f32_e32 v53, v46, v69
	s_mov_b32 s3, 0x7f800000
	v_and_b32_e32 v46, 0x7f800000, v53
	v_cmp_ne_u32_e64 s[4:5], s3, v46
                                        ; implicit-def: $vgpr46
	s_and_saveexec_b64 s[6:7], s[4:5]
	s_xor_b64 s[4:5], exec, s[6:7]
; %bb.143:
	v_bfe_u32 v46, v53, 16, 1
	s_movk_i32 s3, 0x7fff
	v_add3_u32 v46, v53, v46, s3
                                        ; implicit-def: $vgpr53
; %bb.144:
	s_andn2_saveexec_b64 s[6:7], s[4:5]
; %bb.145:
	v_mov_b32_e32 v46, 0
	v_or_b32_e32 v47, 0x10000, v53
	v_cmp_eq_u32_sdwa s[4:5], v53, v46 src0_sel:WORD_0 src1_sel:DWORD
	s_nop 1
	v_cndmask_b32_e64 v46, v47, v53, s[4:5]
; %bb.146:
	s_or_b64 exec, exec, s[6:7]
	v_and_b32_e32 v52, 0xffff0000, v52
	v_lshlrev_b32_e32 v47, 16, v48
	v_fmac_f32_e32 v52, v47, v68
	s_mov_b32 s3, 0x7f800000
	v_and_b32_e32 v47, 0x7f800000, v52
	v_cmp_ne_u32_e64 s[4:5], s3, v47
                                        ; implicit-def: $vgpr47
	s_and_saveexec_b64 s[6:7], s[4:5]
	s_xor_b64 s[4:5], exec, s[6:7]
; %bb.147:
	v_bfe_u32 v47, v52, 16, 1
	s_movk_i32 s3, 0x7fff
	v_add3_u32 v47, v52, v47, s3
                                        ; implicit-def: $vgpr52
; %bb.148:
	s_andn2_saveexec_b64 s[6:7], s[4:5]
; %bb.149:
	v_mov_b32_e32 v47, 0
	v_or_b32_e32 v53, 0x10000, v52
	v_cmp_eq_u32_sdwa s[4:5], v52, v47 src0_sel:WORD_0 src1_sel:DWORD
	s_nop 1
	v_cndmask_b32_e64 v47, v53, v52, s[4:5]
; %bb.150:
	s_or_b64 exec, exec, s[6:7]
	v_and_b32_e32 v46, 0xffff0000, v46
	v_and_b32_e32 v48, 0xffff0000, v48
	v_fmac_f32_e32 v46, v48, v67
	s_mov_b32 s3, 0x7f800000
	v_and_b32_e32 v48, 0x7f800000, v46
	v_cmp_ne_u32_e64 s[4:5], s3, v48
                                        ; implicit-def: $vgpr48
	s_and_saveexec_b64 s[6:7], s[4:5]
	s_xor_b64 s[4:5], exec, s[6:7]
; %bb.151:
	v_bfe_u32 v48, v46, 16, 1
	s_movk_i32 s3, 0x7fff
	v_add3_u32 v48, v46, v48, s3
                                        ; implicit-def: $vgpr46
; %bb.152:
	s_andn2_saveexec_b64 s[6:7], s[4:5]
; %bb.153:
	v_mov_b32_e32 v48, 0
	v_or_b32_e32 v52, 0x10000, v46
	v_cmp_eq_u32_sdwa s[4:5], v46, v48 src0_sel:WORD_0 src1_sel:DWORD
	s_nop 1
	v_cndmask_b32_e64 v48, v52, v46, s[4:5]
; %bb.154:
	s_or_b64 exec, exec, s[6:7]
	v_and_b32_e32 v47, 0xffff0000, v47
	v_lshlrev_b32_e32 v46, 16, v49
	v_fmac_f32_e32 v47, v46, v1
	s_mov_b32 s3, 0x7f800000
	v_and_b32_e32 v46, 0x7f800000, v47
	v_cmp_ne_u32_e64 s[4:5], s3, v46
                                        ; implicit-def: $vgpr46
	s_and_saveexec_b64 s[6:7], s[4:5]
	s_xor_b64 s[4:5], exec, s[6:7]
; %bb.155:
	v_bfe_u32 v46, v47, 16, 1
	s_movk_i32 s3, 0x7fff
	v_add3_u32 v46, v47, v46, s3
                                        ; implicit-def: $vgpr47
; %bb.156:
	s_andn2_saveexec_b64 s[6:7], s[4:5]
; %bb.157:
	v_mov_b32_e32 v46, 0
	v_or_b32_e32 v52, 0x10000, v47
	v_cmp_eq_u32_sdwa s[4:5], v47, v46 src0_sel:WORD_0 src1_sel:DWORD
	s_nop 1
	v_cndmask_b32_e64 v46, v52, v47, s[4:5]
; %bb.158:
	s_or_b64 exec, exec, s[6:7]
	v_and_b32_e32 v48, 0xffff0000, v48
	v_and_b32_e32 v47, 0xffff0000, v49
	v_fmac_f32_e32 v48, v47, v66
	s_mov_b32 s3, 0x7f800000
	v_and_b32_e32 v47, 0x7f800000, v48
	v_cmp_ne_u32_e64 s[4:5], s3, v47
                                        ; implicit-def: $vgpr47
	s_and_saveexec_b64 s[6:7], s[4:5]
	s_xor_b64 s[4:5], exec, s[6:7]
; %bb.159:
	v_bfe_u32 v47, v48, 16, 1
	s_movk_i32 s3, 0x7fff
	v_add3_u32 v47, v48, v47, s3
                                        ; implicit-def: $vgpr48
; %bb.160:
	s_andn2_saveexec_b64 s[6:7], s[4:5]
; %bb.161:
	v_mov_b32_e32 v47, 0
	v_or_b32_e32 v49, 0x10000, v48
	v_cmp_eq_u32_sdwa s[4:5], v48, v47 src0_sel:WORD_0 src1_sel:DWORD
	s_nop 1
	v_cndmask_b32_e64 v47, v49, v48, s[4:5]
; %bb.162:
	s_or_b64 exec, exec, s[6:7]
	s_waitcnt vmcnt(10)
	v_lshlrev_b32_e32 v48, 16, v42
	v_mul_f32_e32 v49, v72, v48
	s_mov_b32 s3, 0x7f800000
	v_and_b32_e32 v48, 0x7f800000, v49
	v_cmp_ne_u32_e64 s[4:5], s3, v48
                                        ; implicit-def: $vgpr48
	s_and_saveexec_b64 s[6:7], s[4:5]
	s_xor_b64 s[4:5], exec, s[6:7]
; %bb.163:
	v_bfe_u32 v48, v49, 16, 1
	s_movk_i32 s3, 0x7fff
	v_add3_u32 v48, v49, v48, s3
                                        ; implicit-def: $vgpr49
; %bb.164:
	s_andn2_saveexec_b64 s[6:7], s[4:5]
; %bb.165:
	v_mov_b32_e32 v48, 0
	v_or_b32_e32 v52, 0x10000, v49
	v_cmp_eq_u32_sdwa s[4:5], v49, v48 src0_sel:WORD_0 src1_sel:DWORD
	s_nop 1
	v_cndmask_b32_e64 v48, v52, v49, s[4:5]
; %bb.166:
	s_or_b64 exec, exec, s[6:7]
	v_and_b32_e32 v42, 0xffff0000, v42
	v_mul_f32_e32 v49, v71, v42
	s_mov_b32 s3, 0x7f800000
	v_and_b32_e32 v42, 0x7f800000, v49
	v_cmp_ne_u32_e64 s[4:5], s3, v42
                                        ; implicit-def: $vgpr42
	s_and_saveexec_b64 s[6:7], s[4:5]
	s_xor_b64 s[4:5], exec, s[6:7]
; %bb.167:
	v_bfe_u32 v42, v49, 16, 1
	s_movk_i32 s3, 0x7fff
	v_add3_u32 v42, v49, v42, s3
                                        ; implicit-def: $vgpr49
; %bb.168:
	s_andn2_saveexec_b64 s[6:7], s[4:5]
; %bb.169:
	v_mov_b32_e32 v42, 0
	v_or_b32_e32 v52, 0x10000, v49
	v_cmp_eq_u32_sdwa s[4:5], v49, v42 src0_sel:WORD_0 src1_sel:DWORD
	s_nop 1
	v_cndmask_b32_e64 v42, v52, v49, s[4:5]
; %bb.170:
	s_or_b64 exec, exec, s[6:7]
	v_and_b32_e32 v49, 0xffff0000, v48
	v_lshlrev_b32_e32 v48, 16, v43
	v_fmac_f32_e32 v49, v48, v70
	s_mov_b32 s3, 0x7f800000
	v_and_b32_e32 v48, 0x7f800000, v49
	v_cmp_ne_u32_e64 s[4:5], s3, v48
                                        ; implicit-def: $vgpr48
	s_and_saveexec_b64 s[6:7], s[4:5]
	s_xor_b64 s[4:5], exec, s[6:7]
; %bb.171:
	v_bfe_u32 v48, v49, 16, 1
	s_movk_i32 s3, 0x7fff
	v_add3_u32 v48, v49, v48, s3
                                        ; implicit-def: $vgpr49
; %bb.172:
	s_andn2_saveexec_b64 s[6:7], s[4:5]
; %bb.173:
	v_mov_b32_e32 v48, 0
	v_or_b32_e32 v52, 0x10000, v49
	v_cmp_eq_u32_sdwa s[4:5], v49, v48 src0_sel:WORD_0 src1_sel:DWORD
	s_nop 1
	v_cndmask_b32_e64 v48, v52, v49, s[4:5]
; %bb.174:
	s_or_b64 exec, exec, s[6:7]
	v_and_b32_e32 v49, 0xffff0000, v42
	v_and_b32_e32 v42, 0xffff0000, v43
	v_fmac_f32_e32 v49, v42, v69
	s_mov_b32 s3, 0x7f800000
	v_and_b32_e32 v42, 0x7f800000, v49
	v_cmp_ne_u32_e64 s[4:5], s3, v42
                                        ; implicit-def: $vgpr42
	s_and_saveexec_b64 s[6:7], s[4:5]
	s_xor_b64 s[4:5], exec, s[6:7]
; %bb.175:
	v_bfe_u32 v42, v49, 16, 1
	s_movk_i32 s3, 0x7fff
	v_add3_u32 v42, v49, v42, s3
                                        ; implicit-def: $vgpr49
; %bb.176:
	s_andn2_saveexec_b64 s[6:7], s[4:5]
; %bb.177:
	v_mov_b32_e32 v42, 0
	v_or_b32_e32 v43, 0x10000, v49
	v_cmp_eq_u32_sdwa s[4:5], v49, v42 src0_sel:WORD_0 src1_sel:DWORD
	s_nop 1
	v_cndmask_b32_e64 v42, v43, v49, s[4:5]
; %bb.178:
	s_or_b64 exec, exec, s[6:7]
	v_and_b32_e32 v48, 0xffff0000, v48
	v_lshlrev_b32_e32 v43, 16, v44
	v_fmac_f32_e32 v48, v43, v68
	s_mov_b32 s3, 0x7f800000
	v_and_b32_e32 v43, 0x7f800000, v48
	v_cmp_ne_u32_e64 s[4:5], s3, v43
                                        ; implicit-def: $vgpr43
	s_and_saveexec_b64 s[6:7], s[4:5]
	s_xor_b64 s[4:5], exec, s[6:7]
; %bb.179:
	v_bfe_u32 v43, v48, 16, 1
	s_movk_i32 s3, 0x7fff
	v_add3_u32 v43, v48, v43, s3
                                        ; implicit-def: $vgpr48
; %bb.180:
	s_andn2_saveexec_b64 s[6:7], s[4:5]
; %bb.181:
	v_mov_b32_e32 v43, 0
	v_or_b32_e32 v49, 0x10000, v48
	v_cmp_eq_u32_sdwa s[4:5], v48, v43 src0_sel:WORD_0 src1_sel:DWORD
	s_nop 1
	v_cndmask_b32_e64 v43, v49, v48, s[4:5]
; %bb.182:
	s_or_b64 exec, exec, s[6:7]
	v_and_b32_e32 v42, 0xffff0000, v42
	v_and_b32_e32 v44, 0xffff0000, v44
	v_fmac_f32_e32 v42, v44, v67
	s_mov_b32 s3, 0x7f800000
	v_and_b32_e32 v44, 0x7f800000, v42
	v_cmp_ne_u32_e64 s[4:5], s3, v44
                                        ; implicit-def: $vgpr44
	s_and_saveexec_b64 s[6:7], s[4:5]
	s_xor_b64 s[4:5], exec, s[6:7]
; %bb.183:
	v_bfe_u32 v44, v42, 16, 1
	s_movk_i32 s3, 0x7fff
	v_add3_u32 v44, v42, v44, s3
                                        ; implicit-def: $vgpr42
; %bb.184:
	s_andn2_saveexec_b64 s[6:7], s[4:5]
; %bb.185:
	v_mov_b32_e32 v44, 0
	v_or_b32_e32 v48, 0x10000, v42
	v_cmp_eq_u32_sdwa s[4:5], v42, v44 src0_sel:WORD_0 src1_sel:DWORD
	s_nop 1
	v_cndmask_b32_e64 v44, v48, v42, s[4:5]
; %bb.186:
	s_or_b64 exec, exec, s[6:7]
	v_and_b32_e32 v43, 0xffff0000, v43
	v_lshlrev_b32_e32 v42, 16, v45
	v_fmac_f32_e32 v43, v42, v1
	s_mov_b32 s3, 0x7f800000
	v_and_b32_e32 v42, 0x7f800000, v43
	v_cmp_ne_u32_e64 s[4:5], s3, v42
                                        ; implicit-def: $vgpr42
	s_and_saveexec_b64 s[6:7], s[4:5]
	s_xor_b64 s[4:5], exec, s[6:7]
; %bb.187:
	v_bfe_u32 v42, v43, 16, 1
	s_movk_i32 s3, 0x7fff
	v_add3_u32 v42, v43, v42, s3
                                        ; implicit-def: $vgpr43
; %bb.188:
	s_andn2_saveexec_b64 s[6:7], s[4:5]
; %bb.189:
	v_mov_b32_e32 v42, 0
	v_or_b32_e32 v48, 0x10000, v43
	v_cmp_eq_u32_sdwa s[4:5], v43, v42 src0_sel:WORD_0 src1_sel:DWORD
	s_nop 1
	v_cndmask_b32_e64 v42, v48, v43, s[4:5]
; %bb.190:
	s_or_b64 exec, exec, s[6:7]
	v_and_b32_e32 v44, 0xffff0000, v44
	v_and_b32_e32 v43, 0xffff0000, v45
	v_fmac_f32_e32 v44, v43, v66
	s_mov_b32 s3, 0x7f800000
	v_and_b32_e32 v43, 0x7f800000, v44
	v_cmp_ne_u32_e64 s[4:5], s3, v43
                                        ; implicit-def: $vgpr43
	s_and_saveexec_b64 s[6:7], s[4:5]
	s_xor_b64 s[4:5], exec, s[6:7]
; %bb.191:
	v_bfe_u32 v43, v44, 16, 1
	s_movk_i32 s3, 0x7fff
	v_add3_u32 v43, v44, v43, s3
                                        ; implicit-def: $vgpr44
; %bb.192:
	s_andn2_saveexec_b64 s[6:7], s[4:5]
; %bb.193:
	v_mov_b32_e32 v43, 0
	v_or_b32_e32 v45, 0x10000, v44
	v_cmp_eq_u32_sdwa s[4:5], v44, v43 src0_sel:WORD_0 src1_sel:DWORD
	s_nop 1
	v_cndmask_b32_e64 v43, v45, v44, s[4:5]
; %bb.194:
	s_or_b64 exec, exec, s[6:7]
	s_waitcnt vmcnt(9)
	v_lshlrev_b32_e32 v44, 16, v38
	v_mul_f32_e32 v45, v72, v44
	s_mov_b32 s3, 0x7f800000
	v_and_b32_e32 v44, 0x7f800000, v45
	v_cmp_ne_u32_e64 s[4:5], s3, v44
                                        ; implicit-def: $vgpr44
	s_and_saveexec_b64 s[6:7], s[4:5]
	s_xor_b64 s[4:5], exec, s[6:7]
; %bb.195:
	v_bfe_u32 v44, v45, 16, 1
	s_movk_i32 s3, 0x7fff
	v_add3_u32 v44, v45, v44, s3
                                        ; implicit-def: $vgpr45
; %bb.196:
	s_andn2_saveexec_b64 s[6:7], s[4:5]
; %bb.197:
	v_mov_b32_e32 v44, 0
	v_or_b32_e32 v48, 0x10000, v45
	v_cmp_eq_u32_sdwa s[4:5], v45, v44 src0_sel:WORD_0 src1_sel:DWORD
	s_nop 1
	v_cndmask_b32_e64 v44, v48, v45, s[4:5]
; %bb.198:
	s_or_b64 exec, exec, s[6:7]
	v_and_b32_e32 v38, 0xffff0000, v38
	v_mul_f32_e32 v45, v71, v38
	s_mov_b32 s3, 0x7f800000
	v_and_b32_e32 v38, 0x7f800000, v45
	v_cmp_ne_u32_e64 s[4:5], s3, v38
                                        ; implicit-def: $vgpr38
	s_and_saveexec_b64 s[6:7], s[4:5]
	s_xor_b64 s[4:5], exec, s[6:7]
; %bb.199:
	v_bfe_u32 v38, v45, 16, 1
	s_movk_i32 s3, 0x7fff
	v_add3_u32 v38, v45, v38, s3
                                        ; implicit-def: $vgpr45
; %bb.200:
	s_andn2_saveexec_b64 s[6:7], s[4:5]
; %bb.201:
	v_mov_b32_e32 v38, 0
	v_or_b32_e32 v48, 0x10000, v45
	v_cmp_eq_u32_sdwa s[4:5], v45, v38 src0_sel:WORD_0 src1_sel:DWORD
	s_nop 1
	v_cndmask_b32_e64 v38, v48, v45, s[4:5]
; %bb.202:
	s_or_b64 exec, exec, s[6:7]
	v_and_b32_e32 v45, 0xffff0000, v44
	v_lshlrev_b32_e32 v44, 16, v39
	v_fmac_f32_e32 v45, v44, v70
	s_mov_b32 s3, 0x7f800000
	v_and_b32_e32 v44, 0x7f800000, v45
	v_cmp_ne_u32_e64 s[4:5], s3, v44
                                        ; implicit-def: $vgpr44
	s_and_saveexec_b64 s[6:7], s[4:5]
	s_xor_b64 s[4:5], exec, s[6:7]
; %bb.203:
	v_bfe_u32 v44, v45, 16, 1
	s_movk_i32 s3, 0x7fff
	v_add3_u32 v44, v45, v44, s3
                                        ; implicit-def: $vgpr45
; %bb.204:
	s_andn2_saveexec_b64 s[6:7], s[4:5]
; %bb.205:
	v_mov_b32_e32 v44, 0
	v_or_b32_e32 v48, 0x10000, v45
	v_cmp_eq_u32_sdwa s[4:5], v45, v44 src0_sel:WORD_0 src1_sel:DWORD
	s_nop 1
	v_cndmask_b32_e64 v44, v48, v45, s[4:5]
; %bb.206:
	s_or_b64 exec, exec, s[6:7]
	v_and_b32_e32 v45, 0xffff0000, v38
	v_and_b32_e32 v38, 0xffff0000, v39
	v_fmac_f32_e32 v45, v38, v69
	s_mov_b32 s3, 0x7f800000
	v_and_b32_e32 v38, 0x7f800000, v45
	v_cmp_ne_u32_e64 s[4:5], s3, v38
                                        ; implicit-def: $vgpr38
	s_and_saveexec_b64 s[6:7], s[4:5]
	s_xor_b64 s[4:5], exec, s[6:7]
; %bb.207:
	v_bfe_u32 v38, v45, 16, 1
	s_movk_i32 s3, 0x7fff
	v_add3_u32 v38, v45, v38, s3
                                        ; implicit-def: $vgpr45
; %bb.208:
	s_andn2_saveexec_b64 s[6:7], s[4:5]
; %bb.209:
	v_mov_b32_e32 v38, 0
	v_or_b32_e32 v39, 0x10000, v45
	v_cmp_eq_u32_sdwa s[4:5], v45, v38 src0_sel:WORD_0 src1_sel:DWORD
	s_nop 1
	v_cndmask_b32_e64 v38, v39, v45, s[4:5]
; %bb.210:
	s_or_b64 exec, exec, s[6:7]
	v_and_b32_e32 v44, 0xffff0000, v44
	v_lshlrev_b32_e32 v39, 16, v40
	v_fmac_f32_e32 v44, v39, v68
	s_mov_b32 s3, 0x7f800000
	v_and_b32_e32 v39, 0x7f800000, v44
	v_cmp_ne_u32_e64 s[4:5], s3, v39
                                        ; implicit-def: $vgpr39
	s_and_saveexec_b64 s[6:7], s[4:5]
	s_xor_b64 s[4:5], exec, s[6:7]
; %bb.211:
	v_bfe_u32 v39, v44, 16, 1
	s_movk_i32 s3, 0x7fff
	v_add3_u32 v39, v44, v39, s3
                                        ; implicit-def: $vgpr44
; %bb.212:
	s_andn2_saveexec_b64 s[6:7], s[4:5]
; %bb.213:
	v_mov_b32_e32 v39, 0
	v_or_b32_e32 v45, 0x10000, v44
	v_cmp_eq_u32_sdwa s[4:5], v44, v39 src0_sel:WORD_0 src1_sel:DWORD
	s_nop 1
	v_cndmask_b32_e64 v39, v45, v44, s[4:5]
; %bb.214:
	s_or_b64 exec, exec, s[6:7]
	v_and_b32_e32 v38, 0xffff0000, v38
	v_and_b32_e32 v40, 0xffff0000, v40
	v_fmac_f32_e32 v38, v40, v67
	s_mov_b32 s3, 0x7f800000
	v_and_b32_e32 v40, 0x7f800000, v38
	v_cmp_ne_u32_e64 s[4:5], s3, v40
                                        ; implicit-def: $vgpr40
	s_and_saveexec_b64 s[6:7], s[4:5]
	s_xor_b64 s[4:5], exec, s[6:7]
; %bb.215:
	v_bfe_u32 v40, v38, 16, 1
	s_movk_i32 s3, 0x7fff
	v_add3_u32 v40, v38, v40, s3
                                        ; implicit-def: $vgpr38
; %bb.216:
	s_andn2_saveexec_b64 s[6:7], s[4:5]
; %bb.217:
	v_mov_b32_e32 v40, 0
	v_or_b32_e32 v44, 0x10000, v38
	v_cmp_eq_u32_sdwa s[4:5], v38, v40 src0_sel:WORD_0 src1_sel:DWORD
	s_nop 1
	v_cndmask_b32_e64 v40, v44, v38, s[4:5]
; %bb.218:
	s_or_b64 exec, exec, s[6:7]
	v_and_b32_e32 v39, 0xffff0000, v39
	v_lshlrev_b32_e32 v38, 16, v41
	v_fmac_f32_e32 v39, v38, v1
	s_mov_b32 s3, 0x7f800000
	v_and_b32_e32 v38, 0x7f800000, v39
	v_cmp_ne_u32_e64 s[4:5], s3, v38
                                        ; implicit-def: $vgpr38
	s_and_saveexec_b64 s[6:7], s[4:5]
	s_xor_b64 s[4:5], exec, s[6:7]
; %bb.219:
	v_bfe_u32 v38, v39, 16, 1
	s_movk_i32 s3, 0x7fff
	v_add3_u32 v38, v39, v38, s3
                                        ; implicit-def: $vgpr39
; %bb.220:
	s_andn2_saveexec_b64 s[6:7], s[4:5]
; %bb.221:
	v_mov_b32_e32 v38, 0
	v_or_b32_e32 v44, 0x10000, v39
	v_cmp_eq_u32_sdwa s[4:5], v39, v38 src0_sel:WORD_0 src1_sel:DWORD
	s_nop 1
	v_cndmask_b32_e64 v38, v44, v39, s[4:5]
; %bb.222:
	s_or_b64 exec, exec, s[6:7]
	v_and_b32_e32 v40, 0xffff0000, v40
	v_and_b32_e32 v39, 0xffff0000, v41
	v_fmac_f32_e32 v40, v39, v66
	s_mov_b32 s3, 0x7f800000
	v_and_b32_e32 v39, 0x7f800000, v40
	v_cmp_ne_u32_e64 s[4:5], s3, v39
                                        ; implicit-def: $vgpr39
	s_and_saveexec_b64 s[6:7], s[4:5]
	s_xor_b64 s[4:5], exec, s[6:7]
; %bb.223:
	v_bfe_u32 v39, v40, 16, 1
	s_movk_i32 s3, 0x7fff
	v_add3_u32 v39, v40, v39, s3
                                        ; implicit-def: $vgpr40
; %bb.224:
	s_andn2_saveexec_b64 s[6:7], s[4:5]
; %bb.225:
	v_mov_b32_e32 v39, 0
	v_or_b32_e32 v41, 0x10000, v40
	v_cmp_eq_u32_sdwa s[4:5], v40, v39 src0_sel:WORD_0 src1_sel:DWORD
	s_nop 1
	v_cndmask_b32_e64 v39, v41, v40, s[4:5]
; %bb.226:
	s_or_b64 exec, exec, s[6:7]
	s_waitcnt vmcnt(8)
	v_lshlrev_b32_e32 v40, 16, v34
	v_mul_f32_e32 v41, v72, v40
	s_mov_b32 s3, 0x7f800000
	v_and_b32_e32 v40, 0x7f800000, v41
	v_cmp_ne_u32_e64 s[4:5], s3, v40
                                        ; implicit-def: $vgpr40
	s_and_saveexec_b64 s[6:7], s[4:5]
	s_xor_b64 s[4:5], exec, s[6:7]
; %bb.227:
	v_bfe_u32 v40, v41, 16, 1
	s_movk_i32 s3, 0x7fff
	v_add3_u32 v40, v41, v40, s3
                                        ; implicit-def: $vgpr41
; %bb.228:
	s_andn2_saveexec_b64 s[6:7], s[4:5]
; %bb.229:
	v_mov_b32_e32 v40, 0
	v_or_b32_e32 v44, 0x10000, v41
	v_cmp_eq_u32_sdwa s[4:5], v41, v40 src0_sel:WORD_0 src1_sel:DWORD
	s_nop 1
	v_cndmask_b32_e64 v40, v44, v41, s[4:5]
; %bb.230:
	s_or_b64 exec, exec, s[6:7]
	v_and_b32_e32 v34, 0xffff0000, v34
	v_mul_f32_e32 v41, v71, v34
	s_mov_b32 s3, 0x7f800000
	v_and_b32_e32 v34, 0x7f800000, v41
	v_cmp_ne_u32_e64 s[4:5], s3, v34
                                        ; implicit-def: $vgpr34
	s_and_saveexec_b64 s[6:7], s[4:5]
	s_xor_b64 s[4:5], exec, s[6:7]
; %bb.231:
	v_bfe_u32 v34, v41, 16, 1
	s_movk_i32 s3, 0x7fff
	v_add3_u32 v34, v41, v34, s3
                                        ; implicit-def: $vgpr41
; %bb.232:
	s_andn2_saveexec_b64 s[6:7], s[4:5]
; %bb.233:
	v_mov_b32_e32 v34, 0
	v_or_b32_e32 v44, 0x10000, v41
	v_cmp_eq_u32_sdwa s[4:5], v41, v34 src0_sel:WORD_0 src1_sel:DWORD
	s_nop 1
	v_cndmask_b32_e64 v34, v44, v41, s[4:5]
; %bb.234:
	s_or_b64 exec, exec, s[6:7]
	v_and_b32_e32 v41, 0xffff0000, v40
	v_lshlrev_b32_e32 v40, 16, v35
	v_fmac_f32_e32 v41, v40, v70
	s_mov_b32 s3, 0x7f800000
	v_and_b32_e32 v40, 0x7f800000, v41
	v_cmp_ne_u32_e64 s[4:5], s3, v40
                                        ; implicit-def: $vgpr40
	s_and_saveexec_b64 s[6:7], s[4:5]
	s_xor_b64 s[4:5], exec, s[6:7]
; %bb.235:
	v_bfe_u32 v40, v41, 16, 1
	s_movk_i32 s3, 0x7fff
	v_add3_u32 v40, v41, v40, s3
                                        ; implicit-def: $vgpr41
; %bb.236:
	s_andn2_saveexec_b64 s[6:7], s[4:5]
; %bb.237:
	v_mov_b32_e32 v40, 0
	v_or_b32_e32 v44, 0x10000, v41
	v_cmp_eq_u32_sdwa s[4:5], v41, v40 src0_sel:WORD_0 src1_sel:DWORD
	s_nop 1
	v_cndmask_b32_e64 v40, v44, v41, s[4:5]
; %bb.238:
	s_or_b64 exec, exec, s[6:7]
	v_and_b32_e32 v41, 0xffff0000, v34
	v_and_b32_e32 v34, 0xffff0000, v35
	v_fmac_f32_e32 v41, v34, v69
	s_mov_b32 s3, 0x7f800000
	v_and_b32_e32 v34, 0x7f800000, v41
	v_cmp_ne_u32_e64 s[4:5], s3, v34
                                        ; implicit-def: $vgpr34
	s_and_saveexec_b64 s[6:7], s[4:5]
	s_xor_b64 s[4:5], exec, s[6:7]
; %bb.239:
	v_bfe_u32 v34, v41, 16, 1
	s_movk_i32 s3, 0x7fff
	v_add3_u32 v34, v41, v34, s3
                                        ; implicit-def: $vgpr41
; %bb.240:
	s_andn2_saveexec_b64 s[6:7], s[4:5]
; %bb.241:
	v_mov_b32_e32 v34, 0
	v_or_b32_e32 v35, 0x10000, v41
	v_cmp_eq_u32_sdwa s[4:5], v41, v34 src0_sel:WORD_0 src1_sel:DWORD
	s_nop 1
	v_cndmask_b32_e64 v34, v35, v41, s[4:5]
; %bb.242:
	s_or_b64 exec, exec, s[6:7]
	v_and_b32_e32 v40, 0xffff0000, v40
	v_lshlrev_b32_e32 v35, 16, v36
	v_fmac_f32_e32 v40, v35, v68
	s_mov_b32 s3, 0x7f800000
	v_and_b32_e32 v35, 0x7f800000, v40
	v_cmp_ne_u32_e64 s[4:5], s3, v35
                                        ; implicit-def: $vgpr35
	s_and_saveexec_b64 s[6:7], s[4:5]
	s_xor_b64 s[4:5], exec, s[6:7]
; %bb.243:
	v_bfe_u32 v35, v40, 16, 1
	s_movk_i32 s3, 0x7fff
	v_add3_u32 v35, v40, v35, s3
                                        ; implicit-def: $vgpr40
; %bb.244:
	s_andn2_saveexec_b64 s[6:7], s[4:5]
; %bb.245:
	v_mov_b32_e32 v35, 0
	v_or_b32_e32 v41, 0x10000, v40
	v_cmp_eq_u32_sdwa s[4:5], v40, v35 src0_sel:WORD_0 src1_sel:DWORD
	s_nop 1
	v_cndmask_b32_e64 v35, v41, v40, s[4:5]
; %bb.246:
	s_or_b64 exec, exec, s[6:7]
	v_and_b32_e32 v34, 0xffff0000, v34
	v_and_b32_e32 v36, 0xffff0000, v36
	v_fmac_f32_e32 v34, v36, v67
	s_mov_b32 s3, 0x7f800000
	v_and_b32_e32 v36, 0x7f800000, v34
	v_cmp_ne_u32_e64 s[4:5], s3, v36
                                        ; implicit-def: $vgpr36
	s_and_saveexec_b64 s[6:7], s[4:5]
	s_xor_b64 s[4:5], exec, s[6:7]
; %bb.247:
	v_bfe_u32 v36, v34, 16, 1
	s_movk_i32 s3, 0x7fff
	v_add3_u32 v36, v34, v36, s3
                                        ; implicit-def: $vgpr34
; %bb.248:
	s_andn2_saveexec_b64 s[6:7], s[4:5]
; %bb.249:
	v_mov_b32_e32 v36, 0
	v_or_b32_e32 v40, 0x10000, v34
	v_cmp_eq_u32_sdwa s[4:5], v34, v36 src0_sel:WORD_0 src1_sel:DWORD
	s_nop 1
	v_cndmask_b32_e64 v36, v40, v34, s[4:5]
; %bb.250:
	s_or_b64 exec, exec, s[6:7]
	v_and_b32_e32 v35, 0xffff0000, v35
	v_lshlrev_b32_e32 v34, 16, v37
	v_fmac_f32_e32 v35, v34, v1
	s_mov_b32 s3, 0x7f800000
	v_and_b32_e32 v34, 0x7f800000, v35
	v_cmp_ne_u32_e64 s[4:5], s3, v34
                                        ; implicit-def: $vgpr34
	s_and_saveexec_b64 s[6:7], s[4:5]
	s_xor_b64 s[4:5], exec, s[6:7]
; %bb.251:
	v_bfe_u32 v34, v35, 16, 1
	s_movk_i32 s3, 0x7fff
	v_add3_u32 v34, v35, v34, s3
                                        ; implicit-def: $vgpr35
; %bb.252:
	s_andn2_saveexec_b64 s[6:7], s[4:5]
; %bb.253:
	v_mov_b32_e32 v34, 0
	v_or_b32_e32 v40, 0x10000, v35
	v_cmp_eq_u32_sdwa s[4:5], v35, v34 src0_sel:WORD_0 src1_sel:DWORD
	s_nop 1
	v_cndmask_b32_e64 v34, v40, v35, s[4:5]
; %bb.254:
	s_or_b64 exec, exec, s[6:7]
	v_and_b32_e32 v36, 0xffff0000, v36
	v_and_b32_e32 v35, 0xffff0000, v37
	v_fmac_f32_e32 v36, v35, v66
	s_mov_b32 s3, 0x7f800000
	v_and_b32_e32 v35, 0x7f800000, v36
	v_cmp_ne_u32_e64 s[4:5], s3, v35
                                        ; implicit-def: $vgpr35
	s_and_saveexec_b64 s[6:7], s[4:5]
	s_xor_b64 s[4:5], exec, s[6:7]
; %bb.255:
	v_bfe_u32 v35, v36, 16, 1
	s_movk_i32 s3, 0x7fff
	v_add3_u32 v35, v36, v35, s3
                                        ; implicit-def: $vgpr36
; %bb.256:
	s_andn2_saveexec_b64 s[6:7], s[4:5]
; %bb.257:
	v_mov_b32_e32 v35, 0
	v_or_b32_e32 v37, 0x10000, v36
	v_cmp_eq_u32_sdwa s[4:5], v36, v35 src0_sel:WORD_0 src1_sel:DWORD
	s_nop 1
	v_cndmask_b32_e64 v35, v37, v36, s[4:5]
; %bb.258:
	s_or_b64 exec, exec, s[6:7]
	s_waitcnt vmcnt(7)
	v_lshlrev_b32_e32 v36, 16, v30
	v_mul_f32_e32 v37, v72, v36
	s_mov_b32 s3, 0x7f800000
	v_and_b32_e32 v36, 0x7f800000, v37
	v_cmp_ne_u32_e64 s[4:5], s3, v36
                                        ; implicit-def: $vgpr36
	s_and_saveexec_b64 s[6:7], s[4:5]
	s_xor_b64 s[4:5], exec, s[6:7]
; %bb.259:
	v_bfe_u32 v36, v37, 16, 1
	s_movk_i32 s3, 0x7fff
	v_add3_u32 v36, v37, v36, s3
                                        ; implicit-def: $vgpr37
; %bb.260:
	s_andn2_saveexec_b64 s[6:7], s[4:5]
; %bb.261:
	v_mov_b32_e32 v36, 0
	v_or_b32_e32 v40, 0x10000, v37
	v_cmp_eq_u32_sdwa s[4:5], v37, v36 src0_sel:WORD_0 src1_sel:DWORD
	s_nop 1
	v_cndmask_b32_e64 v36, v40, v37, s[4:5]
; %bb.262:
	s_or_b64 exec, exec, s[6:7]
	v_and_b32_e32 v30, 0xffff0000, v30
	v_mul_f32_e32 v37, v71, v30
	s_mov_b32 s3, 0x7f800000
	v_and_b32_e32 v30, 0x7f800000, v37
	v_cmp_ne_u32_e64 s[4:5], s3, v30
                                        ; implicit-def: $vgpr30
	s_and_saveexec_b64 s[6:7], s[4:5]
	s_xor_b64 s[4:5], exec, s[6:7]
; %bb.263:
	v_bfe_u32 v30, v37, 16, 1
	s_movk_i32 s3, 0x7fff
	v_add3_u32 v30, v37, v30, s3
                                        ; implicit-def: $vgpr37
; %bb.264:
	s_andn2_saveexec_b64 s[6:7], s[4:5]
; %bb.265:
	v_mov_b32_e32 v30, 0
	v_or_b32_e32 v40, 0x10000, v37
	v_cmp_eq_u32_sdwa s[4:5], v37, v30 src0_sel:WORD_0 src1_sel:DWORD
	s_nop 1
	v_cndmask_b32_e64 v30, v40, v37, s[4:5]
; %bb.266:
	s_or_b64 exec, exec, s[6:7]
	v_and_b32_e32 v37, 0xffff0000, v36
	v_lshlrev_b32_e32 v36, 16, v31
	v_fmac_f32_e32 v37, v36, v70
	s_mov_b32 s3, 0x7f800000
	v_and_b32_e32 v36, 0x7f800000, v37
	v_cmp_ne_u32_e64 s[4:5], s3, v36
                                        ; implicit-def: $vgpr36
	s_and_saveexec_b64 s[6:7], s[4:5]
	s_xor_b64 s[4:5], exec, s[6:7]
; %bb.267:
	v_bfe_u32 v36, v37, 16, 1
	s_movk_i32 s3, 0x7fff
	v_add3_u32 v36, v37, v36, s3
                                        ; implicit-def: $vgpr37
; %bb.268:
	s_andn2_saveexec_b64 s[6:7], s[4:5]
; %bb.269:
	v_mov_b32_e32 v36, 0
	v_or_b32_e32 v40, 0x10000, v37
	v_cmp_eq_u32_sdwa s[4:5], v37, v36 src0_sel:WORD_0 src1_sel:DWORD
	s_nop 1
	v_cndmask_b32_e64 v36, v40, v37, s[4:5]
; %bb.270:
	s_or_b64 exec, exec, s[6:7]
	v_and_b32_e32 v37, 0xffff0000, v30
	v_and_b32_e32 v30, 0xffff0000, v31
	v_fmac_f32_e32 v37, v30, v69
	s_mov_b32 s3, 0x7f800000
	v_and_b32_e32 v30, 0x7f800000, v37
	v_cmp_ne_u32_e64 s[4:5], s3, v30
                                        ; implicit-def: $vgpr30
	s_and_saveexec_b64 s[6:7], s[4:5]
	s_xor_b64 s[4:5], exec, s[6:7]
; %bb.271:
	v_bfe_u32 v30, v37, 16, 1
	s_movk_i32 s3, 0x7fff
	v_add3_u32 v30, v37, v30, s3
                                        ; implicit-def: $vgpr37
; %bb.272:
	s_andn2_saveexec_b64 s[6:7], s[4:5]
; %bb.273:
	v_mov_b32_e32 v30, 0
	v_or_b32_e32 v31, 0x10000, v37
	v_cmp_eq_u32_sdwa s[4:5], v37, v30 src0_sel:WORD_0 src1_sel:DWORD
	s_nop 1
	v_cndmask_b32_e64 v30, v31, v37, s[4:5]
; %bb.274:
	s_or_b64 exec, exec, s[6:7]
	v_and_b32_e32 v36, 0xffff0000, v36
	v_lshlrev_b32_e32 v31, 16, v32
	v_fmac_f32_e32 v36, v31, v68
	s_mov_b32 s3, 0x7f800000
	v_and_b32_e32 v31, 0x7f800000, v36
	v_cmp_ne_u32_e64 s[4:5], s3, v31
                                        ; implicit-def: $vgpr31
	s_and_saveexec_b64 s[6:7], s[4:5]
	s_xor_b64 s[4:5], exec, s[6:7]
; %bb.275:
	v_bfe_u32 v31, v36, 16, 1
	s_movk_i32 s3, 0x7fff
	v_add3_u32 v31, v36, v31, s3
                                        ; implicit-def: $vgpr36
; %bb.276:
	s_andn2_saveexec_b64 s[6:7], s[4:5]
; %bb.277:
	v_mov_b32_e32 v31, 0
	v_or_b32_e32 v37, 0x10000, v36
	v_cmp_eq_u32_sdwa s[4:5], v36, v31 src0_sel:WORD_0 src1_sel:DWORD
	s_nop 1
	v_cndmask_b32_e64 v31, v37, v36, s[4:5]
; %bb.278:
	s_or_b64 exec, exec, s[6:7]
	v_and_b32_e32 v30, 0xffff0000, v30
	v_and_b32_e32 v32, 0xffff0000, v32
	v_fmac_f32_e32 v30, v32, v67
	s_mov_b32 s3, 0x7f800000
	v_and_b32_e32 v32, 0x7f800000, v30
	v_cmp_ne_u32_e64 s[4:5], s3, v32
                                        ; implicit-def: $vgpr32
	s_and_saveexec_b64 s[6:7], s[4:5]
	s_xor_b64 s[4:5], exec, s[6:7]
; %bb.279:
	v_bfe_u32 v32, v30, 16, 1
	s_movk_i32 s3, 0x7fff
	v_add3_u32 v32, v30, v32, s3
                                        ; implicit-def: $vgpr30
; %bb.280:
	s_andn2_saveexec_b64 s[6:7], s[4:5]
; %bb.281:
	v_mov_b32_e32 v32, 0
	v_or_b32_e32 v36, 0x10000, v30
	v_cmp_eq_u32_sdwa s[4:5], v30, v32 src0_sel:WORD_0 src1_sel:DWORD
	s_nop 1
	v_cndmask_b32_e64 v32, v36, v30, s[4:5]
; %bb.282:
	s_or_b64 exec, exec, s[6:7]
	v_and_b32_e32 v31, 0xffff0000, v31
	v_lshlrev_b32_e32 v30, 16, v33
	v_fmac_f32_e32 v31, v30, v1
	s_mov_b32 s3, 0x7f800000
	v_and_b32_e32 v30, 0x7f800000, v31
	v_cmp_ne_u32_e64 s[4:5], s3, v30
                                        ; implicit-def: $vgpr30
	s_and_saveexec_b64 s[6:7], s[4:5]
	s_xor_b64 s[4:5], exec, s[6:7]
; %bb.283:
	v_bfe_u32 v30, v31, 16, 1
	s_movk_i32 s3, 0x7fff
	v_add3_u32 v30, v31, v30, s3
                                        ; implicit-def: $vgpr31
; %bb.284:
	s_andn2_saveexec_b64 s[6:7], s[4:5]
; %bb.285:
	v_mov_b32_e32 v30, 0
	v_or_b32_e32 v36, 0x10000, v31
	v_cmp_eq_u32_sdwa s[4:5], v31, v30 src0_sel:WORD_0 src1_sel:DWORD
	s_nop 1
	v_cndmask_b32_e64 v30, v36, v31, s[4:5]
; %bb.286:
	s_or_b64 exec, exec, s[6:7]
	v_and_b32_e32 v32, 0xffff0000, v32
	v_and_b32_e32 v31, 0xffff0000, v33
	v_fmac_f32_e32 v32, v31, v66
	s_mov_b32 s3, 0x7f800000
	v_and_b32_e32 v31, 0x7f800000, v32
	v_cmp_ne_u32_e64 s[4:5], s3, v31
                                        ; implicit-def: $vgpr31
	s_and_saveexec_b64 s[6:7], s[4:5]
	s_xor_b64 s[4:5], exec, s[6:7]
; %bb.287:
	v_bfe_u32 v31, v32, 16, 1
	s_movk_i32 s3, 0x7fff
	v_add3_u32 v31, v32, v31, s3
                                        ; implicit-def: $vgpr32
; %bb.288:
	s_andn2_saveexec_b64 s[6:7], s[4:5]
; %bb.289:
	v_mov_b32_e32 v31, 0
	v_or_b32_e32 v33, 0x10000, v32
	v_cmp_eq_u32_sdwa s[4:5], v32, v31 src0_sel:WORD_0 src1_sel:DWORD
	s_nop 1
	v_cndmask_b32_e64 v31, v33, v32, s[4:5]
; %bb.290:
	s_or_b64 exec, exec, s[6:7]
	s_waitcnt vmcnt(6)
	v_lshlrev_b32_e32 v32, 16, v26
	v_mul_f32_e32 v33, v72, v32
	s_mov_b32 s3, 0x7f800000
	v_and_b32_e32 v32, 0x7f800000, v33
	v_cmp_ne_u32_e64 s[4:5], s3, v32
                                        ; implicit-def: $vgpr32
	s_and_saveexec_b64 s[6:7], s[4:5]
	s_xor_b64 s[4:5], exec, s[6:7]
; %bb.291:
	v_bfe_u32 v32, v33, 16, 1
	s_movk_i32 s3, 0x7fff
	v_add3_u32 v32, v33, v32, s3
                                        ; implicit-def: $vgpr33
; %bb.292:
	s_andn2_saveexec_b64 s[6:7], s[4:5]
; %bb.293:
	v_mov_b32_e32 v32, 0
	v_or_b32_e32 v36, 0x10000, v33
	v_cmp_eq_u32_sdwa s[4:5], v33, v32 src0_sel:WORD_0 src1_sel:DWORD
	s_nop 1
	v_cndmask_b32_e64 v32, v36, v33, s[4:5]
; %bb.294:
	s_or_b64 exec, exec, s[6:7]
	v_and_b32_e32 v26, 0xffff0000, v26
	v_mul_f32_e32 v33, v71, v26
	s_mov_b32 s3, 0x7f800000
	v_and_b32_e32 v26, 0x7f800000, v33
	v_cmp_ne_u32_e64 s[4:5], s3, v26
                                        ; implicit-def: $vgpr26
	s_and_saveexec_b64 s[6:7], s[4:5]
	s_xor_b64 s[4:5], exec, s[6:7]
; %bb.295:
	v_bfe_u32 v26, v33, 16, 1
	s_movk_i32 s3, 0x7fff
	v_add3_u32 v26, v33, v26, s3
                                        ; implicit-def: $vgpr33
; %bb.296:
	s_andn2_saveexec_b64 s[6:7], s[4:5]
; %bb.297:
	v_mov_b32_e32 v26, 0
	v_or_b32_e32 v36, 0x10000, v33
	v_cmp_eq_u32_sdwa s[4:5], v33, v26 src0_sel:WORD_0 src1_sel:DWORD
	s_nop 1
	v_cndmask_b32_e64 v26, v36, v33, s[4:5]
; %bb.298:
	s_or_b64 exec, exec, s[6:7]
	v_and_b32_e32 v33, 0xffff0000, v32
	v_lshlrev_b32_e32 v32, 16, v27
	v_fmac_f32_e32 v33, v32, v70
	s_mov_b32 s3, 0x7f800000
	v_and_b32_e32 v32, 0x7f800000, v33
	v_cmp_ne_u32_e64 s[4:5], s3, v32
                                        ; implicit-def: $vgpr32
	s_and_saveexec_b64 s[6:7], s[4:5]
	s_xor_b64 s[4:5], exec, s[6:7]
; %bb.299:
	v_bfe_u32 v32, v33, 16, 1
	s_movk_i32 s3, 0x7fff
	v_add3_u32 v32, v33, v32, s3
                                        ; implicit-def: $vgpr33
; %bb.300:
	s_andn2_saveexec_b64 s[6:7], s[4:5]
; %bb.301:
	v_mov_b32_e32 v32, 0
	v_or_b32_e32 v36, 0x10000, v33
	v_cmp_eq_u32_sdwa s[4:5], v33, v32 src0_sel:WORD_0 src1_sel:DWORD
	s_nop 1
	v_cndmask_b32_e64 v32, v36, v33, s[4:5]
; %bb.302:
	s_or_b64 exec, exec, s[6:7]
	v_and_b32_e32 v33, 0xffff0000, v26
	v_and_b32_e32 v26, 0xffff0000, v27
	v_fmac_f32_e32 v33, v26, v69
	s_mov_b32 s3, 0x7f800000
	v_and_b32_e32 v26, 0x7f800000, v33
	v_cmp_ne_u32_e64 s[4:5], s3, v26
                                        ; implicit-def: $vgpr26
	s_and_saveexec_b64 s[6:7], s[4:5]
	s_xor_b64 s[4:5], exec, s[6:7]
; %bb.303:
	v_bfe_u32 v26, v33, 16, 1
	s_movk_i32 s3, 0x7fff
	v_add3_u32 v26, v33, v26, s3
                                        ; implicit-def: $vgpr33
; %bb.304:
	s_andn2_saveexec_b64 s[6:7], s[4:5]
; %bb.305:
	v_mov_b32_e32 v26, 0
	v_or_b32_e32 v27, 0x10000, v33
	v_cmp_eq_u32_sdwa s[4:5], v33, v26 src0_sel:WORD_0 src1_sel:DWORD
	s_nop 1
	v_cndmask_b32_e64 v26, v27, v33, s[4:5]
; %bb.306:
	s_or_b64 exec, exec, s[6:7]
	v_and_b32_e32 v32, 0xffff0000, v32
	v_lshlrev_b32_e32 v27, 16, v28
	v_fmac_f32_e32 v32, v27, v68
	s_mov_b32 s3, 0x7f800000
	v_and_b32_e32 v27, 0x7f800000, v32
	v_cmp_ne_u32_e64 s[4:5], s3, v27
                                        ; implicit-def: $vgpr27
	s_and_saveexec_b64 s[6:7], s[4:5]
	s_xor_b64 s[4:5], exec, s[6:7]
; %bb.307:
	v_bfe_u32 v27, v32, 16, 1
	s_movk_i32 s3, 0x7fff
	v_add3_u32 v27, v32, v27, s3
                                        ; implicit-def: $vgpr32
; %bb.308:
	s_andn2_saveexec_b64 s[6:7], s[4:5]
; %bb.309:
	v_mov_b32_e32 v27, 0
	v_or_b32_e32 v33, 0x10000, v32
	v_cmp_eq_u32_sdwa s[4:5], v32, v27 src0_sel:WORD_0 src1_sel:DWORD
	s_nop 1
	v_cndmask_b32_e64 v27, v33, v32, s[4:5]
; %bb.310:
	s_or_b64 exec, exec, s[6:7]
	v_and_b32_e32 v26, 0xffff0000, v26
	v_and_b32_e32 v28, 0xffff0000, v28
	v_fmac_f32_e32 v26, v28, v67
	s_mov_b32 s3, 0x7f800000
	v_and_b32_e32 v28, 0x7f800000, v26
	v_cmp_ne_u32_e64 s[4:5], s3, v28
                                        ; implicit-def: $vgpr28
	s_and_saveexec_b64 s[6:7], s[4:5]
	s_xor_b64 s[4:5], exec, s[6:7]
; %bb.311:
	v_bfe_u32 v28, v26, 16, 1
	s_movk_i32 s3, 0x7fff
	v_add3_u32 v28, v26, v28, s3
                                        ; implicit-def: $vgpr26
; %bb.312:
	s_andn2_saveexec_b64 s[6:7], s[4:5]
; %bb.313:
	v_mov_b32_e32 v28, 0
	v_or_b32_e32 v32, 0x10000, v26
	v_cmp_eq_u32_sdwa s[4:5], v26, v28 src0_sel:WORD_0 src1_sel:DWORD
	s_nop 1
	v_cndmask_b32_e64 v28, v32, v26, s[4:5]
; %bb.314:
	s_or_b64 exec, exec, s[6:7]
	v_and_b32_e32 v27, 0xffff0000, v27
	v_lshlrev_b32_e32 v26, 16, v29
	v_fmac_f32_e32 v27, v26, v1
	s_mov_b32 s3, 0x7f800000
	v_and_b32_e32 v26, 0x7f800000, v27
	v_cmp_ne_u32_e64 s[4:5], s3, v26
                                        ; implicit-def: $vgpr26
	s_and_saveexec_b64 s[6:7], s[4:5]
	s_xor_b64 s[4:5], exec, s[6:7]
; %bb.315:
	v_bfe_u32 v26, v27, 16, 1
	s_movk_i32 s3, 0x7fff
	v_add3_u32 v26, v27, v26, s3
                                        ; implicit-def: $vgpr27
; %bb.316:
	s_andn2_saveexec_b64 s[6:7], s[4:5]
; %bb.317:
	v_mov_b32_e32 v26, 0
	v_or_b32_e32 v32, 0x10000, v27
	v_cmp_eq_u32_sdwa s[4:5], v27, v26 src0_sel:WORD_0 src1_sel:DWORD
	s_nop 1
	v_cndmask_b32_e64 v26, v32, v27, s[4:5]
; %bb.318:
	s_or_b64 exec, exec, s[6:7]
	v_and_b32_e32 v28, 0xffff0000, v28
	v_and_b32_e32 v27, 0xffff0000, v29
	v_fmac_f32_e32 v28, v27, v66
	s_mov_b32 s3, 0x7f800000
	v_and_b32_e32 v27, 0x7f800000, v28
	v_cmp_ne_u32_e64 s[4:5], s3, v27
                                        ; implicit-def: $vgpr27
	s_and_saveexec_b64 s[6:7], s[4:5]
	s_xor_b64 s[4:5], exec, s[6:7]
; %bb.319:
	v_bfe_u32 v27, v28, 16, 1
	s_movk_i32 s3, 0x7fff
	v_add3_u32 v27, v28, v27, s3
                                        ; implicit-def: $vgpr28
; %bb.320:
	s_andn2_saveexec_b64 s[6:7], s[4:5]
; %bb.321:
	v_mov_b32_e32 v27, 0
	v_or_b32_e32 v29, 0x10000, v28
	v_cmp_eq_u32_sdwa s[4:5], v28, v27 src0_sel:WORD_0 src1_sel:DWORD
	s_nop 1
	v_cndmask_b32_e64 v27, v29, v28, s[4:5]
; %bb.322:
	s_or_b64 exec, exec, s[6:7]
	s_waitcnt vmcnt(5)
	v_lshlrev_b32_e32 v28, 16, v22
	v_mul_f32_e32 v29, v72, v28
	s_mov_b32 s3, 0x7f800000
	v_and_b32_e32 v28, 0x7f800000, v29
	v_cmp_ne_u32_e64 s[4:5], s3, v28
                                        ; implicit-def: $vgpr28
	s_and_saveexec_b64 s[6:7], s[4:5]
	s_xor_b64 s[4:5], exec, s[6:7]
; %bb.323:
	v_bfe_u32 v28, v29, 16, 1
	s_movk_i32 s3, 0x7fff
	v_add3_u32 v28, v29, v28, s3
                                        ; implicit-def: $vgpr29
; %bb.324:
	s_andn2_saveexec_b64 s[6:7], s[4:5]
; %bb.325:
	v_mov_b32_e32 v28, 0
	v_or_b32_e32 v32, 0x10000, v29
	v_cmp_eq_u32_sdwa s[4:5], v29, v28 src0_sel:WORD_0 src1_sel:DWORD
	s_nop 1
	v_cndmask_b32_e64 v28, v32, v29, s[4:5]
; %bb.326:
	s_or_b64 exec, exec, s[6:7]
	v_and_b32_e32 v22, 0xffff0000, v22
	v_mul_f32_e32 v29, v71, v22
	s_mov_b32 s3, 0x7f800000
	v_and_b32_e32 v22, 0x7f800000, v29
	v_cmp_ne_u32_e64 s[4:5], s3, v22
                                        ; implicit-def: $vgpr22
	s_and_saveexec_b64 s[6:7], s[4:5]
	s_xor_b64 s[4:5], exec, s[6:7]
; %bb.327:
	v_bfe_u32 v22, v29, 16, 1
	s_movk_i32 s3, 0x7fff
	v_add3_u32 v22, v29, v22, s3
                                        ; implicit-def: $vgpr29
; %bb.328:
	s_andn2_saveexec_b64 s[6:7], s[4:5]
; %bb.329:
	v_mov_b32_e32 v22, 0
	v_or_b32_e32 v32, 0x10000, v29
	v_cmp_eq_u32_sdwa s[4:5], v29, v22 src0_sel:WORD_0 src1_sel:DWORD
	s_nop 1
	v_cndmask_b32_e64 v22, v32, v29, s[4:5]
; %bb.330:
	s_or_b64 exec, exec, s[6:7]
	v_and_b32_e32 v29, 0xffff0000, v28
	v_lshlrev_b32_e32 v28, 16, v23
	v_fmac_f32_e32 v29, v28, v70
	s_mov_b32 s3, 0x7f800000
	v_and_b32_e32 v28, 0x7f800000, v29
	v_cmp_ne_u32_e64 s[4:5], s3, v28
                                        ; implicit-def: $vgpr28
	s_and_saveexec_b64 s[6:7], s[4:5]
	s_xor_b64 s[4:5], exec, s[6:7]
; %bb.331:
	v_bfe_u32 v28, v29, 16, 1
	s_movk_i32 s3, 0x7fff
	v_add3_u32 v28, v29, v28, s3
                                        ; implicit-def: $vgpr29
; %bb.332:
	s_andn2_saveexec_b64 s[6:7], s[4:5]
; %bb.333:
	v_mov_b32_e32 v28, 0
	v_or_b32_e32 v32, 0x10000, v29
	v_cmp_eq_u32_sdwa s[4:5], v29, v28 src0_sel:WORD_0 src1_sel:DWORD
	s_nop 1
	v_cndmask_b32_e64 v28, v32, v29, s[4:5]
; %bb.334:
	s_or_b64 exec, exec, s[6:7]
	v_and_b32_e32 v29, 0xffff0000, v22
	v_and_b32_e32 v22, 0xffff0000, v23
	v_fmac_f32_e32 v29, v22, v69
	s_mov_b32 s3, 0x7f800000
	v_and_b32_e32 v22, 0x7f800000, v29
	v_cmp_ne_u32_e64 s[4:5], s3, v22
                                        ; implicit-def: $vgpr22
	s_and_saveexec_b64 s[6:7], s[4:5]
	s_xor_b64 s[4:5], exec, s[6:7]
; %bb.335:
	v_bfe_u32 v22, v29, 16, 1
	s_movk_i32 s3, 0x7fff
	v_add3_u32 v22, v29, v22, s3
                                        ; implicit-def: $vgpr29
; %bb.336:
	s_andn2_saveexec_b64 s[6:7], s[4:5]
; %bb.337:
	v_mov_b32_e32 v22, 0
	v_or_b32_e32 v23, 0x10000, v29
	v_cmp_eq_u32_sdwa s[4:5], v29, v22 src0_sel:WORD_0 src1_sel:DWORD
	s_nop 1
	v_cndmask_b32_e64 v22, v23, v29, s[4:5]
; %bb.338:
	s_or_b64 exec, exec, s[6:7]
	v_and_b32_e32 v28, 0xffff0000, v28
	v_lshlrev_b32_e32 v23, 16, v24
	v_fmac_f32_e32 v28, v23, v68
	s_mov_b32 s3, 0x7f800000
	v_and_b32_e32 v23, 0x7f800000, v28
	v_cmp_ne_u32_e64 s[4:5], s3, v23
                                        ; implicit-def: $vgpr23
	s_and_saveexec_b64 s[6:7], s[4:5]
	s_xor_b64 s[4:5], exec, s[6:7]
; %bb.339:
	v_bfe_u32 v23, v28, 16, 1
	s_movk_i32 s3, 0x7fff
	v_add3_u32 v23, v28, v23, s3
                                        ; implicit-def: $vgpr28
; %bb.340:
	s_andn2_saveexec_b64 s[6:7], s[4:5]
; %bb.341:
	v_mov_b32_e32 v23, 0
	v_or_b32_e32 v29, 0x10000, v28
	v_cmp_eq_u32_sdwa s[4:5], v28, v23 src0_sel:WORD_0 src1_sel:DWORD
	s_nop 1
	v_cndmask_b32_e64 v23, v29, v28, s[4:5]
; %bb.342:
	s_or_b64 exec, exec, s[6:7]
	v_and_b32_e32 v22, 0xffff0000, v22
	v_and_b32_e32 v24, 0xffff0000, v24
	v_fmac_f32_e32 v22, v24, v67
	s_mov_b32 s3, 0x7f800000
	v_and_b32_e32 v24, 0x7f800000, v22
	v_cmp_ne_u32_e64 s[4:5], s3, v24
                                        ; implicit-def: $vgpr24
	s_and_saveexec_b64 s[6:7], s[4:5]
	s_xor_b64 s[4:5], exec, s[6:7]
; %bb.343:
	v_bfe_u32 v24, v22, 16, 1
	s_movk_i32 s3, 0x7fff
	v_add3_u32 v24, v22, v24, s3
                                        ; implicit-def: $vgpr22
; %bb.344:
	s_andn2_saveexec_b64 s[6:7], s[4:5]
; %bb.345:
	v_mov_b32_e32 v24, 0
	v_or_b32_e32 v28, 0x10000, v22
	v_cmp_eq_u32_sdwa s[4:5], v22, v24 src0_sel:WORD_0 src1_sel:DWORD
	s_nop 1
	v_cndmask_b32_e64 v24, v28, v22, s[4:5]
; %bb.346:
	s_or_b64 exec, exec, s[6:7]
	v_and_b32_e32 v23, 0xffff0000, v23
	v_lshlrev_b32_e32 v22, 16, v25
	v_fmac_f32_e32 v23, v22, v1
	s_mov_b32 s3, 0x7f800000
	v_and_b32_e32 v22, 0x7f800000, v23
	v_cmp_ne_u32_e64 s[4:5], s3, v22
                                        ; implicit-def: $vgpr22
	s_and_saveexec_b64 s[6:7], s[4:5]
	s_xor_b64 s[4:5], exec, s[6:7]
; %bb.347:
	v_bfe_u32 v22, v23, 16, 1
	s_movk_i32 s3, 0x7fff
	v_add3_u32 v22, v23, v22, s3
                                        ; implicit-def: $vgpr23
; %bb.348:
	s_andn2_saveexec_b64 s[6:7], s[4:5]
; %bb.349:
	v_mov_b32_e32 v22, 0
	v_or_b32_e32 v28, 0x10000, v23
	v_cmp_eq_u32_sdwa s[4:5], v23, v22 src0_sel:WORD_0 src1_sel:DWORD
	s_nop 1
	v_cndmask_b32_e64 v22, v28, v23, s[4:5]
; %bb.350:
	s_or_b64 exec, exec, s[6:7]
	v_and_b32_e32 v24, 0xffff0000, v24
	v_and_b32_e32 v23, 0xffff0000, v25
	v_fmac_f32_e32 v24, v23, v66
	s_mov_b32 s3, 0x7f800000
	v_and_b32_e32 v23, 0x7f800000, v24
	v_cmp_ne_u32_e64 s[4:5], s3, v23
                                        ; implicit-def: $vgpr23
	s_and_saveexec_b64 s[6:7], s[4:5]
	s_xor_b64 s[4:5], exec, s[6:7]
; %bb.351:
	v_bfe_u32 v23, v24, 16, 1
	s_movk_i32 s3, 0x7fff
	v_add3_u32 v23, v24, v23, s3
                                        ; implicit-def: $vgpr24
; %bb.352:
	s_andn2_saveexec_b64 s[6:7], s[4:5]
; %bb.353:
	v_mov_b32_e32 v23, 0
	v_or_b32_e32 v25, 0x10000, v24
	v_cmp_eq_u32_sdwa s[4:5], v24, v23 src0_sel:WORD_0 src1_sel:DWORD
	s_nop 1
	v_cndmask_b32_e64 v23, v25, v24, s[4:5]
; %bb.354:
	s_or_b64 exec, exec, s[6:7]
	s_waitcnt vmcnt(4)
	v_lshlrev_b32_e32 v24, 16, v18
	v_mul_f32_e32 v25, v72, v24
	s_mov_b32 s3, 0x7f800000
	v_and_b32_e32 v24, 0x7f800000, v25
	v_cmp_ne_u32_e64 s[4:5], s3, v24
                                        ; implicit-def: $vgpr24
	s_and_saveexec_b64 s[6:7], s[4:5]
	s_xor_b64 s[4:5], exec, s[6:7]
; %bb.355:
	v_bfe_u32 v24, v25, 16, 1
	s_movk_i32 s3, 0x7fff
	v_add3_u32 v24, v25, v24, s3
                                        ; implicit-def: $vgpr25
; %bb.356:
	s_andn2_saveexec_b64 s[6:7], s[4:5]
; %bb.357:
	v_mov_b32_e32 v24, 0
	v_or_b32_e32 v28, 0x10000, v25
	v_cmp_eq_u32_sdwa s[4:5], v25, v24 src0_sel:WORD_0 src1_sel:DWORD
	s_nop 1
	v_cndmask_b32_e64 v24, v28, v25, s[4:5]
; %bb.358:
	s_or_b64 exec, exec, s[6:7]
	v_and_b32_e32 v18, 0xffff0000, v18
	v_mul_f32_e32 v25, v71, v18
	s_mov_b32 s3, 0x7f800000
	v_and_b32_e32 v18, 0x7f800000, v25
	v_cmp_ne_u32_e64 s[4:5], s3, v18
                                        ; implicit-def: $vgpr18
	s_and_saveexec_b64 s[6:7], s[4:5]
	s_xor_b64 s[4:5], exec, s[6:7]
; %bb.359:
	v_bfe_u32 v18, v25, 16, 1
	s_movk_i32 s3, 0x7fff
	v_add3_u32 v18, v25, v18, s3
                                        ; implicit-def: $vgpr25
; %bb.360:
	s_andn2_saveexec_b64 s[6:7], s[4:5]
; %bb.361:
	v_mov_b32_e32 v18, 0
	v_or_b32_e32 v28, 0x10000, v25
	v_cmp_eq_u32_sdwa s[4:5], v25, v18 src0_sel:WORD_0 src1_sel:DWORD
	s_nop 1
	v_cndmask_b32_e64 v18, v28, v25, s[4:5]
; %bb.362:
	s_or_b64 exec, exec, s[6:7]
	v_and_b32_e32 v25, 0xffff0000, v24
	v_lshlrev_b32_e32 v24, 16, v19
	v_fmac_f32_e32 v25, v24, v70
	s_mov_b32 s3, 0x7f800000
	v_and_b32_e32 v24, 0x7f800000, v25
	v_cmp_ne_u32_e64 s[4:5], s3, v24
                                        ; implicit-def: $vgpr24
	s_and_saveexec_b64 s[6:7], s[4:5]
	s_xor_b64 s[4:5], exec, s[6:7]
; %bb.363:
	v_bfe_u32 v24, v25, 16, 1
	s_movk_i32 s3, 0x7fff
	v_add3_u32 v24, v25, v24, s3
                                        ; implicit-def: $vgpr25
; %bb.364:
	s_andn2_saveexec_b64 s[6:7], s[4:5]
; %bb.365:
	v_mov_b32_e32 v24, 0
	v_or_b32_e32 v28, 0x10000, v25
	v_cmp_eq_u32_sdwa s[4:5], v25, v24 src0_sel:WORD_0 src1_sel:DWORD
	s_nop 1
	v_cndmask_b32_e64 v24, v28, v25, s[4:5]
; %bb.366:
	s_or_b64 exec, exec, s[6:7]
	v_and_b32_e32 v25, 0xffff0000, v18
	v_and_b32_e32 v18, 0xffff0000, v19
	v_fmac_f32_e32 v25, v18, v69
	s_mov_b32 s3, 0x7f800000
	v_and_b32_e32 v18, 0x7f800000, v25
	v_cmp_ne_u32_e64 s[4:5], s3, v18
                                        ; implicit-def: $vgpr18
	s_and_saveexec_b64 s[6:7], s[4:5]
	s_xor_b64 s[4:5], exec, s[6:7]
; %bb.367:
	v_bfe_u32 v18, v25, 16, 1
	s_movk_i32 s3, 0x7fff
	v_add3_u32 v18, v25, v18, s3
                                        ; implicit-def: $vgpr25
; %bb.368:
	s_andn2_saveexec_b64 s[6:7], s[4:5]
; %bb.369:
	v_mov_b32_e32 v18, 0
	v_or_b32_e32 v19, 0x10000, v25
	v_cmp_eq_u32_sdwa s[4:5], v25, v18 src0_sel:WORD_0 src1_sel:DWORD
	s_nop 1
	v_cndmask_b32_e64 v18, v19, v25, s[4:5]
; %bb.370:
	s_or_b64 exec, exec, s[6:7]
	v_and_b32_e32 v24, 0xffff0000, v24
	v_lshlrev_b32_e32 v19, 16, v20
	v_fmac_f32_e32 v24, v19, v68
	s_mov_b32 s3, 0x7f800000
	v_and_b32_e32 v19, 0x7f800000, v24
	v_cmp_ne_u32_e64 s[4:5], s3, v19
                                        ; implicit-def: $vgpr19
	s_and_saveexec_b64 s[6:7], s[4:5]
	s_xor_b64 s[4:5], exec, s[6:7]
; %bb.371:
	v_bfe_u32 v19, v24, 16, 1
	s_movk_i32 s3, 0x7fff
	v_add3_u32 v19, v24, v19, s3
                                        ; implicit-def: $vgpr24
; %bb.372:
	s_andn2_saveexec_b64 s[6:7], s[4:5]
; %bb.373:
	v_mov_b32_e32 v19, 0
	v_or_b32_e32 v25, 0x10000, v24
	v_cmp_eq_u32_sdwa s[4:5], v24, v19 src0_sel:WORD_0 src1_sel:DWORD
	s_nop 1
	v_cndmask_b32_e64 v19, v25, v24, s[4:5]
; %bb.374:
	s_or_b64 exec, exec, s[6:7]
	v_and_b32_e32 v18, 0xffff0000, v18
	v_and_b32_e32 v20, 0xffff0000, v20
	v_fmac_f32_e32 v18, v20, v67
	s_mov_b32 s3, 0x7f800000
	v_and_b32_e32 v20, 0x7f800000, v18
	v_cmp_ne_u32_e64 s[4:5], s3, v20
                                        ; implicit-def: $vgpr20
	s_and_saveexec_b64 s[6:7], s[4:5]
	s_xor_b64 s[4:5], exec, s[6:7]
; %bb.375:
	v_bfe_u32 v20, v18, 16, 1
	s_movk_i32 s3, 0x7fff
	v_add3_u32 v20, v18, v20, s3
                                        ; implicit-def: $vgpr18
; %bb.376:
	s_andn2_saveexec_b64 s[6:7], s[4:5]
; %bb.377:
	v_mov_b32_e32 v20, 0
	v_or_b32_e32 v24, 0x10000, v18
	v_cmp_eq_u32_sdwa s[4:5], v18, v20 src0_sel:WORD_0 src1_sel:DWORD
	s_nop 1
	v_cndmask_b32_e64 v20, v24, v18, s[4:5]
; %bb.378:
	s_or_b64 exec, exec, s[6:7]
	v_and_b32_e32 v19, 0xffff0000, v19
	v_lshlrev_b32_e32 v18, 16, v21
	v_fmac_f32_e32 v19, v18, v1
	s_mov_b32 s3, 0x7f800000
	v_and_b32_e32 v18, 0x7f800000, v19
	v_cmp_ne_u32_e64 s[4:5], s3, v18
                                        ; implicit-def: $vgpr18
	s_and_saveexec_b64 s[6:7], s[4:5]
	s_xor_b64 s[4:5], exec, s[6:7]
; %bb.379:
	v_bfe_u32 v18, v19, 16, 1
	s_movk_i32 s3, 0x7fff
	v_add3_u32 v18, v19, v18, s3
                                        ; implicit-def: $vgpr19
; %bb.380:
	s_andn2_saveexec_b64 s[6:7], s[4:5]
; %bb.381:
	v_mov_b32_e32 v18, 0
	v_or_b32_e32 v24, 0x10000, v19
	v_cmp_eq_u32_sdwa s[4:5], v19, v18 src0_sel:WORD_0 src1_sel:DWORD
	s_nop 1
	v_cndmask_b32_e64 v18, v24, v19, s[4:5]
; %bb.382:
	s_or_b64 exec, exec, s[6:7]
	v_and_b32_e32 v20, 0xffff0000, v20
	v_and_b32_e32 v19, 0xffff0000, v21
	v_fmac_f32_e32 v20, v19, v66
	s_mov_b32 s3, 0x7f800000
	v_and_b32_e32 v19, 0x7f800000, v20
	v_cmp_ne_u32_e64 s[4:5], s3, v19
                                        ; implicit-def: $vgpr19
	s_and_saveexec_b64 s[6:7], s[4:5]
	s_xor_b64 s[4:5], exec, s[6:7]
; %bb.383:
	v_bfe_u32 v19, v20, 16, 1
	s_movk_i32 s3, 0x7fff
	v_add3_u32 v19, v20, v19, s3
                                        ; implicit-def: $vgpr20
; %bb.384:
	s_andn2_saveexec_b64 s[6:7], s[4:5]
; %bb.385:
	v_mov_b32_e32 v19, 0
	v_or_b32_e32 v21, 0x10000, v20
	v_cmp_eq_u32_sdwa s[4:5], v20, v19 src0_sel:WORD_0 src1_sel:DWORD
	s_nop 1
	v_cndmask_b32_e64 v19, v21, v20, s[4:5]
; %bb.386:
	s_or_b64 exec, exec, s[6:7]
	s_waitcnt vmcnt(3)
	v_lshlrev_b32_e32 v20, 16, v14
	v_mul_f32_e32 v21, v72, v20
	s_mov_b32 s3, 0x7f800000
	v_and_b32_e32 v20, 0x7f800000, v21
	v_cmp_ne_u32_e64 s[4:5], s3, v20
                                        ; implicit-def: $vgpr20
	s_and_saveexec_b64 s[6:7], s[4:5]
	s_xor_b64 s[4:5], exec, s[6:7]
; %bb.387:
	v_bfe_u32 v20, v21, 16, 1
	s_movk_i32 s3, 0x7fff
	v_add3_u32 v20, v21, v20, s3
                                        ; implicit-def: $vgpr21
; %bb.388:
	s_andn2_saveexec_b64 s[6:7], s[4:5]
; %bb.389:
	v_mov_b32_e32 v20, 0
	v_or_b32_e32 v24, 0x10000, v21
	v_cmp_eq_u32_sdwa s[4:5], v21, v20 src0_sel:WORD_0 src1_sel:DWORD
	s_nop 1
	v_cndmask_b32_e64 v20, v24, v21, s[4:5]
; %bb.390:
	s_or_b64 exec, exec, s[6:7]
	v_and_b32_e32 v14, 0xffff0000, v14
	v_mul_f32_e32 v21, v71, v14
	s_mov_b32 s3, 0x7f800000
	v_and_b32_e32 v14, 0x7f800000, v21
	v_cmp_ne_u32_e64 s[4:5], s3, v14
                                        ; implicit-def: $vgpr14
	s_and_saveexec_b64 s[6:7], s[4:5]
	s_xor_b64 s[4:5], exec, s[6:7]
; %bb.391:
	v_bfe_u32 v14, v21, 16, 1
	s_movk_i32 s3, 0x7fff
	v_add3_u32 v14, v21, v14, s3
                                        ; implicit-def: $vgpr21
; %bb.392:
	s_andn2_saveexec_b64 s[6:7], s[4:5]
; %bb.393:
	v_mov_b32_e32 v14, 0
	v_or_b32_e32 v24, 0x10000, v21
	v_cmp_eq_u32_sdwa s[4:5], v21, v14 src0_sel:WORD_0 src1_sel:DWORD
	s_nop 1
	v_cndmask_b32_e64 v14, v24, v21, s[4:5]
; %bb.394:
	s_or_b64 exec, exec, s[6:7]
	v_and_b32_e32 v21, 0xffff0000, v20
	v_lshlrev_b32_e32 v20, 16, v15
	v_fmac_f32_e32 v21, v20, v70
	s_mov_b32 s3, 0x7f800000
	v_and_b32_e32 v20, 0x7f800000, v21
	v_cmp_ne_u32_e64 s[4:5], s3, v20
                                        ; implicit-def: $vgpr20
	s_and_saveexec_b64 s[6:7], s[4:5]
	s_xor_b64 s[4:5], exec, s[6:7]
; %bb.395:
	v_bfe_u32 v20, v21, 16, 1
	s_movk_i32 s3, 0x7fff
	v_add3_u32 v20, v21, v20, s3
                                        ; implicit-def: $vgpr21
; %bb.396:
	s_andn2_saveexec_b64 s[6:7], s[4:5]
; %bb.397:
	v_mov_b32_e32 v20, 0
	v_or_b32_e32 v24, 0x10000, v21
	v_cmp_eq_u32_sdwa s[4:5], v21, v20 src0_sel:WORD_0 src1_sel:DWORD
	s_nop 1
	v_cndmask_b32_e64 v20, v24, v21, s[4:5]
; %bb.398:
	s_or_b64 exec, exec, s[6:7]
	v_and_b32_e32 v21, 0xffff0000, v14
	v_and_b32_e32 v14, 0xffff0000, v15
	v_fmac_f32_e32 v21, v14, v69
	s_mov_b32 s3, 0x7f800000
	v_and_b32_e32 v14, 0x7f800000, v21
	v_cmp_ne_u32_e64 s[4:5], s3, v14
                                        ; implicit-def: $vgpr14
	s_and_saveexec_b64 s[6:7], s[4:5]
	s_xor_b64 s[4:5], exec, s[6:7]
; %bb.399:
	v_bfe_u32 v14, v21, 16, 1
	s_movk_i32 s3, 0x7fff
	v_add3_u32 v14, v21, v14, s3
                                        ; implicit-def: $vgpr21
; %bb.400:
	s_andn2_saveexec_b64 s[6:7], s[4:5]
; %bb.401:
	v_mov_b32_e32 v14, 0
	v_or_b32_e32 v15, 0x10000, v21
	v_cmp_eq_u32_sdwa s[4:5], v21, v14 src0_sel:WORD_0 src1_sel:DWORD
	s_nop 1
	v_cndmask_b32_e64 v14, v15, v21, s[4:5]
; %bb.402:
	s_or_b64 exec, exec, s[6:7]
	v_and_b32_e32 v20, 0xffff0000, v20
	v_lshlrev_b32_e32 v15, 16, v16
	v_fmac_f32_e32 v20, v15, v68
	s_mov_b32 s3, 0x7f800000
	v_and_b32_e32 v15, 0x7f800000, v20
	v_cmp_ne_u32_e64 s[4:5], s3, v15
                                        ; implicit-def: $vgpr15
	s_and_saveexec_b64 s[6:7], s[4:5]
	s_xor_b64 s[4:5], exec, s[6:7]
; %bb.403:
	v_bfe_u32 v15, v20, 16, 1
	s_movk_i32 s3, 0x7fff
	v_add3_u32 v15, v20, v15, s3
                                        ; implicit-def: $vgpr20
; %bb.404:
	s_andn2_saveexec_b64 s[6:7], s[4:5]
; %bb.405:
	v_mov_b32_e32 v15, 0
	v_or_b32_e32 v21, 0x10000, v20
	v_cmp_eq_u32_sdwa s[4:5], v20, v15 src0_sel:WORD_0 src1_sel:DWORD
	s_nop 1
	v_cndmask_b32_e64 v15, v21, v20, s[4:5]
; %bb.406:
	s_or_b64 exec, exec, s[6:7]
	v_and_b32_e32 v14, 0xffff0000, v14
	v_and_b32_e32 v16, 0xffff0000, v16
	v_fmac_f32_e32 v14, v16, v67
	s_mov_b32 s3, 0x7f800000
	v_and_b32_e32 v16, 0x7f800000, v14
	v_cmp_ne_u32_e64 s[4:5], s3, v16
                                        ; implicit-def: $vgpr16
	s_and_saveexec_b64 s[6:7], s[4:5]
	s_xor_b64 s[4:5], exec, s[6:7]
; %bb.407:
	v_bfe_u32 v16, v14, 16, 1
	s_movk_i32 s3, 0x7fff
	v_add3_u32 v16, v14, v16, s3
                                        ; implicit-def: $vgpr14
; %bb.408:
	s_andn2_saveexec_b64 s[6:7], s[4:5]
; %bb.409:
	v_mov_b32_e32 v16, 0
	v_or_b32_e32 v20, 0x10000, v14
	v_cmp_eq_u32_sdwa s[4:5], v14, v16 src0_sel:WORD_0 src1_sel:DWORD
	s_nop 1
	v_cndmask_b32_e64 v16, v20, v14, s[4:5]
; %bb.410:
	s_or_b64 exec, exec, s[6:7]
	v_and_b32_e32 v15, 0xffff0000, v15
	v_lshlrev_b32_e32 v14, 16, v17
	v_fmac_f32_e32 v15, v14, v1
	s_mov_b32 s3, 0x7f800000
	v_and_b32_e32 v14, 0x7f800000, v15
	v_cmp_ne_u32_e64 s[4:5], s3, v14
                                        ; implicit-def: $vgpr14
	s_and_saveexec_b64 s[6:7], s[4:5]
	s_xor_b64 s[4:5], exec, s[6:7]
; %bb.411:
	v_bfe_u32 v14, v15, 16, 1
	s_movk_i32 s3, 0x7fff
	v_add3_u32 v14, v15, v14, s3
                                        ; implicit-def: $vgpr15
; %bb.412:
	s_andn2_saveexec_b64 s[6:7], s[4:5]
; %bb.413:
	v_mov_b32_e32 v14, 0
	v_or_b32_e32 v20, 0x10000, v15
	v_cmp_eq_u32_sdwa s[4:5], v15, v14 src0_sel:WORD_0 src1_sel:DWORD
	s_nop 1
	v_cndmask_b32_e64 v14, v20, v15, s[4:5]
; %bb.414:
	s_or_b64 exec, exec, s[6:7]
	v_and_b32_e32 v16, 0xffff0000, v16
	v_and_b32_e32 v15, 0xffff0000, v17
	v_fmac_f32_e32 v16, v15, v66
	s_mov_b32 s3, 0x7f800000
	v_and_b32_e32 v15, 0x7f800000, v16
	v_cmp_ne_u32_e64 s[4:5], s3, v15
                                        ; implicit-def: $vgpr15
	s_and_saveexec_b64 s[6:7], s[4:5]
	s_xor_b64 s[4:5], exec, s[6:7]
; %bb.415:
	v_bfe_u32 v15, v16, 16, 1
	s_movk_i32 s3, 0x7fff
	v_add3_u32 v15, v16, v15, s3
                                        ; implicit-def: $vgpr16
; %bb.416:
	s_andn2_saveexec_b64 s[6:7], s[4:5]
; %bb.417:
	v_mov_b32_e32 v15, 0
	v_or_b32_e32 v17, 0x10000, v16
	v_cmp_eq_u32_sdwa s[4:5], v16, v15 src0_sel:WORD_0 src1_sel:DWORD
	s_nop 1
	v_cndmask_b32_e64 v15, v17, v16, s[4:5]
; %bb.418:
	s_or_b64 exec, exec, s[6:7]
	s_waitcnt vmcnt(2)
	v_lshlrev_b32_e32 v16, 16, v10
	v_mul_f32_e32 v17, v72, v16
	s_mov_b32 s3, 0x7f800000
	v_and_b32_e32 v16, 0x7f800000, v17
	v_cmp_ne_u32_e64 s[4:5], s3, v16
                                        ; implicit-def: $vgpr16
	s_and_saveexec_b64 s[6:7], s[4:5]
	s_xor_b64 s[4:5], exec, s[6:7]
; %bb.419:
	v_bfe_u32 v16, v17, 16, 1
	s_movk_i32 s3, 0x7fff
	v_add3_u32 v16, v17, v16, s3
                                        ; implicit-def: $vgpr17
; %bb.420:
	s_andn2_saveexec_b64 s[6:7], s[4:5]
; %bb.421:
	v_mov_b32_e32 v16, 0
	v_or_b32_e32 v20, 0x10000, v17
	v_cmp_eq_u32_sdwa s[4:5], v17, v16 src0_sel:WORD_0 src1_sel:DWORD
	s_nop 1
	v_cndmask_b32_e64 v16, v20, v17, s[4:5]
; %bb.422:
	s_or_b64 exec, exec, s[6:7]
	v_and_b32_e32 v10, 0xffff0000, v10
	v_mul_f32_e32 v17, v71, v10
	s_mov_b32 s3, 0x7f800000
	v_and_b32_e32 v10, 0x7f800000, v17
	v_cmp_ne_u32_e64 s[4:5], s3, v10
                                        ; implicit-def: $vgpr10
	s_and_saveexec_b64 s[6:7], s[4:5]
	s_xor_b64 s[4:5], exec, s[6:7]
; %bb.423:
	v_bfe_u32 v10, v17, 16, 1
	s_movk_i32 s3, 0x7fff
	v_add3_u32 v10, v17, v10, s3
                                        ; implicit-def: $vgpr17
; %bb.424:
	s_andn2_saveexec_b64 s[6:7], s[4:5]
; %bb.425:
	v_mov_b32_e32 v10, 0
	v_or_b32_e32 v20, 0x10000, v17
	v_cmp_eq_u32_sdwa s[4:5], v17, v10 src0_sel:WORD_0 src1_sel:DWORD
	s_nop 1
	v_cndmask_b32_e64 v10, v20, v17, s[4:5]
; %bb.426:
	s_or_b64 exec, exec, s[6:7]
	v_and_b32_e32 v17, 0xffff0000, v16
	v_lshlrev_b32_e32 v16, 16, v11
	v_fmac_f32_e32 v17, v16, v70
	s_mov_b32 s3, 0x7f800000
	v_and_b32_e32 v16, 0x7f800000, v17
	v_cmp_ne_u32_e64 s[4:5], s3, v16
                                        ; implicit-def: $vgpr16
	s_and_saveexec_b64 s[6:7], s[4:5]
	s_xor_b64 s[4:5], exec, s[6:7]
; %bb.427:
	v_bfe_u32 v16, v17, 16, 1
	s_movk_i32 s3, 0x7fff
	v_add3_u32 v16, v17, v16, s3
                                        ; implicit-def: $vgpr17
; %bb.428:
	s_andn2_saveexec_b64 s[6:7], s[4:5]
; %bb.429:
	v_mov_b32_e32 v16, 0
	v_or_b32_e32 v20, 0x10000, v17
	v_cmp_eq_u32_sdwa s[4:5], v17, v16 src0_sel:WORD_0 src1_sel:DWORD
	s_nop 1
	v_cndmask_b32_e64 v16, v20, v17, s[4:5]
; %bb.430:
	s_or_b64 exec, exec, s[6:7]
	v_and_b32_e32 v17, 0xffff0000, v10
	v_and_b32_e32 v10, 0xffff0000, v11
	v_fmac_f32_e32 v17, v10, v69
	s_mov_b32 s3, 0x7f800000
	v_and_b32_e32 v10, 0x7f800000, v17
	v_cmp_ne_u32_e64 s[4:5], s3, v10
                                        ; implicit-def: $vgpr10
	s_and_saveexec_b64 s[6:7], s[4:5]
	s_xor_b64 s[4:5], exec, s[6:7]
; %bb.431:
	v_bfe_u32 v10, v17, 16, 1
	s_movk_i32 s3, 0x7fff
	v_add3_u32 v10, v17, v10, s3
                                        ; implicit-def: $vgpr17
; %bb.432:
	s_andn2_saveexec_b64 s[6:7], s[4:5]
; %bb.433:
	v_mov_b32_e32 v10, 0
	v_or_b32_e32 v11, 0x10000, v17
	v_cmp_eq_u32_sdwa s[4:5], v17, v10 src0_sel:WORD_0 src1_sel:DWORD
	s_nop 1
	v_cndmask_b32_e64 v10, v11, v17, s[4:5]
; %bb.434:
	s_or_b64 exec, exec, s[6:7]
	v_and_b32_e32 v16, 0xffff0000, v16
	v_lshlrev_b32_e32 v11, 16, v12
	v_fmac_f32_e32 v16, v11, v68
	s_mov_b32 s3, 0x7f800000
	v_and_b32_e32 v11, 0x7f800000, v16
	v_cmp_ne_u32_e64 s[4:5], s3, v11
                                        ; implicit-def: $vgpr11
	s_and_saveexec_b64 s[6:7], s[4:5]
	s_xor_b64 s[4:5], exec, s[6:7]
; %bb.435:
	v_bfe_u32 v11, v16, 16, 1
	s_movk_i32 s3, 0x7fff
	v_add3_u32 v11, v16, v11, s3
                                        ; implicit-def: $vgpr16
; %bb.436:
	s_andn2_saveexec_b64 s[6:7], s[4:5]
; %bb.437:
	v_mov_b32_e32 v11, 0
	v_or_b32_e32 v17, 0x10000, v16
	v_cmp_eq_u32_sdwa s[4:5], v16, v11 src0_sel:WORD_0 src1_sel:DWORD
	s_nop 1
	v_cndmask_b32_e64 v11, v17, v16, s[4:5]
; %bb.438:
	s_or_b64 exec, exec, s[6:7]
	v_and_b32_e32 v10, 0xffff0000, v10
	v_and_b32_e32 v12, 0xffff0000, v12
	v_fmac_f32_e32 v10, v12, v67
	s_mov_b32 s3, 0x7f800000
	v_and_b32_e32 v12, 0x7f800000, v10
	v_cmp_ne_u32_e64 s[4:5], s3, v12
                                        ; implicit-def: $vgpr12
	s_and_saveexec_b64 s[6:7], s[4:5]
	s_xor_b64 s[4:5], exec, s[6:7]
; %bb.439:
	v_bfe_u32 v12, v10, 16, 1
	s_movk_i32 s3, 0x7fff
	v_add3_u32 v12, v10, v12, s3
                                        ; implicit-def: $vgpr10
; %bb.440:
	s_andn2_saveexec_b64 s[6:7], s[4:5]
; %bb.441:
	v_mov_b32_e32 v12, 0
	v_or_b32_e32 v16, 0x10000, v10
	v_cmp_eq_u32_sdwa s[4:5], v10, v12 src0_sel:WORD_0 src1_sel:DWORD
	s_nop 1
	v_cndmask_b32_e64 v12, v16, v10, s[4:5]
; %bb.442:
	s_or_b64 exec, exec, s[6:7]
	v_and_b32_e32 v11, 0xffff0000, v11
	v_lshlrev_b32_e32 v10, 16, v13
	v_fmac_f32_e32 v11, v10, v1
	s_mov_b32 s3, 0x7f800000
	v_and_b32_e32 v10, 0x7f800000, v11
	v_cmp_ne_u32_e64 s[4:5], s3, v10
                                        ; implicit-def: $vgpr10
	s_and_saveexec_b64 s[6:7], s[4:5]
	s_xor_b64 s[4:5], exec, s[6:7]
; %bb.443:
	v_bfe_u32 v10, v11, 16, 1
	s_movk_i32 s3, 0x7fff
	v_add3_u32 v10, v11, v10, s3
                                        ; implicit-def: $vgpr11
; %bb.444:
	s_andn2_saveexec_b64 s[6:7], s[4:5]
; %bb.445:
	v_mov_b32_e32 v10, 0
	v_or_b32_e32 v16, 0x10000, v11
	v_cmp_eq_u32_sdwa s[4:5], v11, v10 src0_sel:WORD_0 src1_sel:DWORD
	s_nop 1
	v_cndmask_b32_e64 v10, v16, v11, s[4:5]
; %bb.446:
	s_or_b64 exec, exec, s[6:7]
	v_and_b32_e32 v12, 0xffff0000, v12
	v_and_b32_e32 v11, 0xffff0000, v13
	v_fmac_f32_e32 v12, v11, v66
	s_mov_b32 s3, 0x7f800000
	v_and_b32_e32 v11, 0x7f800000, v12
	v_cmp_ne_u32_e64 s[4:5], s3, v11
                                        ; implicit-def: $vgpr11
	s_and_saveexec_b64 s[6:7], s[4:5]
	s_xor_b64 s[4:5], exec, s[6:7]
; %bb.447:
	v_bfe_u32 v11, v12, 16, 1
	s_movk_i32 s3, 0x7fff
	v_add3_u32 v11, v12, v11, s3
                                        ; implicit-def: $vgpr12
; %bb.448:
	s_andn2_saveexec_b64 s[6:7], s[4:5]
; %bb.449:
	v_mov_b32_e32 v11, 0
	v_or_b32_e32 v13, 0x10000, v12
	v_cmp_eq_u32_sdwa s[4:5], v12, v11 src0_sel:WORD_0 src1_sel:DWORD
	s_nop 1
	v_cndmask_b32_e64 v11, v13, v12, s[4:5]
; %bb.450:
	s_or_b64 exec, exec, s[6:7]
	s_waitcnt vmcnt(1)
	v_lshlrev_b32_e32 v12, 16, v6
	v_mul_f32_e32 v13, v72, v12
	s_mov_b32 s3, 0x7f800000
	v_and_b32_e32 v12, 0x7f800000, v13
	v_cmp_ne_u32_e64 s[4:5], s3, v12
                                        ; implicit-def: $vgpr12
	s_and_saveexec_b64 s[6:7], s[4:5]
	s_xor_b64 s[4:5], exec, s[6:7]
; %bb.451:
	v_bfe_u32 v12, v13, 16, 1
	s_movk_i32 s3, 0x7fff
	v_add3_u32 v12, v13, v12, s3
                                        ; implicit-def: $vgpr13
; %bb.452:
	s_andn2_saveexec_b64 s[6:7], s[4:5]
; %bb.453:
	v_mov_b32_e32 v12, 0
	v_or_b32_e32 v16, 0x10000, v13
	v_cmp_eq_u32_sdwa s[4:5], v13, v12 src0_sel:WORD_0 src1_sel:DWORD
	s_nop 1
	v_cndmask_b32_e64 v12, v16, v13, s[4:5]
; %bb.454:
	s_or_b64 exec, exec, s[6:7]
	v_and_b32_e32 v6, 0xffff0000, v6
	v_mul_f32_e32 v13, v71, v6
	s_mov_b32 s3, 0x7f800000
	v_and_b32_e32 v6, 0x7f800000, v13
	v_cmp_ne_u32_e64 s[4:5], s3, v6
                                        ; implicit-def: $vgpr6
	s_and_saveexec_b64 s[6:7], s[4:5]
	s_xor_b64 s[4:5], exec, s[6:7]
; %bb.455:
	v_bfe_u32 v6, v13, 16, 1
	s_movk_i32 s3, 0x7fff
	v_add3_u32 v6, v13, v6, s3
                                        ; implicit-def: $vgpr13
; %bb.456:
	s_andn2_saveexec_b64 s[6:7], s[4:5]
; %bb.457:
	v_mov_b32_e32 v6, 0
	v_or_b32_e32 v16, 0x10000, v13
	v_cmp_eq_u32_sdwa s[4:5], v13, v6 src0_sel:WORD_0 src1_sel:DWORD
	s_nop 1
	v_cndmask_b32_e64 v6, v16, v13, s[4:5]
; %bb.458:
	s_or_b64 exec, exec, s[6:7]
	v_and_b32_e32 v13, 0xffff0000, v12
	v_lshlrev_b32_e32 v12, 16, v7
	v_fmac_f32_e32 v13, v12, v70
	s_mov_b32 s3, 0x7f800000
	v_and_b32_e32 v12, 0x7f800000, v13
	v_cmp_ne_u32_e64 s[4:5], s3, v12
                                        ; implicit-def: $vgpr12
	s_and_saveexec_b64 s[6:7], s[4:5]
	s_xor_b64 s[4:5], exec, s[6:7]
; %bb.459:
	v_bfe_u32 v12, v13, 16, 1
	s_movk_i32 s3, 0x7fff
	v_add3_u32 v12, v13, v12, s3
                                        ; implicit-def: $vgpr13
; %bb.460:
	s_andn2_saveexec_b64 s[6:7], s[4:5]
; %bb.461:
	v_mov_b32_e32 v12, 0
	v_or_b32_e32 v16, 0x10000, v13
	v_cmp_eq_u32_sdwa s[4:5], v13, v12 src0_sel:WORD_0 src1_sel:DWORD
	s_nop 1
	v_cndmask_b32_e64 v12, v16, v13, s[4:5]
; %bb.462:
	s_or_b64 exec, exec, s[6:7]
	v_and_b32_e32 v13, 0xffff0000, v6
	v_and_b32_e32 v6, 0xffff0000, v7
	v_fmac_f32_e32 v13, v6, v69
	s_mov_b32 s3, 0x7f800000
	v_and_b32_e32 v6, 0x7f800000, v13
	v_cmp_ne_u32_e64 s[4:5], s3, v6
                                        ; implicit-def: $vgpr6
	s_and_saveexec_b64 s[6:7], s[4:5]
	s_xor_b64 s[4:5], exec, s[6:7]
; %bb.463:
	v_bfe_u32 v6, v13, 16, 1
	s_movk_i32 s3, 0x7fff
	v_add3_u32 v6, v13, v6, s3
                                        ; implicit-def: $vgpr13
; %bb.464:
	s_andn2_saveexec_b64 s[6:7], s[4:5]
; %bb.465:
	v_mov_b32_e32 v6, 0
	v_or_b32_e32 v7, 0x10000, v13
	v_cmp_eq_u32_sdwa s[4:5], v13, v6 src0_sel:WORD_0 src1_sel:DWORD
	s_nop 1
	v_cndmask_b32_e64 v6, v7, v13, s[4:5]
; %bb.466:
	s_or_b64 exec, exec, s[6:7]
	v_and_b32_e32 v12, 0xffff0000, v12
	v_lshlrev_b32_e32 v7, 16, v8
	v_fmac_f32_e32 v12, v7, v68
	s_mov_b32 s3, 0x7f800000
	v_and_b32_e32 v7, 0x7f800000, v12
	v_cmp_ne_u32_e64 s[4:5], s3, v7
                                        ; implicit-def: $vgpr7
	s_and_saveexec_b64 s[6:7], s[4:5]
	s_xor_b64 s[4:5], exec, s[6:7]
; %bb.467:
	v_bfe_u32 v7, v12, 16, 1
	s_movk_i32 s3, 0x7fff
	v_add3_u32 v7, v12, v7, s3
                                        ; implicit-def: $vgpr12
; %bb.468:
	s_andn2_saveexec_b64 s[6:7], s[4:5]
; %bb.469:
	v_mov_b32_e32 v7, 0
	v_or_b32_e32 v13, 0x10000, v12
	v_cmp_eq_u32_sdwa s[4:5], v12, v7 src0_sel:WORD_0 src1_sel:DWORD
	s_nop 1
	v_cndmask_b32_e64 v7, v13, v12, s[4:5]
; %bb.470:
	s_or_b64 exec, exec, s[6:7]
	v_and_b32_e32 v6, 0xffff0000, v6
	v_and_b32_e32 v8, 0xffff0000, v8
	v_fmac_f32_e32 v6, v8, v67
	s_mov_b32 s3, 0x7f800000
	v_and_b32_e32 v8, 0x7f800000, v6
	v_cmp_ne_u32_e64 s[4:5], s3, v8
                                        ; implicit-def: $vgpr8
	s_and_saveexec_b64 s[6:7], s[4:5]
	s_xor_b64 s[4:5], exec, s[6:7]
; %bb.471:
	v_bfe_u32 v8, v6, 16, 1
	s_movk_i32 s3, 0x7fff
	v_add3_u32 v8, v6, v8, s3
                                        ; implicit-def: $vgpr6
; %bb.472:
	s_andn2_saveexec_b64 s[6:7], s[4:5]
; %bb.473:
	v_mov_b32_e32 v8, 0
	v_or_b32_e32 v12, 0x10000, v6
	v_cmp_eq_u32_sdwa s[4:5], v6, v8 src0_sel:WORD_0 src1_sel:DWORD
	s_nop 1
	v_cndmask_b32_e64 v8, v12, v6, s[4:5]
; %bb.474:
	s_or_b64 exec, exec, s[6:7]
	v_and_b32_e32 v7, 0xffff0000, v7
	v_lshlrev_b32_e32 v6, 16, v9
	v_fmac_f32_e32 v7, v6, v1
	s_mov_b32 s3, 0x7f800000
	v_and_b32_e32 v6, 0x7f800000, v7
	v_cmp_ne_u32_e64 s[4:5], s3, v6
                                        ; implicit-def: $vgpr6
	s_and_saveexec_b64 s[6:7], s[4:5]
	s_xor_b64 s[4:5], exec, s[6:7]
; %bb.475:
	v_bfe_u32 v6, v7, 16, 1
	s_movk_i32 s3, 0x7fff
	v_add3_u32 v6, v7, v6, s3
                                        ; implicit-def: $vgpr7
; %bb.476:
	s_andn2_saveexec_b64 s[6:7], s[4:5]
; %bb.477:
	v_mov_b32_e32 v6, 0
	v_or_b32_e32 v12, 0x10000, v7
	v_cmp_eq_u32_sdwa s[4:5], v7, v6 src0_sel:WORD_0 src1_sel:DWORD
	s_nop 1
	v_cndmask_b32_e64 v6, v12, v7, s[4:5]
; %bb.478:
	s_or_b64 exec, exec, s[6:7]
	v_and_b32_e32 v8, 0xffff0000, v8
	v_and_b32_e32 v7, 0xffff0000, v9
	v_fmac_f32_e32 v8, v7, v66
	s_mov_b32 s3, 0x7f800000
	v_and_b32_e32 v7, 0x7f800000, v8
	v_cmp_ne_u32_e64 s[4:5], s3, v7
                                        ; implicit-def: $vgpr7
	s_and_saveexec_b64 s[6:7], s[4:5]
	s_xor_b64 s[4:5], exec, s[6:7]
; %bb.479:
	v_bfe_u32 v7, v8, 16, 1
	s_movk_i32 s3, 0x7fff
	v_add3_u32 v7, v8, v7, s3
                                        ; implicit-def: $vgpr8
; %bb.480:
	s_andn2_saveexec_b64 s[6:7], s[4:5]
; %bb.481:
	v_mov_b32_e32 v7, 0
	v_or_b32_e32 v9, 0x10000, v8
	v_cmp_eq_u32_sdwa s[4:5], v8, v7 src0_sel:WORD_0 src1_sel:DWORD
	s_nop 1
	v_cndmask_b32_e64 v7, v9, v8, s[4:5]
; %bb.482:
	s_or_b64 exec, exec, s[6:7]
	s_waitcnt vmcnt(0)
	v_lshlrev_b32_e32 v8, 16, v2
	v_mul_f32_e32 v9, v72, v8
	s_mov_b32 s3, 0x7f800000
	v_and_b32_e32 v8, 0x7f800000, v9
	v_cmp_ne_u32_e64 s[4:5], s3, v8
                                        ; implicit-def: $vgpr8
	s_and_saveexec_b64 s[6:7], s[4:5]
	s_xor_b64 s[4:5], exec, s[6:7]
; %bb.483:
	v_bfe_u32 v8, v9, 16, 1
	s_movk_i32 s3, 0x7fff
	v_add3_u32 v8, v9, v8, s3
                                        ; implicit-def: $vgpr9
; %bb.484:
	s_andn2_saveexec_b64 s[6:7], s[4:5]
; %bb.485:
	v_mov_b32_e32 v8, 0
	v_or_b32_e32 v12, 0x10000, v9
	v_cmp_eq_u32_sdwa s[4:5], v9, v8 src0_sel:WORD_0 src1_sel:DWORD
	s_nop 1
	v_cndmask_b32_e64 v8, v12, v9, s[4:5]
; %bb.486:
	s_or_b64 exec, exec, s[6:7]
	v_and_b32_e32 v2, 0xffff0000, v2
	v_mul_f32_e32 v9, v71, v2
	s_mov_b32 s3, 0x7f800000
	v_and_b32_e32 v2, 0x7f800000, v9
	v_cmp_ne_u32_e64 s[4:5], s3, v2
                                        ; implicit-def: $vgpr2
	s_and_saveexec_b64 s[6:7], s[4:5]
	s_xor_b64 s[4:5], exec, s[6:7]
; %bb.487:
	v_bfe_u32 v2, v9, 16, 1
	s_movk_i32 s3, 0x7fff
	v_add3_u32 v2, v9, v2, s3
                                        ; implicit-def: $vgpr9
; %bb.488:
	s_andn2_saveexec_b64 s[6:7], s[4:5]
; %bb.489:
	v_mov_b32_e32 v2, 0
	v_or_b32_e32 v12, 0x10000, v9
	v_cmp_eq_u32_sdwa s[4:5], v9, v2 src0_sel:WORD_0 src1_sel:DWORD
	s_nop 1
	v_cndmask_b32_e64 v2, v12, v9, s[4:5]
; %bb.490:
	s_or_b64 exec, exec, s[6:7]
	v_and_b32_e32 v9, 0xffff0000, v8
	v_lshlrev_b32_e32 v8, 16, v3
	v_fmac_f32_e32 v9, v8, v70
	s_mov_b32 s3, 0x7f800000
	v_and_b32_e32 v8, 0x7f800000, v9
	v_cmp_ne_u32_e64 s[4:5], s3, v8
                                        ; implicit-def: $vgpr8
	s_and_saveexec_b64 s[6:7], s[4:5]
	s_xor_b64 s[4:5], exec, s[6:7]
; %bb.491:
	v_bfe_u32 v8, v9, 16, 1
	s_movk_i32 s3, 0x7fff
	v_add3_u32 v8, v9, v8, s3
                                        ; implicit-def: $vgpr9
; %bb.492:
	s_andn2_saveexec_b64 s[6:7], s[4:5]
; %bb.493:
	v_mov_b32_e32 v8, 0
	v_or_b32_e32 v12, 0x10000, v9
	v_cmp_eq_u32_sdwa s[4:5], v9, v8 src0_sel:WORD_0 src1_sel:DWORD
	s_nop 1
	v_cndmask_b32_e64 v8, v12, v9, s[4:5]
; %bb.494:
	s_or_b64 exec, exec, s[6:7]
	v_and_b32_e32 v9, 0xffff0000, v2
	v_and_b32_e32 v2, 0xffff0000, v3
	v_fmac_f32_e32 v9, v2, v69
	s_mov_b32 s3, 0x7f800000
	v_and_b32_e32 v2, 0x7f800000, v9
	v_cmp_ne_u32_e64 s[4:5], s3, v2
                                        ; implicit-def: $vgpr2
	s_and_saveexec_b64 s[6:7], s[4:5]
	s_xor_b64 s[4:5], exec, s[6:7]
; %bb.495:
	v_bfe_u32 v2, v9, 16, 1
	s_movk_i32 s3, 0x7fff
	v_add3_u32 v2, v9, v2, s3
                                        ; implicit-def: $vgpr9
; %bb.496:
	s_andn2_saveexec_b64 s[6:7], s[4:5]
; %bb.497:
	v_mov_b32_e32 v2, 0
	v_or_b32_e32 v3, 0x10000, v9
	v_cmp_eq_u32_sdwa s[4:5], v9, v2 src0_sel:WORD_0 src1_sel:DWORD
	s_nop 1
	v_cndmask_b32_e64 v2, v3, v9, s[4:5]
; %bb.498:
	s_or_b64 exec, exec, s[6:7]
	v_and_b32_e32 v8, 0xffff0000, v8
	v_lshlrev_b32_e32 v3, 16, v4
	v_fmac_f32_e32 v8, v3, v68
	s_mov_b32 s3, 0x7f800000
	v_and_b32_e32 v3, 0x7f800000, v8
	v_cmp_ne_u32_e64 s[4:5], s3, v3
                                        ; implicit-def: $vgpr3
	s_and_saveexec_b64 s[6:7], s[4:5]
	s_xor_b64 s[4:5], exec, s[6:7]
; %bb.499:
	v_bfe_u32 v3, v8, 16, 1
	s_movk_i32 s3, 0x7fff
	v_add3_u32 v3, v8, v3, s3
                                        ; implicit-def: $vgpr8
; %bb.500:
	s_andn2_saveexec_b64 s[6:7], s[4:5]
; %bb.501:
	v_mov_b32_e32 v3, 0
	v_or_b32_e32 v9, 0x10000, v8
	v_cmp_eq_u32_sdwa s[4:5], v8, v3 src0_sel:WORD_0 src1_sel:DWORD
	s_nop 1
	v_cndmask_b32_e64 v3, v9, v8, s[4:5]
; %bb.502:
	s_or_b64 exec, exec, s[6:7]
	v_and_b32_e32 v8, 0xffff0000, v2
	v_and_b32_e32 v2, 0xffff0000, v4
	v_fmac_f32_e32 v8, v2, v67
	s_mov_b32 s3, 0x7f800000
	v_and_b32_e32 v2, 0x7f800000, v8
	v_cmp_ne_u32_e64 s[4:5], s3, v2
                                        ; implicit-def: $vgpr2
	s_and_saveexec_b64 s[6:7], s[4:5]
	s_xor_b64 s[4:5], exec, s[6:7]
; %bb.503:
	v_bfe_u32 v2, v8, 16, 1
	s_movk_i32 s3, 0x7fff
	v_add3_u32 v2, v8, v2, s3
                                        ; implicit-def: $vgpr8
; %bb.504:
	s_andn2_saveexec_b64 s[6:7], s[4:5]
; %bb.505:
	v_mov_b32_e32 v2, 0
	v_or_b32_e32 v4, 0x10000, v8
	v_cmp_eq_u32_sdwa s[4:5], v8, v2 src0_sel:WORD_0 src1_sel:DWORD
	s_nop 1
	v_cndmask_b32_e64 v2, v4, v8, s[4:5]
; %bb.506:
	s_or_b64 exec, exec, s[6:7]
	v_and_b32_e32 v3, 0xffff0000, v3
	v_lshlrev_b32_e32 v4, 16, v5
	v_fmac_f32_e32 v3, v4, v1
	s_mov_b32 s3, 0x7f800000
	v_and_b32_e32 v1, 0x7f800000, v3
	v_cmp_ne_u32_e64 s[4:5], s3, v1
                                        ; implicit-def: $vgpr1
	s_and_saveexec_b64 s[6:7], s[4:5]
	s_xor_b64 s[4:5], exec, s[6:7]
; %bb.507:
	v_bfe_u32 v1, v3, 16, 1
	s_movk_i32 s3, 0x7fff
	v_add3_u32 v1, v3, v1, s3
                                        ; implicit-def: $vgpr3
; %bb.508:
	s_andn2_saveexec_b64 s[6:7], s[4:5]
; %bb.509:
	v_mov_b32_e32 v1, 0
	v_or_b32_e32 v4, 0x10000, v3
	v_cmp_eq_u32_sdwa s[4:5], v3, v1 src0_sel:WORD_0 src1_sel:DWORD
	s_nop 1
	v_cndmask_b32_e64 v1, v4, v3, s[4:5]
; %bb.510:
	s_or_b64 exec, exec, s[6:7]
	v_and_b32_e32 v2, 0xffff0000, v2
	v_and_b32_e32 v3, 0xffff0000, v5
	v_fmac_f32_e32 v2, v3, v66
	s_mov_b32 s3, 0x7f800000
	v_and_b32_e32 v3, 0x7f800000, v2
	v_cmp_ne_u32_e64 s[4:5], s3, v3
                                        ; implicit-def: $vgpr3
	s_and_saveexec_b64 s[6:7], s[4:5]
	s_xor_b64 s[4:5], exec, s[6:7]
; %bb.511:
	v_bfe_u32 v3, v2, 16, 1
	s_movk_i32 s3, 0x7fff
	v_add3_u32 v3, v2, v3, s3
                                        ; implicit-def: $vgpr2
; %bb.512:
	s_andn2_saveexec_b64 s[6:7], s[4:5]
; %bb.513:
	v_mov_b32_e32 v3, 0
	v_or_b32_e32 v4, 0x10000, v2
	v_cmp_eq_u32_sdwa s[4:5], v2, v3 src0_sel:WORD_0 src1_sel:DWORD
	s_nop 1
	v_cndmask_b32_e64 v3, v4, v2, s[4:5]
; %bb.514:
	s_or_b64 exec, exec, s[6:7]
	v_and_b32_e32 v2, 0xffff0000, v6
	v_and_b32_e32 v4, 0xffff0000, v7
	v_add_f32_e32 v2, v2, v4
	v_and_b32_e32 v4, 0xffff0000, v10
	v_and_b32_e32 v5, 0xffff0000, v11
	v_add_f32_e32 v4, v4, v5
	v_cndmask_b32_e32 v5, 0, v4, vcc
	v_and_b32_e32 v4, 0xffff0000, v14
	v_and_b32_e32 v6, 0xffff0000, v15
	v_add_f32_e32 v4, v4, v6
	v_and_b32_e32 v6, 0xffff0000, v18
	v_and_b32_e32 v7, 0xffff0000, v19
	v_add_f32_e32 v6, v6, v7
	v_cndmask_b32_e32 v7, 0, v6, vcc
	;; [unrolled: 7-line block ×3, first 2 shown]
	v_and_b32_e32 v8, 0xffff0000, v30
	v_and_b32_e32 v9, 0xffff0000, v31
	v_add_f32_e32 v8, v8, v9
	v_cndmask_b32_e32 v10, 0, v8, vcc
	v_and_b32_e32 v8, 0xffff0000, v34
	v_and_b32_e32 v9, 0xffff0000, v35
	v_add_f32_e32 v8, v8, v9
	v_cndmask_b32_e32 v17, 0, v8, vcc
	;; [unrolled: 4-line block ×9, first 2 shown]
	v_and_b32_e32 v8, 0xffff0000, v1
	v_mbcnt_lo_u32_b32 v1, -1, 0
	v_and_b32_e32 v9, 0xffff0000, v3
	v_mbcnt_hi_u32_b32 v22, -1, v1
	v_mov_b32_e32 v12, v9
	v_and_b32_e32 v1, 64, v22
	v_pk_add_f32 v[8:9], v[12:13], v[8:9] op_sel_hi:[0,1]
	v_add_u32_e32 v23, 64, v1
	v_xor_b32_e32 v1, 32, v22
	v_cndmask_b32_e32 v2, 0, v2, vcc
	v_cndmask_b32_e32 v4, 0, v4, vcc
	;; [unrolled: 1-line block ×4, first 2 shown]
	v_cmp_lt_i32_e32 vcc, v1, v23
	v_xor_b32_e32 v34, 8, v22
	v_xor_b32_e32 v35, 4, v22
	v_cndmask_b32_e32 v1, v22, v1, vcc
	v_lshlrev_b32_e32 v1, 2, v1
	ds_bpermute_b32 v30, v1, v24
	ds_bpermute_b32 v31, v1, v25
	;; [unrolled: 1-line block ×16, first 2 shown]
	v_xor_b32_e32 v1, 16, v22
	v_cmp_lt_i32_e32 vcc, v1, v23
	s_waitcnt lgkmcnt(14)
	v_pk_add_f32 v[24:25], v[24:25], v[30:31]
	s_waitcnt lgkmcnt(12)
	v_pk_add_f32 v[26:27], v[26:27], v[28:29]
	v_cndmask_b32_e32 v1, v22, v1, vcc
	v_lshlrev_b32_e32 v1, 2, v1
	ds_bpermute_b32 v30, v1, v24
	ds_bpermute_b32 v31, v1, v25
	;; [unrolled: 1-line block ×4, first 2 shown]
	v_cmp_lt_i32_e32 vcc, v34, v23
	s_waitcnt lgkmcnt(14)
	v_pk_add_f32 v[20:21], v[20:21], v[32:33]
	s_waitcnt lgkmcnt(2)
	v_pk_add_f32 v[24:25], v[24:25], v[30:31]
	v_cndmask_b32_e32 v34, v22, v34, vcc
	v_lshlrev_b32_e32 v34, 2, v34
	s_waitcnt lgkmcnt(0)
	v_pk_add_f32 v[26:27], v[26:27], v[28:29]
	ds_bpermute_b32 v30, v34, v24
	ds_bpermute_b32 v31, v34, v25
	;; [unrolled: 1-line block ×6, first 2 shown]
	v_cmp_lt_i32_e32 vcc, v35, v23
	s_waitcnt lgkmcnt(4)
	v_pk_add_f32 v[24:25], v[24:25], v[30:31]
	v_pk_add_f32 v[16:17], v[16:17], v[38:39]
	v_cndmask_b32_e32 v35, v22, v35, vcc
	v_lshlrev_b32_e32 v35, 2, v35
	s_waitcnt lgkmcnt(2)
	v_pk_add_f32 v[26:27], v[26:27], v[28:29]
	ds_bpermute_b32 v30, v35, v24
	ds_bpermute_b32 v31, v35, v25
	s_waitcnt lgkmcnt(2)
	v_pk_add_f32 v[20:21], v[20:21], v[32:33]
	ds_bpermute_b32 v32, v1, v16
	ds_bpermute_b32 v33, v1, v17
	;; [unrolled: 1-line block ×4, first 2 shown]
	v_xor_b32_e32 v36, 2, v22
	v_pk_add_f32 v[6:7], v[6:7], v[14:15]
	v_cmp_lt_i32_e32 vcc, v36, v23
	ds_bpermute_b32 v14, v1, v6
	ds_bpermute_b32 v15, v1, v7
	v_cndmask_b32_e32 v36, v22, v36, vcc
	v_lshlrev_b32_e32 v36, 2, v36
	s_waitcnt lgkmcnt(6)
	v_pk_add_f32 v[24:25], v[24:25], v[30:31]
	s_waitcnt lgkmcnt(4)
	v_pk_add_f32 v[16:17], v[16:17], v[32:33]
	v_pk_add_f32 v[42:43], v[10:11], v[18:19]
	;; [unrolled: 1-line block ×4, first 2 shown]
	s_waitcnt lgkmcnt(2)
	v_pk_add_f32 v[26:27], v[26:27], v[28:29]
	ds_bpermute_b32 v30, v34, v20
	ds_bpermute_b32 v31, v34, v21
	;; [unrolled: 1-line block ×14, first 2 shown]
	s_waitcnt lgkmcnt(14)
	v_pk_add_f32 v[6:7], v[6:7], v[14:15]
	ds_bpermute_b32 v14, v34, v6
	ds_bpermute_b32 v15, v34, v7
	s_waitcnt lgkmcnt(14)
	v_pk_add_f32 v[20:21], v[20:21], v[30:31]
	s_waitcnt lgkmcnt(11)
	v_pk_add_f32 v[32:33], v[16:17], v[32:33]
	;; [unrolled: 2-line block ×6, first 2 shown]
	ds_bpermute_b32 v30, v35, v20
	ds_bpermute_b32 v31, v35, v21
	s_waitcnt lgkmcnt(4)
	v_pk_add_f32 v[18:19], v[26:27], v[28:29]
	ds_bpermute_b32 v26, v34, v24
	ds_bpermute_b32 v27, v34, v25
	;; [unrolled: 1-line block ×6, first 2 shown]
	s_waitcnt lgkmcnt(8)
	v_pk_add_f32 v[6:7], v[6:7], v[14:15]
	ds_bpermute_b32 v14, v35, v6
	ds_bpermute_b32 v15, v35, v7
	s_waitcnt lgkmcnt(8)
	v_pk_add_f32 v[20:21], v[20:21], v[30:31]
	s_waitcnt lgkmcnt(6)
	v_pk_add_f32 v[24:25], v[24:25], v[26:27]
	;; [unrolled: 2-line block ×4, first 2 shown]
	ds_bpermute_b32 v30, v36, v20
	ds_bpermute_b32 v31, v36, v21
	;; [unrolled: 1-line block ×10, first 2 shown]
	s_waitcnt lgkmcnt(10)
	v_pk_add_f32 v[6:7], v[6:7], v[14:15]
	ds_bpermute_b32 v14, v36, v6
	ds_bpermute_b32 v15, v36, v7
	s_waitcnt lgkmcnt(10)
	v_pk_add_f32 v[10:11], v[20:21], v[30:31]
	s_waitcnt lgkmcnt(8)
	v_pk_add_f32 v[20:21], v[32:33], v[40:41]
	s_waitcnt lgkmcnt(6)
	v_pk_add_f32 v[24:25], v[24:25], v[26:27]
	s_waitcnt lgkmcnt(4)
	v_pk_add_f32 v[30:31], v[4:5], v[12:13]
	s_waitcnt lgkmcnt(2)
	v_pk_add_f32 v[38:39], v[2:3], v[8:9]
	ds_bpermute_b32 v28, v36, v20
	ds_bpermute_b32 v29, v36, v21
	;; [unrolled: 1-line block ×8, first 2 shown]
	s_waitcnt lgkmcnt(8)
	v_pk_add_f32 v[4:5], v[6:7], v[14:15]
	v_xor_b32_e32 v14, 1, v22
	v_cmp_lt_i32_e32 vcc, v14, v23
	s_waitcnt lgkmcnt(6)
	v_pk_add_f32 v[12:13], v[20:21], v[28:29]
	s_waitcnt lgkmcnt(4)
	v_pk_add_f32 v[8:9], v[24:25], v[26:27]
	v_cndmask_b32_e32 v14, v22, v14, vcc
	s_waitcnt lgkmcnt(2)
	v_pk_add_f32 v[2:3], v[30:31], v[32:33]
	s_waitcnt lgkmcnt(0)
	v_pk_add_f32 v[6:7], v[38:39], v[40:41]
	v_lshlrev_b32_e32 v37, 2, v14
	ds_bpermute_b32 v32, v37, v18
	ds_bpermute_b32 v33, v37, v19
	ds_bpermute_b32 v30, v37, v16
	ds_bpermute_b32 v31, v37, v17
	ds_bpermute_b32 v28, v37, v10
	ds_bpermute_b32 v29, v37, v11
	ds_bpermute_b32 v26, v37, v12
	ds_bpermute_b32 v27, v37, v13
	ds_bpermute_b32 v24, v37, v8
	ds_bpermute_b32 v25, v37, v9
	ds_bpermute_b32 v20, v37, v4
	ds_bpermute_b32 v21, v37, v5
	ds_bpermute_b32 v14, v37, v2
	ds_bpermute_b32 v15, v37, v3
	ds_bpermute_b32 v22, v37, v6
	ds_bpermute_b32 v23, v37, v7
	v_and_b32_e32 v38, 63, v0
	v_cmp_gt_u32_e32 vcc, 16, v38
	s_and_saveexec_b64 s[4:5], vcc
	s_cbranch_execz .LBB7_516
; %bb.515:
	s_waitcnt lgkmcnt(14)
	v_pk_add_f32 v[18:19], v[18:19], v[32:33]
	v_cmp_eq_u32_e32 vcc, 1, v38
	s_waitcnt lgkmcnt(12)
	v_pk_add_f32 v[16:17], v[16:17], v[30:31]
	s_waitcnt lgkmcnt(2)
	v_pk_add_f32 v[2:3], v[2:3], v[14:15]
	v_cndmask_b32_e32 v15, v18, v19, vcc
	v_cmp_eq_u32_e32 vcc, 2, v38
	v_pk_add_f32 v[10:11], v[10:11], v[28:29]
	v_pk_add_f32 v[12:13], v[12:13], v[26:27]
	v_cndmask_b32_e32 v15, v15, v16, vcc
	v_cmp_eq_u32_e32 vcc, 3, v38
	v_pk_add_f32 v[8:9], v[8:9], v[24:25]
	v_pk_add_f32 v[4:5], v[4:5], v[20:21]
	v_cndmask_b32_e32 v15, v15, v17, vcc
	v_cmp_eq_u32_e32 vcc, 4, v38
	s_waitcnt lgkmcnt(0)
	v_pk_add_f32 v[6:7], v[6:7], v[22:23]
	v_lshrrev_b32_e32 v14, 4, v0
	v_cndmask_b32_e32 v10, v15, v10, vcc
	v_cmp_eq_u32_e32 vcc, 5, v38
	v_and_b32_e32 v14, 60, v14
	v_lshl_or_b32 v14, v38, 8, v14
	v_cndmask_b32_e32 v10, v10, v11, vcc
	v_cmp_eq_u32_e32 vcc, 6, v38
	s_nop 1
	v_cndmask_b32_e32 v10, v10, v12, vcc
	v_cmp_eq_u32_e32 vcc, 7, v38
	s_nop 1
	;; [unrolled: 3-line block ×10, first 2 shown]
	v_cndmask_b32_e32 v2, v2, v7, vcc
	ds_write_b32 v14, v2
.LBB7_516:
	s_or_b64 exec, exec, s[4:5]
	s_movk_i32 s3, 0x100
	v_cmp_gt_u32_e32 vcc, s3, v0
	s_waitcnt lgkmcnt(0)
	s_barrier
	s_and_saveexec_b64 s[4:5], vcc
	s_cbranch_execz .LBB7_529
; %bb.517:
	s_load_dword s0, s[0:1], 0x2c
	v_and_b32_e32 v3, 15, v0
	v_mov_b32_e32 v2, 0
	s_waitcnt lgkmcnt(0)
	s_and_b32 s0, 0xffff, s0
	s_lshr_b32 s0, s0, 6
	v_cmp_gt_u32_e32 vcc, s0, v3
	s_and_saveexec_b64 s[0:1], vcc
	s_cbranch_execz .LBB7_519
; %bb.518:
	v_lshlrev_b32_e32 v2, 2, v3
	v_lshlrev_b32_e32 v3, 4, v0
	s_movk_i32 s3, 0x3f00
	v_and_or_b32 v2, v3, s3, v2
	ds_read_b32 v2, v2
.LBB7_519:
	s_or_b64 exec, exec, s[0:1]
	s_waitcnt lgkmcnt(0)
	ds_bpermute_b32 v3, v34, v2
	s_waitcnt lgkmcnt(0)
	v_add_f32_e32 v2, v2, v3
	ds_bpermute_b32 v3, v35, v2
	s_waitcnt lgkmcnt(0)
	v_add_f32_e32 v2, v2, v3
	;; [unrolled: 3-line block ×4, first 2 shown]
	ds_bpermute_b32 v1, v1, v3
	v_and_b32_e32 v2, 31, v0
	v_cmp_eq_u32_e32 vcc, 0, v2
	s_and_b64 exec, exec, vcc
	s_cbranch_execz .LBB7_529
; %bb.520:
	s_mov_b32 s0, 0x7f800000
	v_and_b32_e32 v2, 0x7f800000, v3
	v_cmp_ne_u32_e32 vcc, s0, v2
                                        ; implicit-def: $vgpr2
	s_and_saveexec_b64 s[0:1], vcc
	s_xor_b64 s[0:1], exec, s[0:1]
; %bb.521:
	v_bfe_u32 v2, v3, 16, 1
	s_movk_i32 s3, 0x7fff
	v_add3_u32 v2, v3, v2, s3
                                        ; implicit-def: $vgpr3
; %bb.522:
	s_andn2_saveexec_b64 s[0:1], s[0:1]
; %bb.523:
	v_mov_b32_e32 v2, 0
	v_or_b32_e32 v4, 0x10000, v3
	v_cmp_eq_u32_sdwa vcc, v3, v2 src0_sel:WORD_0 src1_sel:DWORD
	s_nop 1
	v_cndmask_b32_e32 v2, v4, v3, vcc
; %bb.524:
	s_or_b64 exec, exec, s[0:1]
	s_mov_b32 s0, 0x7f800000
	s_waitcnt lgkmcnt(0)
	v_and_b32_e32 v3, 0x7f800000, v1
	v_cmp_ne_u32_e32 vcc, s0, v3
                                        ; implicit-def: $vgpr3
	s_and_saveexec_b64 s[0:1], vcc
	s_xor_b64 s[0:1], exec, s[0:1]
; %bb.525:
	v_bfe_u32 v3, v1, 16, 1
	s_movk_i32 s3, 0x7fff
	v_add3_u32 v3, v1, v3, s3
                                        ; implicit-def: $vgpr1
; %bb.526:
	s_andn2_saveexec_b64 s[0:1], s[0:1]
; %bb.527:
	v_mov_b32_e32 v3, 0
	v_or_b32_e32 v4, 0x10000, v1
	v_cmp_eq_u32_sdwa vcc, v1, v3 src0_sel:WORD_0 src1_sel:DWORD
	s_nop 1
	v_cndmask_b32_e32 v3, v4, v1, vcc
; %bb.528:
	s_or_b64 exec, exec, s[0:1]
	s_lshl_b32 s0, s2, 3
	s_and_b32 s0, s0, 0x7ffffff8
	v_lshrrev_b32_e32 v0, 5, v0
	v_mov_b32_e32 v4, s8
	v_mov_b32_e32 v5, s9
	v_or_b32_e32 v0, s0, v0
	v_mov_b32_e32 v1, 0
	s_mov_b32 s0, 0x7060302
	v_lshl_add_u64 v[0:1], v[0:1], 2, v[4:5]
	v_perm_b32 v2, v3, v2, s0
	global_store_dword v[0:1], v2, off
.LBB7_529:
	s_endpgm
	.section	.rodata,"a",@progbits
	.p2align	6, 0x0
	.amdhsa_kernel _Z14LLGemm1_kernelIN3c108BFloat16ELi16EEvPKT_S4_PS2_i
		.amdhsa_group_segment_fixed_size 4096
		.amdhsa_private_segment_fixed_size 0
		.amdhsa_kernarg_size 288
		.amdhsa_user_sgpr_count 2
		.amdhsa_user_sgpr_dispatch_ptr 0
		.amdhsa_user_sgpr_queue_ptr 0
		.amdhsa_user_sgpr_kernarg_segment_ptr 1
		.amdhsa_user_sgpr_dispatch_id 0
		.amdhsa_user_sgpr_kernarg_preload_length 0
		.amdhsa_user_sgpr_kernarg_preload_offset 0
		.amdhsa_user_sgpr_private_segment_size 0
		.amdhsa_uses_dynamic_stack 0
		.amdhsa_enable_private_segment 0
		.amdhsa_system_sgpr_workgroup_id_x 1
		.amdhsa_system_sgpr_workgroup_id_y 0
		.amdhsa_system_sgpr_workgroup_id_z 0
		.amdhsa_system_sgpr_workgroup_info 0
		.amdhsa_system_vgpr_workitem_id 0
		.amdhsa_next_free_vgpr 76
		.amdhsa_next_free_sgpr 14
		.amdhsa_accum_offset 76
		.amdhsa_reserve_vcc 1
		.amdhsa_float_round_mode_32 0
		.amdhsa_float_round_mode_16_64 0
		.amdhsa_float_denorm_mode_32 3
		.amdhsa_float_denorm_mode_16_64 3
		.amdhsa_dx10_clamp 1
		.amdhsa_ieee_mode 1
		.amdhsa_fp16_overflow 0
		.amdhsa_tg_split 0
		.amdhsa_exception_fp_ieee_invalid_op 0
		.amdhsa_exception_fp_denorm_src 0
		.amdhsa_exception_fp_ieee_div_zero 0
		.amdhsa_exception_fp_ieee_overflow 0
		.amdhsa_exception_fp_ieee_underflow 0
		.amdhsa_exception_fp_ieee_inexact 0
		.amdhsa_exception_int_div_zero 0
	.end_amdhsa_kernel
	.section	.text._Z14LLGemm1_kernelIN3c108BFloat16ELi16EEvPKT_S4_PS2_i,"axG",@progbits,_Z14LLGemm1_kernelIN3c108BFloat16ELi16EEvPKT_S4_PS2_i,comdat
.Lfunc_end7:
	.size	_Z14LLGemm1_kernelIN3c108BFloat16ELi16EEvPKT_S4_PS2_i, .Lfunc_end7-_Z14LLGemm1_kernelIN3c108BFloat16ELi16EEvPKT_S4_PS2_i
                                        ; -- End function
	.section	.AMDGPU.csdata,"",@progbits
; Kernel info:
; codeLenInByte = 16880
; NumSgprs: 20
; NumVgprs: 76
; NumAgprs: 0
; TotalNumVgprs: 76
; ScratchSize: 0
; MemoryBound: 0
; FloatMode: 240
; IeeeMode: 1
; LDSByteSize: 4096 bytes/workgroup (compile time only)
; SGPRBlocks: 2
; VGPRBlocks: 9
; NumSGPRsForWavesPerEU: 20
; NumVGPRsForWavesPerEU: 76
; AccumOffset: 76
; Occupancy: 6
; WaveLimiterHint : 0
; COMPUTE_PGM_RSRC2:SCRATCH_EN: 0
; COMPUTE_PGM_RSRC2:USER_SGPR: 2
; COMPUTE_PGM_RSRC2:TRAP_HANDLER: 0
; COMPUTE_PGM_RSRC2:TGID_X_EN: 1
; COMPUTE_PGM_RSRC2:TGID_Y_EN: 0
; COMPUTE_PGM_RSRC2:TGID_Z_EN: 0
; COMPUTE_PGM_RSRC2:TIDIG_COMP_CNT: 0
; COMPUTE_PGM_RSRC3_GFX90A:ACCUM_OFFSET: 18
; COMPUTE_PGM_RSRC3_GFX90A:TG_SPLIT: 0
	.section	.text._Z16wvSplitK_hf_sml_I6__halfLi32ELi1ELi16ELi8ELi4ELi1EEviiiiiiPKT_S3_S3_PS1_ii,"axG",@progbits,_Z16wvSplitK_hf_sml_I6__halfLi32ELi1ELi16ELi8ELi4ELi1EEviiiiiiPKT_S3_S3_PS1_ii,comdat
	.protected	_Z16wvSplitK_hf_sml_I6__halfLi32ELi1ELi16ELi8ELi4ELi1EEviiiiiiPKT_S3_S3_PS1_ii ; -- Begin function _Z16wvSplitK_hf_sml_I6__halfLi32ELi1ELi16ELi8ELi4ELi1EEviiiiiiPKT_S3_S3_PS1_ii
	.globl	_Z16wvSplitK_hf_sml_I6__halfLi32ELi1ELi16ELi8ELi4ELi1EEviiiiiiPKT_S3_S3_PS1_ii
	.p2align	8
	.type	_Z16wvSplitK_hf_sml_I6__halfLi32ELi1ELi16ELi8ELi4ELi1EEviiiiiiPKT_S3_S3_PS1_ii,@function
_Z16wvSplitK_hf_sml_I6__halfLi32ELi1ELi16ELi8ELi4ELi1EEviiiiiiPKT_S3_S3_PS1_ii: ; @_Z16wvSplitK_hf_sml_I6__halfLi32ELi1ELi16ELi8ELi4ELi1EEviiiiiiPKT_S3_S3_PS1_ii
; %bb.0:
	s_load_dwordx4 s[4:7], s[0:1], 0x0
	v_and_b32_e32 v4, 0x3ff, v0
	v_bfe_u32 v5, v0, 10, 10
	v_lshlrev_b32_e32 v38, 3, v4
	v_lshl_add_u32 v6, v5, 8, v38
	s_waitcnt lgkmcnt(0)
	s_min_u32 s3, s6, 0x8000
	v_cmp_gt_u32_e32 vcc, s3, v6
	s_and_saveexec_b64 s[8:9], vcc
	s_cbranch_execz .LBB8_9
; %bb.1:
	s_load_dwordx2 s[10:11], s[0:1], 0x20
	v_lshlrev_b32_e32 v0, 1, v6
	v_add_u32_e32 v1, 0x1000, v6
	v_cmp_gt_u32_e32 vcc, s3, v1
	s_waitcnt lgkmcnt(0)
	global_load_dwordx4 v[8:11], v0, s[10:11]
	s_waitcnt vmcnt(0)
	ds_write_b128 v0, v[8:11]
	s_and_saveexec_b64 s[12:13], vcc
	s_xor_b64 s[12:13], exec, s[12:13]
	s_cbranch_execz .LBB8_9
; %bb.2:
	v_mov_b32_e32 v1, 0
	v_lshl_add_u64 v[2:3], s[10:11], 0, v[0:1]
	v_add_co_u32_e32 v8, vcc, 0x2000, v2
	v_add_u32_e32 v1, 0x2000, v6
	s_nop 0
	v_addc_co_u32_e32 v9, vcc, 0, v3, vcc
	global_load_dwordx4 v[8:11], v[8:9], off
	v_cmp_gt_u32_e32 vcc, s3, v1
	s_waitcnt vmcnt(0)
	ds_write_b128 v0, v[8:11] offset:8192
	s_and_saveexec_b64 s[10:11], vcc
	s_xor_b64 s[10:11], exec, s[10:11]
	s_cbranch_execz .LBB8_9
; %bb.3:
	v_add_co_u32_e32 v8, vcc, 0x4000, v2
	v_add_u32_e32 v1, 0x3000, v6
	s_nop 0
	v_addc_co_u32_e32 v9, vcc, 0, v3, vcc
	global_load_dwordx4 v[8:11], v[8:9], off
	v_cmp_gt_u32_e32 vcc, s3, v1
	s_waitcnt vmcnt(0)
	ds_write_b128 v0, v[8:11] offset:16384
	s_and_saveexec_b64 s[10:11], vcc
	s_xor_b64 s[10:11], exec, s[10:11]
	s_cbranch_execz .LBB8_9
; %bb.4:
	;; [unrolled: 12-line block ×6, first 2 shown]
	v_add_co_u32_e32 v2, vcc, 0xe000, v2
	s_nop 1
	v_addc_co_u32_e32 v3, vcc, 0, v3, vcc
	global_load_dwordx4 v[6:9], v[2:3], off
	s_waitcnt vmcnt(0)
	ds_write_b128 v0, v[6:9] offset:57344
.LBB8_9:
	s_or_b64 exec, exec, s[8:9]
	s_load_dwordx2 s[18:19], s[0:1], 0x38
	s_waitcnt lgkmcnt(0)
	s_barrier
	v_cmp_gt_u32_e32 vcc, s18, v5
	s_and_saveexec_b64 s[8:9], vcc
	s_cbranch_execz .LBB8_30
; %bb.10:
	s_load_dword s6, s[0:1], 0x10
	s_mul_i32 s2, s2, s18
	v_add_u32_e32 v32, s2, v5
	v_cmp_gt_u32_e32 vcc, s7, v32
	s_and_b64 exec, exec, vcc
	s_cbranch_execz .LBB8_30
; %bb.11:
	s_waitcnt lgkmcnt(0)
	v_cvt_f32_u32_e32 v0, s6
	s_load_dwordx4 s[8:11], s[0:1], 0x28
	s_load_dwordx2 s[12:13], s[0:1], 0x18
	s_cmp_lg_u32 s4, 0
	s_cselect_b64 s[2:3], -1, 0
	v_rcp_iflag_f32_e32 v0, v0
	s_add_i32 s26, s4, -8
	s_add_i32 s27, s7, -1
	s_waitcnt lgkmcnt(0)
	s_cmp_lg_u64 s[8:9], 0
	v_mul_f32_e32 v0, 0x4f7ffffe, v0
	v_cvt_u32_f32_e32 v0, v0
	s_cselect_b64 s[16:17], -1, 0
	s_mul_i32 s28, s19, s18
	s_sub_i32 s18, 0, s6
	v_mul_lo_u32 v1, s18, v0
	v_mul_hi_u32 v1, v0, v1
	v_add_u32_e32 v39, v0, v1
	v_cndmask_b32_e64 v0, 0, 1, s[2:3]
	v_cmp_eq_u32_e64 s[0:1], 31, v4
	s_mov_b64 s[14:15], 0
	v_mov_b32_e32 v35, 0
	v_lshlrev_b32_e32 v40, 4, v4
	v_cmp_ne_u32_e64 s[2:3], 1, v0
	s_branch .LBB8_14
.LBB8_12:                               ;   in Loop: Header=BB8_14 Depth=1
	v_cvt_f32_i32_e32 v1, v1
	s_waitcnt vmcnt(0)
	v_cvt_f32_f16_e32 v2, v2
	v_add_f32_e32 v0, v0, v1
	v_add_f32_e32 v0, v0, v2
	v_cvt_f16_f32_e32 v2, v0
	v_lshl_add_u64 v[0:1], v[32:33], 1, s[10:11]
	global_store_short v[0:1], v2, off
.LBB8_13:                               ;   in Loop: Header=BB8_14 Depth=1
	s_or_b64 exec, exec, s[18:19]
	v_add_u32_e32 v32, s28, v32
	v_cmp_le_u32_e32 vcc, s7, v32
	s_or_b64 s[14:15], vcc, s[14:15]
	s_andn2_b64 exec, exec, s[14:15]
	s_cbranch_execz .LBB8_30
.LBB8_14:                               ; =>This Loop Header: Depth=1
                                        ;     Child Loop BB8_20 Depth 2
	s_and_b64 vcc, exec, s[2:3]
	v_mov_b32_e32 v33, v35
	s_cbranch_vccnz .LBB8_25
; %bb.15:                               ;   in Loop: Header=BB8_14 Depth=1
	v_min_u32_e32 v0, s27, v32
	v_mul_lo_u32 v34, v0, s5
	v_lshl_add_u64 v[36:37], v[34:35], 1, s[12:13]
	s_mov_b32 s29, 0
	v_mov_b32_e32 v33, 0
	v_mov_b32_e32 v41, v40
	s_branch .LBB8_20
.LBB8_16:                               ;   in Loop: Header=BB8_20 Depth=2
	s_or_b64 exec, exec, s[24:25]
.LBB8_17:                               ;   in Loop: Header=BB8_20 Depth=2
	s_or_b64 exec, exec, s[22:23]
.LBB8_18:                               ;   in Loop: Header=BB8_20 Depth=2
	s_or_b64 exec, exec, s[20:21]
.LBB8_19:                               ;   in Loop: Header=BB8_20 Depth=2
	s_or_b64 exec, exec, s[18:19]
	s_waitcnt vmcnt(3) lgkmcnt(0)
	;;#ASMSTART
	v_dot2c_f32_f16 v33, v20, v12
	;;#ASMEND
	s_addk_i32 s29, 0x400
	;;#ASMSTART
	v_dot2c_f32_f16 v33, v21, v13
	;;#ASMEND
	s_cmp_ge_u32 s29, s4
	;;#ASMSTART
	v_dot2c_f32_f16 v33, v22, v14
	;;#ASMEND
	v_add_u32_e32 v41, 0x800, v41
	;;#ASMSTART
	v_dot2c_f32_f16 v33, v23, v15
	;;#ASMEND
	s_waitcnt vmcnt(2)
	;;#ASMSTART
	v_dot2c_f32_f16 v33, v28, v4
	;;#ASMEND
	s_nop 0
	;;#ASMSTART
	v_dot2c_f32_f16 v33, v29, v5
	;;#ASMEND
	s_nop 0
	;;#ASMSTART
	v_dot2c_f32_f16 v33, v30, v6
	;;#ASMEND
	s_nop 0
	;;#ASMSTART
	v_dot2c_f32_f16 v33, v31, v7
	;;#ASMEND
	s_waitcnt vmcnt(1)
	;;#ASMSTART
	v_dot2c_f32_f16 v33, v24, v8
	;;#ASMEND
	s_nop 0
	;;#ASMSTART
	v_dot2c_f32_f16 v33, v25, v9
	;;#ASMEND
	s_nop 0
	;;#ASMSTART
	v_dot2c_f32_f16 v33, v26, v10
	;;#ASMEND
	s_nop 0
	;;#ASMSTART
	v_dot2c_f32_f16 v33, v27, v11
	;;#ASMEND
	s_waitcnt vmcnt(0)
	;;#ASMSTART
	v_dot2c_f32_f16 v33, v16, v0
	;;#ASMEND
	s_nop 0
	;;#ASMSTART
	v_dot2c_f32_f16 v33, v17, v1
	;;#ASMEND
	s_nop 0
	;;#ASMSTART
	v_dot2c_f32_f16 v33, v18, v2
	;;#ASMEND
	s_nop 0
	;;#ASMSTART
	v_dot2c_f32_f16 v33, v19, v3
	;;#ASMEND
	s_cbranch_scc1 .LBB8_25
.LBB8_20:                               ;   Parent Loop BB8_14 Depth=1
                                        ; =>  This Inner Loop Header: Depth=2
	v_add_u32_e32 v20, s29, v38
	v_min_u32_e32 v34, s26, v20
	v_add_u32_e32 v44, 0x100, v20
	v_lshl_add_u64 v[0:1], v[34:35], 1, v[36:37]
	v_min_u32_e32 v34, s26, v44
	v_add_u32_e32 v43, 0x200, v20
	v_lshl_add_u64 v[2:3], v[34:35], 1, v[36:37]
	v_min_u32_e32 v34, s26, v43
	v_add_u32_e32 v42, 0x300, v20
	v_lshl_add_u64 v[16:17], v[34:35], 1, v[36:37]
	v_min_u32_e32 v34, s26, v42
	global_load_dwordx4 v[12:15], v[0:1], off nt
	global_load_dwordx4 v[4:7], v[2:3], off nt
	v_lshl_add_u64 v[18:19], v[34:35], 1, v[36:37]
	global_load_dwordx4 v[8:11], v[16:17], off nt
	global_load_dwordx4 v[0:3], v[18:19], off nt
	v_cmp_gt_u32_e32 vcc, s4, v20
	v_mov_b32_e32 v22, 0
	v_mov_b32_e32 v23, 0
	;; [unrolled: 1-line block ×16, first 2 shown]
	s_and_saveexec_b64 s[18:19], vcc
	s_cbranch_execz .LBB8_19
; %bb.21:                               ;   in Loop: Header=BB8_20 Depth=2
	ds_read_b128 v[20:23], v41
	v_cmp_gt_u32_e32 vcc, s4, v44
	v_mov_b32_e32 v19, 0
	v_mov_b32_e32 v18, 0
	;; [unrolled: 1-line block ×12, first 2 shown]
	s_and_saveexec_b64 s[20:21], vcc
	s_cbranch_execz .LBB8_18
; %bb.22:                               ;   in Loop: Header=BB8_20 Depth=2
	ds_read_b128 v[28:31], v41 offset:512
	v_cmp_gt_u32_e32 vcc, s4, v43
	v_mov_b32_e32 v19, 0
	v_mov_b32_e32 v18, 0
	;; [unrolled: 1-line block ×8, first 2 shown]
	s_and_saveexec_b64 s[22:23], vcc
	s_cbranch_execz .LBB8_17
; %bb.23:                               ;   in Loop: Header=BB8_20 Depth=2
	ds_read_b128 v[24:27], v41 offset:1024
	v_cmp_gt_u32_e32 vcc, s4, v42
	v_mov_b32_e32 v19, 0
	v_mov_b32_e32 v18, 0
	;; [unrolled: 1-line block ×4, first 2 shown]
	s_and_saveexec_b64 s[24:25], vcc
	s_cbranch_execz .LBB8_16
; %bb.24:                               ;   in Loop: Header=BB8_20 Depth=2
	ds_read_b128 v[16:19], v41 offset:1536
	s_branch .LBB8_16
.LBB8_25:                               ;   in Loop: Header=BB8_14 Depth=1
	; sched_barrier mask(0x00000000)
	v_cvt_i32_f32_e32 v0, v33
	s_nop 1
	v_cvt_f32_i32_dpp v0, v0 row_shr:8 row_mask:0xf bank_mask:0xf bound_ctrl:1
	v_add_f32_e32 v0, v33, v0
	v_cvt_i32_f32_e32 v1, v0
	s_nop 1
	v_cvt_f32_i32_dpp v1, v1 row_shr:4 row_mask:0xf bank_mask:0xf bound_ctrl:1
	v_add_f32_e32 v0, v0, v1
	v_cvt_i32_f32_e32 v1, v0
	s_nop 1
	v_cvt_f32_i32_dpp v1, v1 row_shr:2 row_mask:0xf bank_mask:0xf bound_ctrl:1
	v_add_f32_e32 v0, v0, v1
	v_cvt_i32_f32_e32 v1, v0
	s_nop 1
	v_cvt_f32_i32_dpp v1, v1 row_shr:1 row_mask:0xf bank_mask:0xf bound_ctrl:1
	v_add_f32_e32 v0, v0, v1
	v_cvt_i32_f32_e32 v1, v0
	s_nop 1
	v_cvt_f32_i32_dpp v1, v1 row_bcast:15 row_mask:0xf bank_mask:0xf bound_ctrl:1
	v_add_f32_e32 v0, v0, v1
	v_cvt_i32_f32_e32 v1, v0
	s_nop 1
	v_mov_b32_dpp v1, v1 row_bcast:31 row_mask:0xf bank_mask:0xf bound_ctrl:1
	s_and_saveexec_b64 s[18:19], s[0:1]
	s_cbranch_execz .LBB8_13
; %bb.26:                               ;   in Loop: Header=BB8_14 Depth=1
	s_and_b64 vcc, exec, s[16:17]
	s_cbranch_vccz .LBB8_28
; %bb.27:                               ;   in Loop: Header=BB8_14 Depth=1
	v_mul_hi_u32 v2, v32, v39
	v_mul_lo_u32 v2, v2, s6
	v_sub_u32_e32 v2, v32, v2
	v_subrev_u32_e32 v3, s6, v2
	v_cmp_le_u32_e32 vcc, s6, v2
	v_mov_b32_e32 v33, v35
	s_nop 0
	v_cndmask_b32_e32 v2, v2, v3, vcc
	v_subrev_u32_e32 v3, s6, v2
	v_cmp_le_u32_e32 vcc, s6, v2
	s_nop 1
	v_cndmask_b32_e32 v34, v2, v3, vcc
	v_lshl_add_u64 v[2:3], v[34:35], 1, s[8:9]
	global_load_ushort v2, v[2:3], off
	s_cbranch_execnz .LBB8_12
	s_branch .LBB8_29
.LBB8_28:                               ;   in Loop: Header=BB8_14 Depth=1
                                        ; implicit-def: $vgpr2
.LBB8_29:                               ;   in Loop: Header=BB8_14 Depth=1
	v_mov_b32_e32 v33, v35
	s_waitcnt vmcnt(0)
	v_mov_b32_e32 v2, 0
	s_branch .LBB8_12
.LBB8_30:
	s_endpgm
	.section	.rodata,"a",@progbits
	.p2align	6, 0x0
	.amdhsa_kernel _Z16wvSplitK_hf_sml_I6__halfLi32ELi1ELi16ELi8ELi4ELi1EEviiiiiiPKT_S3_S3_PS1_ii
		.amdhsa_group_segment_fixed_size 65536
		.amdhsa_private_segment_fixed_size 0
		.amdhsa_kernarg_size 64
		.amdhsa_user_sgpr_count 2
		.amdhsa_user_sgpr_dispatch_ptr 0
		.amdhsa_user_sgpr_queue_ptr 0
		.amdhsa_user_sgpr_kernarg_segment_ptr 1
		.amdhsa_user_sgpr_dispatch_id 0
		.amdhsa_user_sgpr_kernarg_preload_length 0
		.amdhsa_user_sgpr_kernarg_preload_offset 0
		.amdhsa_user_sgpr_private_segment_size 0
		.amdhsa_uses_dynamic_stack 0
		.amdhsa_enable_private_segment 0
		.amdhsa_system_sgpr_workgroup_id_x 1
		.amdhsa_system_sgpr_workgroup_id_y 0
		.amdhsa_system_sgpr_workgroup_id_z 0
		.amdhsa_system_sgpr_workgroup_info 0
		.amdhsa_system_vgpr_workitem_id 1
		.amdhsa_next_free_vgpr 45
		.amdhsa_next_free_sgpr 30
		.amdhsa_accum_offset 48
		.amdhsa_reserve_vcc 1
		.amdhsa_float_round_mode_32 0
		.amdhsa_float_round_mode_16_64 0
		.amdhsa_float_denorm_mode_32 3
		.amdhsa_float_denorm_mode_16_64 3
		.amdhsa_dx10_clamp 1
		.amdhsa_ieee_mode 1
		.amdhsa_fp16_overflow 0
		.amdhsa_tg_split 0
		.amdhsa_exception_fp_ieee_invalid_op 0
		.amdhsa_exception_fp_denorm_src 0
		.amdhsa_exception_fp_ieee_div_zero 0
		.amdhsa_exception_fp_ieee_overflow 0
		.amdhsa_exception_fp_ieee_underflow 0
		.amdhsa_exception_fp_ieee_inexact 0
		.amdhsa_exception_int_div_zero 0
	.end_amdhsa_kernel
	.section	.text._Z16wvSplitK_hf_sml_I6__halfLi32ELi1ELi16ELi8ELi4ELi1EEviiiiiiPKT_S3_S3_PS1_ii,"axG",@progbits,_Z16wvSplitK_hf_sml_I6__halfLi32ELi1ELi16ELi8ELi4ELi1EEviiiiiiPKT_S3_S3_PS1_ii,comdat
.Lfunc_end8:
	.size	_Z16wvSplitK_hf_sml_I6__halfLi32ELi1ELi16ELi8ELi4ELi1EEviiiiiiPKT_S3_S3_PS1_ii, .Lfunc_end8-_Z16wvSplitK_hf_sml_I6__halfLi32ELi1ELi16ELi8ELi4ELi1EEviiiiiiPKT_S3_S3_PS1_ii
                                        ; -- End function
	.section	.AMDGPU.csdata,"",@progbits
; Kernel info:
; codeLenInByte = 1636
; NumSgprs: 36
; NumVgprs: 45
; NumAgprs: 0
; TotalNumVgprs: 45
; ScratchSize: 0
; MemoryBound: 0
; FloatMode: 240
; IeeeMode: 1
; LDSByteSize: 65536 bytes/workgroup (compile time only)
; SGPRBlocks: 4
; VGPRBlocks: 5
; NumSGPRsForWavesPerEU: 36
; NumVGPRsForWavesPerEU: 45
; AccumOffset: 48
; Occupancy: 2
; WaveLimiterHint : 0
; COMPUTE_PGM_RSRC2:SCRATCH_EN: 0
; COMPUTE_PGM_RSRC2:USER_SGPR: 2
; COMPUTE_PGM_RSRC2:TRAP_HANDLER: 0
; COMPUTE_PGM_RSRC2:TGID_X_EN: 1
; COMPUTE_PGM_RSRC2:TGID_Y_EN: 0
; COMPUTE_PGM_RSRC2:TGID_Z_EN: 0
; COMPUTE_PGM_RSRC2:TIDIG_COMP_CNT: 1
; COMPUTE_PGM_RSRC3_GFX90A:ACCUM_OFFSET: 11
; COMPUTE_PGM_RSRC3_GFX90A:TG_SPLIT: 0
	.section	.text._Z12wvSplitK_hf_I6__halfLi32ELi1ELi16ELi8ELi4ELi1EEviiiiiiPKT_S3_S3_PS1_ii,"axG",@progbits,_Z12wvSplitK_hf_I6__halfLi32ELi1ELi16ELi8ELi4ELi1EEviiiiiiPKT_S3_S3_PS1_ii,comdat
	.protected	_Z12wvSplitK_hf_I6__halfLi32ELi1ELi16ELi8ELi4ELi1EEviiiiiiPKT_S3_S3_PS1_ii ; -- Begin function _Z12wvSplitK_hf_I6__halfLi32ELi1ELi16ELi8ELi4ELi1EEviiiiiiPKT_S3_S3_PS1_ii
	.globl	_Z12wvSplitK_hf_I6__halfLi32ELi1ELi16ELi8ELi4ELi1EEviiiiiiPKT_S3_S3_PS1_ii
	.p2align	8
	.type	_Z12wvSplitK_hf_I6__halfLi32ELi1ELi16ELi8ELi4ELi1EEviiiiiiPKT_S3_S3_PS1_ii,@function
_Z12wvSplitK_hf_I6__halfLi32ELi1ELi16ELi8ELi4ELi1EEviiiiiiPKT_S3_S3_PS1_ii: ; @_Z12wvSplitK_hf_I6__halfLi32ELi1ELi16ELi8ELi4ELi1EEviiiiiiPKT_S3_S3_PS1_ii
; %bb.0:
	s_load_dwordx2 s[4:5], s[0:1], 0x38
	s_load_dwordx2 s[16:17], s[0:1], 0x20
	s_load_dwordx4 s[8:11], s[0:1], 0x0
	s_load_dword s33, s[0:1], 0x10
	v_bfe_u32 v5, v0, 10, 10
	s_waitcnt lgkmcnt(0)
	s_mul_i32 s2, s2, s4
	v_add_u32_e32 v32, s2, v5
	v_add_u32_e32 v1, 1, v32
	v_cmp_gt_u32_e32 vcc, s11, v32
	v_cmp_le_u32_e64 s[2:3], s11, v1
	s_and_b64 s[6:7], vcc, s[2:3]
	v_mov_b32_e32 v46, 1
	s_and_saveexec_b64 s[2:3], s[6:7]
; %bb.1:
	v_subrev_u32_e32 v1, s11, v32
	v_cmp_eq_u32_e32 vcc, -1, v1
	s_add_i32 s6, s11, -1
	v_mov_b32_e32 v32, s6
	v_cndmask_b32_e64 v46, 0, 1, vcc
; %bb.2:
	s_or_b64 exec, exec, s[2:3]
	v_and_b32_e32 v4, 0x3ff, v0
	v_lshlrev_b32_e32 v47, 3, v4
	v_lshl_add_u32 v6, v5, 8, v47
	s_min_u32 s6, s10, 0x8000
	v_cmp_gt_u32_e32 vcc, s6, v6
	s_and_saveexec_b64 s[2:3], vcc
	s_cbranch_execz .LBB9_11
; %bb.3:
	v_lshlrev_b32_e32 v0, 1, v6
	global_load_dwordx4 v[8:11], v0, s[16:17]
	v_add_u32_e32 v1, 0x1000, v6
	v_cmp_gt_u32_e32 vcc, s6, v1
	s_waitcnt vmcnt(0)
	ds_write_b128 v0, v[8:11]
	s_and_saveexec_b64 s[12:13], vcc
	s_xor_b64 s[12:13], exec, s[12:13]
	s_cbranch_execz .LBB9_11
; %bb.4:
	v_mov_b32_e32 v1, 0
	v_lshl_add_u64 v[2:3], s[16:17], 0, v[0:1]
	v_add_co_u32_e32 v8, vcc, 0x2000, v2
	v_add_u32_e32 v1, 0x2000, v6
	s_nop 0
	v_addc_co_u32_e32 v9, vcc, 0, v3, vcc
	global_load_dwordx4 v[8:11], v[8:9], off
	v_cmp_gt_u32_e32 vcc, s6, v1
	s_waitcnt vmcnt(0)
	ds_write_b128 v0, v[8:11] offset:8192
	s_and_saveexec_b64 s[12:13], vcc
	s_xor_b64 s[12:13], exec, s[12:13]
	s_cbranch_execz .LBB9_11
; %bb.5:
	v_add_co_u32_e32 v8, vcc, 0x4000, v2
	v_add_u32_e32 v1, 0x3000, v6
	s_nop 0
	v_addc_co_u32_e32 v9, vcc, 0, v3, vcc
	global_load_dwordx4 v[8:11], v[8:9], off
	v_cmp_gt_u32_e32 vcc, s6, v1
	s_waitcnt vmcnt(0)
	ds_write_b128 v0, v[8:11] offset:16384
	s_and_saveexec_b64 s[12:13], vcc
	s_xor_b64 s[12:13], exec, s[12:13]
	s_cbranch_execz .LBB9_11
; %bb.6:
	;; [unrolled: 12-line block ×6, first 2 shown]
	v_add_co_u32_e32 v2, vcc, 0xe000, v2
	s_nop 1
	v_addc_co_u32_e32 v3, vcc, 0, v3, vcc
	global_load_dwordx4 v[6:9], v[2:3], off
	s_waitcnt vmcnt(0)
	ds_write_b128 v0, v[6:9] offset:57344
.LBB9_11:
	s_or_b64 exec, exec, s[2:3]
	v_cmp_gt_u32_e32 vcc, s4, v5
	v_cmp_gt_u32_e64 s[2:3], s11, v32
	s_and_b64 s[2:3], vcc, s[2:3]
	s_waitcnt lgkmcnt(0)
	s_barrier
	s_and_saveexec_b64 s[6:7], s[2:3]
	s_cbranch_execz .LBB9_46
; %bb.12:
	v_cvt_f32_u32_e32 v0, s33
	s_load_dwordx4 s[12:15], s[0:1], 0x28
	s_load_dwordx2 s[18:19], s[0:1], 0x18
	s_cmp_lg_u32 s8, 0
	s_cselect_b64 s[2:3], -1, 0
	v_rcp_iflag_f32_e32 v0, v0
	s_add_i32 s10, s8, -8
	s_add_i32 s36, s11, -1
	s_waitcnt lgkmcnt(0)
	s_cmp_lg_u64 s[12:13], 0
	v_mul_f32_e32 v0, 0x4f7ffffe, v0
	v_cvt_u32_f32_e32 v0, v0
	s_cselect_b64 s[22:23], -1, 0
	s_mul_i32 s37, s5, s4
	s_sub_i32 s4, 0, s33
	v_mul_lo_u32 v1, s4, v0
	v_mul_hi_u32 v1, v0, v1
	s_sub_i32 s38, s37, s11
	v_add_u32_e32 v48, v0, v1
	v_cndmask_b32_e64 v0, 0, 1, s[2:3]
	v_cmp_eq_u32_e64 s[0:1], 31, v4
	s_mov_b64 s[20:21], 0
	s_add_i32 s38, s38, 2
	v_mov_b32_e32 v35, 0
	v_lshlrev_b32_e32 v49, 4, v4
	v_cmp_ne_u32_e64 s[2:3], 1, v0
	s_movk_i32 s39, 0x7fff
	s_mov_b32 s24, 0
	s_branch .LBB9_14
.LBB9_13:                               ;   in Loop: Header=BB9_14 Depth=1
	s_or_b64 exec, exec, s[4:5]
	v_add_u32_e32 v0, s37, v32
	v_add_u32_e32 v1, 1, v0
	v_cmp_le_u32_e32 vcc, s11, v0
	v_cmp_gt_u32_e64 s[4:5], s11, v1
	v_add_u32_e32 v1, s38, v32
	v_cmp_eq_u32_e64 s[6:7], 1, v1
	v_mov_b32_e32 v1, s36
	s_or_b64 vcc, vcc, s[4:5]
	v_cndmask_b32_e32 v32, v1, v0, vcc
	v_cmp_le_u32_e64 s[4:5], s11, v32
	s_or_b64 vcc, vcc, s[6:7]
	s_or_b64 s[20:21], s[4:5], s[20:21]
	v_cndmask_b32_e32 v46, 0, v46, vcc
	s_andn2_b64 exec, exec, s[20:21]
	s_cbranch_execz .LBB9_46
.LBB9_14:                               ; =>This Loop Header: Depth=1
                                        ;     Child Loop BB9_21 Depth 2
	s_and_b64 vcc, exec, s[2:3]
	v_mov_b32_e32 v33, v35
	s_cbranch_vccnz .LBB9_41
; %bb.15:                               ;   in Loop: Header=BB9_14 Depth=1
	v_min_u32_e32 v0, s36, v32
	v_mul_lo_u32 v34, v0, s9
	v_lshl_add_u64 v[36:37], v[34:35], 1, s[18:19]
	s_mov_b32 s4, 0
	v_mov_b32_e32 v33, 0
	v_mov_b32_e32 v50, v49
	s_mov_b32 s40, 0
	s_branch .LBB9_21
.LBB9_16:                               ;   in Loop: Header=BB9_21 Depth=2
	s_or_b64 exec, exec, s[34:35]
.LBB9_17:                               ;   in Loop: Header=BB9_21 Depth=2
	s_or_b64 exec, exec, s[30:31]
.LBB9_18:                               ;   in Loop: Header=BB9_21 Depth=2
	s_or_b64 exec, exec, s[28:29]
.LBB9_19:                               ;   in Loop: Header=BB9_21 Depth=2
	s_or_b64 exec, exec, s[26:27]
.LBB9_20:                               ;   in Loop: Header=BB9_21 Depth=2
	s_or_b64 exec, exec, s[6:7]
	s_waitcnt vmcnt(0) lgkmcnt(0)
	;;#ASMSTART
	v_dot2c_f32_f16 v33, v16, v12
	;;#ASMEND
	s_addk_i32 s40, 0x400
	;;#ASMSTART
	v_dot2c_f32_f16 v33, v17, v13
	;;#ASMEND
	s_cmp_lt_u32 s40, s8
	;;#ASMSTART
	v_dot2c_f32_f16 v33, v18, v14
	;;#ASMEND
	v_add_u32_e32 v50, 0x800, v50
	;;#ASMSTART
	v_dot2c_f32_f16 v33, v19, v15
	;;#ASMEND
	s_nop 0
	;;#ASMSTART
	v_dot2c_f32_f16 v33, v20, v8
	;;#ASMEND
	s_nop 0
	;;#ASMSTART
	v_dot2c_f32_f16 v33, v21, v9
	;;#ASMEND
	s_nop 0
	;;#ASMSTART
	v_dot2c_f32_f16 v33, v22, v10
	;;#ASMEND
	s_nop 0
	;;#ASMSTART
	v_dot2c_f32_f16 v33, v23, v11
	;;#ASMEND
	s_nop 0
	;;#ASMSTART
	v_dot2c_f32_f16 v33, v24, v4
	;;#ASMEND
	s_nop 0
	;;#ASMSTART
	v_dot2c_f32_f16 v33, v25, v5
	;;#ASMEND
	s_nop 0
	;;#ASMSTART
	v_dot2c_f32_f16 v33, v26, v6
	;;#ASMEND
	s_nop 0
	;;#ASMSTART
	v_dot2c_f32_f16 v33, v27, v7
	;;#ASMEND
	s_nop 0
	;;#ASMSTART
	v_dot2c_f32_f16 v33, v28, v0
	;;#ASMEND
	s_nop 0
	;;#ASMSTART
	v_dot2c_f32_f16 v33, v29, v1
	;;#ASMEND
	s_nop 0
	;;#ASMSTART
	v_dot2c_f32_f16 v33, v30, v2
	;;#ASMEND
	s_nop 0
	;;#ASMSTART
	v_dot2c_f32_f16 v33, v31, v3
	;;#ASMEND
	s_cbranch_scc0 .LBB9_41
.LBB9_21:                               ;   Parent Loop BB9_14 Depth=1
                                        ; =>  This Inner Loop Header: Depth=2
	v_add_u32_e32 v44, s40, v47
	v_min_u32_e32 v34, s10, v44
	v_add_u32_e32 v42, 0x100, v44
	v_lshl_add_u64 v[0:1], v[34:35], 1, v[36:37]
	v_min_u32_e32 v34, s10, v42
	v_add_u32_e32 v40, 0x200, v44
	s_waitcnt vmcnt(0)
	v_lshl_add_u64 v[2:3], v[34:35], 1, v[36:37]
	v_min_u32_e32 v34, s10, v40
	v_add_u32_e32 v38, 0x300, v44
	v_lshl_add_u64 v[16:17], v[34:35], 1, v[36:37]
	v_min_u32_e32 v34, s10, v38
	global_load_dwordx4 v[12:15], v[0:1], off nt
	global_load_dwordx4 v[8:11], v[2:3], off nt
	v_lshl_add_u64 v[18:19], v[34:35], 1, v[36:37]
	global_load_dwordx4 v[4:7], v[16:17], off nt
	global_load_dwordx4 v[0:3], v[18:19], off nt
	s_mov_b32 s5, s4
	v_cmp_gt_u32_e32 vcc, s8, v44
	v_mov_b64_e32 v[26:27], s[4:5]
	v_mov_b32_e32 v31, 0
	v_mov_b32_e32 v30, 0
	;; [unrolled: 1-line block ×4, first 2 shown]
	v_mov_b64_e32 v[24:25], s[4:5]
	v_mov_b64_e32 v[22:23], s[4:5]
	;; [unrolled: 1-line block ×5, first 2 shown]
	s_and_saveexec_b64 s[6:7], vcc
	s_cbranch_execz .LBB9_20
; %bb.22:                               ;   in Loop: Header=BB9_21 Depth=2
	v_cmp_lt_u32_e32 vcc, s39, v44
                                        ; implicit-def: $vgpr16_vgpr17
	s_and_saveexec_b64 s[26:27], vcc
	s_xor_b64 s[26:27], exec, s[26:27]
	s_cbranch_execz .LBB9_24
; %bb.23:                               ;   in Loop: Header=BB9_21 Depth=2
	v_mov_b32_e32 v45, v35
	v_lshl_add_u64 v[16:17], v[44:45], 1, s[16:17]
	global_load_dwordx4 v[16:19], v[16:17], off
.LBB9_24:                               ;   in Loop: Header=BB9_21 Depth=2
	s_andn2_saveexec_b64 s[26:27], s[26:27]
	s_cbranch_execz .LBB9_26
; %bb.25:                               ;   in Loop: Header=BB9_21 Depth=2
	s_waitcnt vmcnt(0)
	ds_read_b128 v[16:19], v50
.LBB9_26:                               ;   in Loop: Header=BB9_21 Depth=2
	s_or_b64 exec, exec, s[26:27]
	s_mov_b32 s25, s24
	v_cmp_gt_u32_e32 vcc, s8, v42
	v_mov_b32_e32 v31, 0
	v_mov_b64_e32 v[26:27], s[24:25]
	v_mov_b32_e32 v30, 0
	v_mov_b32_e32 v29, 0
	;; [unrolled: 1-line block ×3, first 2 shown]
	v_mov_b64_e32 v[24:25], s[24:25]
	v_mov_b64_e32 v[22:23], s[24:25]
	;; [unrolled: 1-line block ×3, first 2 shown]
	s_and_saveexec_b64 s[26:27], vcc
	s_cbranch_execz .LBB9_19
; %bb.27:                               ;   in Loop: Header=BB9_21 Depth=2
	v_cmp_lt_u32_e32 vcc, s39, v42
                                        ; implicit-def: $vgpr22_vgpr23
	s_and_saveexec_b64 s[28:29], vcc
	s_xor_b64 s[28:29], exec, s[28:29]
	s_cbranch_execz .LBB9_29
; %bb.28:                               ;   in Loop: Header=BB9_21 Depth=2
	v_mov_b32_e32 v43, v35
	v_lshl_add_u64 v[20:21], v[42:43], 1, s[16:17]
	global_load_dwordx4 v[20:23], v[20:21], off
.LBB9_29:                               ;   in Loop: Header=BB9_21 Depth=2
	s_andn2_saveexec_b64 s[28:29], s[28:29]
	s_cbranch_execz .LBB9_31
; %bb.30:                               ;   in Loop: Header=BB9_21 Depth=2
	s_waitcnt vmcnt(0)
	ds_read_b128 v[20:23], v50 offset:512
.LBB9_31:                               ;   in Loop: Header=BB9_21 Depth=2
	s_or_b64 exec, exec, s[28:29]
	s_mov_b32 s25, s24
	v_cmp_gt_u32_e32 vcc, s8, v40
	v_mov_b32_e32 v31, 0
	v_mov_b64_e32 v[26:27], s[24:25]
	v_mov_b32_e32 v30, 0
	v_mov_b32_e32 v29, 0
	;; [unrolled: 1-line block ×3, first 2 shown]
	v_mov_b64_e32 v[24:25], s[24:25]
	s_and_saveexec_b64 s[28:29], vcc
	s_cbranch_execz .LBB9_18
; %bb.32:                               ;   in Loop: Header=BB9_21 Depth=2
	v_cmp_lt_u32_e32 vcc, s39, v40
                                        ; implicit-def: $vgpr26_vgpr27
	s_and_saveexec_b64 s[30:31], vcc
	s_xor_b64 s[30:31], exec, s[30:31]
	s_cbranch_execz .LBB9_34
; %bb.33:                               ;   in Loop: Header=BB9_21 Depth=2
	v_mov_b32_e32 v41, v35
	v_lshl_add_u64 v[24:25], v[40:41], 1, s[16:17]
	global_load_dwordx4 v[24:27], v[24:25], off
.LBB9_34:                               ;   in Loop: Header=BB9_21 Depth=2
	s_andn2_saveexec_b64 s[30:31], s[30:31]
	s_cbranch_execz .LBB9_36
; %bb.35:                               ;   in Loop: Header=BB9_21 Depth=2
	s_waitcnt vmcnt(0)
	ds_read_b128 v[24:27], v50 offset:1024
.LBB9_36:                               ;   in Loop: Header=BB9_21 Depth=2
	s_or_b64 exec, exec, s[30:31]
	v_cmp_gt_u32_e32 vcc, s8, v38
	v_mov_b32_e32 v31, 0
	v_mov_b32_e32 v30, 0
	;; [unrolled: 1-line block ×4, first 2 shown]
	s_and_saveexec_b64 s[30:31], vcc
	s_cbranch_execz .LBB9_17
; %bb.37:                               ;   in Loop: Header=BB9_21 Depth=2
	v_cmp_lt_u32_e32 vcc, s39, v38
                                        ; implicit-def: $vgpr31
	s_and_saveexec_b64 s[34:35], vcc
	s_xor_b64 s[34:35], exec, s[34:35]
	s_cbranch_execz .LBB9_39
; %bb.38:                               ;   in Loop: Header=BB9_21 Depth=2
	v_mov_b32_e32 v39, v35
	v_lshl_add_u64 v[28:29], v[38:39], 1, s[16:17]
	global_load_dwordx4 v[28:31], v[28:29], off
.LBB9_39:                               ;   in Loop: Header=BB9_21 Depth=2
	s_andn2_saveexec_b64 s[34:35], s[34:35]
	s_cbranch_execz .LBB9_16
; %bb.40:                               ;   in Loop: Header=BB9_21 Depth=2
	s_waitcnt vmcnt(0)
	ds_read_b128 v[28:31], v50 offset:1536
	s_branch .LBB9_16
.LBB9_41:                               ;   in Loop: Header=BB9_14 Depth=1
	v_cvt_i32_f32_e32 v0, v33
	s_nop 1
	v_cvt_f32_i32_dpp v0, v0 row_shr:8 row_mask:0xf bank_mask:0xf bound_ctrl:1
	v_add_f32_e32 v0, v33, v0
	v_cvt_i32_f32_e32 v1, v0
	s_nop 1
	v_cvt_f32_i32_dpp v1, v1 row_shr:4 row_mask:0xf bank_mask:0xf bound_ctrl:1
	v_add_f32_e32 v0, v0, v1
	v_cvt_i32_f32_e32 v1, v0
	s_nop 1
	v_cvt_f32_i32_dpp v1, v1 row_shr:2 row_mask:0xf bank_mask:0xf bound_ctrl:1
	v_add_f32_e32 v0, v0, v1
	v_cvt_i32_f32_e32 v1, v0
	s_nop 1
	v_cvt_f32_i32_dpp v1, v1 row_shr:1 row_mask:0xf bank_mask:0xf bound_ctrl:1
	v_add_f32_e32 v0, v0, v1
	v_cvt_i32_f32_e32 v1, v0
	s_nop 1
	v_cvt_f32_i32_dpp v1, v1 row_bcast:15 row_mask:0xf bank_mask:0xf bound_ctrl:1
	v_add_f32_e32 v0, v0, v1
	v_cvt_i32_f32_e32 v1, v0
	s_nop 1
	v_mov_b32_dpp v1, v1 row_bcast:31 row_mask:0xf bank_mask:0xf bound_ctrl:1
	s_and_saveexec_b64 s[4:5], s[0:1]
	s_cbranch_execz .LBB9_13
; %bb.42:                               ;   in Loop: Header=BB9_14 Depth=1
	s_andn2_b64 vcc, exec, s[22:23]
	s_cbranch_vccnz .LBB9_44
; %bb.43:                               ;   in Loop: Header=BB9_14 Depth=1
	s_waitcnt vmcnt(0)
	v_mul_hi_u32 v2, v32, v48
	v_mul_lo_u32 v2, v2, s33
	v_sub_u32_e32 v2, v32, v2
	v_subrev_u32_e32 v3, s33, v2
	v_cmp_le_u32_e32 vcc, s33, v2
	s_nop 1
	v_cndmask_b32_e32 v2, v2, v3, vcc
	v_subrev_u32_e32 v3, s33, v2
	v_cmp_le_u32_e32 vcc, s33, v2
	s_nop 1
	v_cndmask_b32_e32 v34, v2, v3, vcc
	v_lshl_add_u64 v[2:3], v[34:35], 1, s[12:13]
	global_load_ushort v2, v[2:3], off
	v_cmp_ne_u32_e32 vcc, 0, v46
	s_and_b64 exec, exec, vcc
	s_cbranch_execz .LBB9_13
	s_branch .LBB9_45
.LBB9_44:                               ;   in Loop: Header=BB9_14 Depth=1
	s_waitcnt vmcnt(0)
	v_mov_b32_e32 v2, 0
	v_cmp_ne_u32_e32 vcc, 0, v46
	s_and_b64 exec, exec, vcc
	s_cbranch_execz .LBB9_13
.LBB9_45:                               ;   in Loop: Header=BB9_14 Depth=1
	v_cvt_f32_i32_e32 v1, v1
	s_waitcnt vmcnt(0)
	v_cvt_f32_f16_e32 v2, v2
	v_mov_b32_e32 v33, v35
	v_add_f32_e32 v0, v0, v1
	v_add_f32_e32 v0, v0, v2
	v_cvt_f16_f32_e32 v2, v0
	v_lshl_add_u64 v[0:1], v[32:33], 1, s[14:15]
	global_store_short v[0:1], v2, off
	s_branch .LBB9_13
.LBB9_46:
	s_endpgm
	.section	.rodata,"a",@progbits
	.p2align	6, 0x0
	.amdhsa_kernel _Z12wvSplitK_hf_I6__halfLi32ELi1ELi16ELi8ELi4ELi1EEviiiiiiPKT_S3_S3_PS1_ii
		.amdhsa_group_segment_fixed_size 65536
		.amdhsa_private_segment_fixed_size 0
		.amdhsa_kernarg_size 64
		.amdhsa_user_sgpr_count 2
		.amdhsa_user_sgpr_dispatch_ptr 0
		.amdhsa_user_sgpr_queue_ptr 0
		.amdhsa_user_sgpr_kernarg_segment_ptr 1
		.amdhsa_user_sgpr_dispatch_id 0
		.amdhsa_user_sgpr_kernarg_preload_length 0
		.amdhsa_user_sgpr_kernarg_preload_offset 0
		.amdhsa_user_sgpr_private_segment_size 0
		.amdhsa_uses_dynamic_stack 0
		.amdhsa_enable_private_segment 0
		.amdhsa_system_sgpr_workgroup_id_x 1
		.amdhsa_system_sgpr_workgroup_id_y 0
		.amdhsa_system_sgpr_workgroup_id_z 0
		.amdhsa_system_sgpr_workgroup_info 0
		.amdhsa_system_vgpr_workitem_id 1
		.amdhsa_next_free_vgpr 51
		.amdhsa_next_free_sgpr 41
		.amdhsa_accum_offset 52
		.amdhsa_reserve_vcc 1
		.amdhsa_float_round_mode_32 0
		.amdhsa_float_round_mode_16_64 0
		.amdhsa_float_denorm_mode_32 3
		.amdhsa_float_denorm_mode_16_64 3
		.amdhsa_dx10_clamp 1
		.amdhsa_ieee_mode 1
		.amdhsa_fp16_overflow 0
		.amdhsa_tg_split 0
		.amdhsa_exception_fp_ieee_invalid_op 0
		.amdhsa_exception_fp_denorm_src 0
		.amdhsa_exception_fp_ieee_div_zero 0
		.amdhsa_exception_fp_ieee_overflow 0
		.amdhsa_exception_fp_ieee_underflow 0
		.amdhsa_exception_fp_ieee_inexact 0
		.amdhsa_exception_int_div_zero 0
	.end_amdhsa_kernel
	.section	.text._Z12wvSplitK_hf_I6__halfLi32ELi1ELi16ELi8ELi4ELi1EEviiiiiiPKT_S3_S3_PS1_ii,"axG",@progbits,_Z12wvSplitK_hf_I6__halfLi32ELi1ELi16ELi8ELi4ELi1EEviiiiiiPKT_S3_S3_PS1_ii,comdat
.Lfunc_end9:
	.size	_Z12wvSplitK_hf_I6__halfLi32ELi1ELi16ELi8ELi4ELi1EEviiiiiiPKT_S3_S3_PS1_ii, .Lfunc_end9-_Z12wvSplitK_hf_I6__halfLi32ELi1ELi16ELi8ELi4ELi1EEviiiiiiPKT_S3_S3_PS1_ii
                                        ; -- End function
	.section	.AMDGPU.csdata,"",@progbits
; Kernel info:
; codeLenInByte = 1952
; NumSgprs: 47
; NumVgprs: 51
; NumAgprs: 0
; TotalNumVgprs: 51
; ScratchSize: 0
; MemoryBound: 1
; FloatMode: 240
; IeeeMode: 1
; LDSByteSize: 65536 bytes/workgroup (compile time only)
; SGPRBlocks: 5
; VGPRBlocks: 6
; NumSGPRsForWavesPerEU: 47
; NumVGPRsForWavesPerEU: 51
; AccumOffset: 52
; Occupancy: 2
; WaveLimiterHint : 0
; COMPUTE_PGM_RSRC2:SCRATCH_EN: 0
; COMPUTE_PGM_RSRC2:USER_SGPR: 2
; COMPUTE_PGM_RSRC2:TRAP_HANDLER: 0
; COMPUTE_PGM_RSRC2:TGID_X_EN: 1
; COMPUTE_PGM_RSRC2:TGID_Y_EN: 0
; COMPUTE_PGM_RSRC2:TGID_Z_EN: 0
; COMPUTE_PGM_RSRC2:TIDIG_COMP_CNT: 1
; COMPUTE_PGM_RSRC3_GFX90A:ACCUM_OFFSET: 12
; COMPUTE_PGM_RSRC3_GFX90A:TG_SPLIT: 0
	.section	.text._Z16wvSplitK_hf_big_I6__halfLi32ELi1ELi16ELi8ELi4ELi1EEviiiiiiPKT_S3_S3_PS1_ii,"axG",@progbits,_Z16wvSplitK_hf_big_I6__halfLi32ELi1ELi16ELi8ELi4ELi1EEviiiiiiPKT_S3_S3_PS1_ii,comdat
	.protected	_Z16wvSplitK_hf_big_I6__halfLi32ELi1ELi16ELi8ELi4ELi1EEviiiiiiPKT_S3_S3_PS1_ii ; -- Begin function _Z16wvSplitK_hf_big_I6__halfLi32ELi1ELi16ELi8ELi4ELi1EEviiiiiiPKT_S3_S3_PS1_ii
	.globl	_Z16wvSplitK_hf_big_I6__halfLi32ELi1ELi16ELi8ELi4ELi1EEviiiiiiPKT_S3_S3_PS1_ii
	.p2align	8
	.type	_Z16wvSplitK_hf_big_I6__halfLi32ELi1ELi16ELi8ELi4ELi1EEviiiiiiPKT_S3_S3_PS1_ii,@function
_Z16wvSplitK_hf_big_I6__halfLi32ELi1ELi16ELi8ELi4ELi1EEviiiiiiPKT_S3_S3_PS1_ii: ; @_Z16wvSplitK_hf_big_I6__halfLi32ELi1ELi16ELi8ELi4ELi1EEviiiiiiPKT_S3_S3_PS1_ii
; %bb.0:
	s_load_dwordx2 s[4:5], s[0:1], 0x38
	v_bfe_u32 v1, v0, 10, 10
	s_waitcnt lgkmcnt(0)
	v_cmp_gt_u32_e32 vcc, s4, v1
	s_and_saveexec_b64 s[6:7], vcc
	s_cbranch_execz .LBB10_38
; %bb.1:
	s_load_dwordx4 s[20:23], s[0:1], 0x0
	s_mul_i32 s2, s2, s4
	v_add_u32_e32 v32, s2, v1
	v_add_u32_e32 v2, 1, v32
	v_mov_b32_e32 v38, 1
	s_waitcnt lgkmcnt(0)
	v_cmp_gt_u32_e32 vcc, s23, v32
	v_cmp_le_u32_e64 s[2:3], s23, v2
	s_and_b64 s[6:7], vcc, s[2:3]
	s_and_saveexec_b64 s[2:3], s[6:7]
; %bb.2:
	v_subrev_u32_e32 v2, s23, v32
	v_cmp_eq_u32_e32 vcc, -1, v2
	s_add_i32 s6, s23, -1
	v_mov_b32_e32 v32, s6
	v_cndmask_b32_e64 v38, 0, 1, vcc
; %bb.3:
	s_or_b64 exec, exec, s[2:3]
	s_abs_i32 s2, s4
	v_cvt_f32_u32_e32 v2, s2
	s_sub_i32 s7, 0, s2
	s_abs_i32 s6, s23
	s_ashr_i32 s3, s23, 31
	v_rcp_iflag_f32_e32 v2, v2
	s_nop 0
	v_mul_f32_e32 v2, 0x4f7ffffe, v2
	v_cvt_u32_f32_e32 v2, v2
	s_nop 0
	v_readfirstlane_b32 s8, v2
	s_mul_i32 s7, s7, s8
	s_mul_hi_u32 s7, s8, s7
	s_add_i32 s8, s8, s7
	s_mul_hi_u32 s7, s6, s8
	s_mul_i32 s7, s7, s2
	s_sub_i32 s6, s6, s7
	s_sub_i32 s7, s6, s2
	s_cmp_ge_u32 s6, s2
	s_cselect_b32 s6, s7, s6
	s_sub_i32 s7, s6, s2
	s_cmp_ge_u32 s6, s2
	s_cselect_b32 s2, s7, s6
	s_xor_b32 s2, s2, s3
	s_sub_i32 s2, s2, s3
	s_add_i32 s3, s4, s23
	s_sub_i32 s3, s3, s2
	s_cmp_eq_u32 s2, 0
	s_cselect_b32 s33, s23, s3
	v_cmp_gt_u32_e32 vcc, s33, v32
	s_and_b64 exec, exec, vcc
	s_cbranch_execz .LBB10_38
; %bb.4:
	s_load_dwordx8 s[12:19], s[0:1], 0x18
	s_load_dword s36, s[0:1], 0x10
	s_min_u32 s37, s22, 0x8000
	s_cmp_lg_u32 s20, 0
	s_cselect_b64 s[2:3], -1, 0
	s_cmp_lg_u32 s22, 0
	s_waitcnt lgkmcnt(0)
	v_cvt_f32_u32_e32 v2, s36
	s_cselect_b64 s[6:7], -1, 0
	v_and_b32_e32 v0, 0x3ff, v0
	s_lshl_b32 s38, s4, 8
	v_rcp_iflag_f32_e32 v2, v2
	s_add_i32 s39, s20, -8
	s_add_i32 s40, s23, -1
	v_lshlrev_b32_e32 v39, 3, v0
	v_mul_f32_e32 v2, 0x4f7ffffe, v2
	v_cvt_u32_f32_e32 v2, v2
	v_cmp_eq_u32_e64 s[0:1], 31, v0
	s_cmp_lg_u64 s[16:17], 0
	v_lshlrev_b32_e32 v0, 4, v0
	s_mul_i32 s41, s5, s4
	s_cselect_b64 s[8:9], -1, 0
	s_sub_i32 s5, 0, s36
	v_lshl_add_u32 v41, v1, 9, v0
	v_cndmask_b32_e64 v0, 0, 1, s[2:3]
	v_mul_lo_u32 v3, s5, v2
	v_cmp_ne_u32_e64 s[2:3], 1, v0
	v_cndmask_b32_e64 v0, 0, 1, s[6:7]
	s_sub_i32 s42, s41, s23
	v_mul_hi_u32 v3, v2, v3
	s_lshl_b32 s43, s4, 9
	v_cmp_ne_u32_e64 s[4:5], 1, v0
	v_cndmask_b32_e64 v0, 0, 1, s[8:9]
	s_mov_b64 s[24:25], 0
	s_add_i32 s42, s42, 2
	v_add_u32_e32 v40, v2, v3
	v_mov_b32_e32 v35, 0
	v_lshl_add_u32 v42, v1, 8, v39
	v_cmp_ne_u32_e64 s[6:7], 1, v0
	s_branch .LBB10_7
.LBB10_5:                               ;   in Loop: Header=BB10_7 Depth=1
	s_or_b64 exec, exec, s[8:9]
.LBB10_6:                               ;   in Loop: Header=BB10_7 Depth=1
	s_or_b64 exec, exec, s[10:11]
	v_cmp_le_u32_e32 vcc, s33, v0
	s_or_b64 s[24:25], vcc, s[24:25]
	v_mov_b32_e32 v32, v0
	s_andn2_b64 exec, exec, s[24:25]
	s_cbranch_execz .LBB10_38
.LBB10_7:                               ; =>This Loop Header: Depth=1
                                        ;     Child Loop BB10_14 Depth 2
                                        ;       Child Loop BB10_19 Depth 3
	s_and_b64 vcc, exec, s[2:3]
	v_mov_b32_e32 v33, v35
	s_cbranch_vccnz .LBB10_28
; %bb.8:                                ;   in Loop: Header=BB10_7 Depth=1
	v_min_u32_e32 v0, s40, v32
	v_mul_lo_u32 v34, v0, s21
	v_cmp_gt_u32_e64 s[8:9], s23, v32
	v_lshl_add_u64 v[36:37], v[34:35], 1, s[12:13]
	s_mov_b32 s44, 0
	v_mov_b32_e32 v33, 0
	s_mov_b32 s45, 0
	s_branch .LBB10_14
.LBB10_9:                               ;   in Loop: Header=BB10_14 Depth=2
	s_or_b64 exec, exec, s[34:35]
.LBB10_10:                              ;   in Loop: Header=BB10_14 Depth=2
	s_or_b64 exec, exec, s[30:31]
.LBB10_11:                              ;   in Loop: Header=BB10_14 Depth=2
	s_or_b64 exec, exec, s[28:29]
.LBB10_12:                              ;   in Loop: Header=BB10_14 Depth=2
	s_or_b64 exec, exec, s[26:27]
	s_waitcnt vmcnt(3) lgkmcnt(0)
	;;#ASMSTART
	v_dot2c_f32_f16 v33, v28, v16
	;;#ASMEND
	s_nop 0
	;;#ASMSTART
	v_dot2c_f32_f16 v33, v29, v17
	;;#ASMEND
	s_nop 0
	;;#ASMSTART
	v_dot2c_f32_f16 v33, v30, v18
	;;#ASMEND
	s_nop 0
	;;#ASMSTART
	v_dot2c_f32_f16 v33, v31, v19
	;;#ASMEND
	s_waitcnt vmcnt(2)
	;;#ASMSTART
	v_dot2c_f32_f16 v33, v24, v8
	;;#ASMEND
	s_nop 0
	;;#ASMSTART
	v_dot2c_f32_f16 v33, v25, v9
	;;#ASMEND
	s_nop 0
	;;#ASMSTART
	v_dot2c_f32_f16 v33, v26, v10
	;;#ASMEND
	s_nop 0
	;;#ASMSTART
	v_dot2c_f32_f16 v33, v27, v11
	;;#ASMEND
	s_waitcnt vmcnt(1)
	;;#ASMSTART
	v_dot2c_f32_f16 v33, v20, v4
	;;#ASMEND
	s_nop 0
	;;#ASMSTART
	v_dot2c_f32_f16 v33, v21, v5
	;;#ASMEND
	s_nop 0
	;;#ASMSTART
	v_dot2c_f32_f16 v33, v22, v6
	;;#ASMEND
	s_nop 0
	;;#ASMSTART
	v_dot2c_f32_f16 v33, v23, v7
	;;#ASMEND
	s_waitcnt vmcnt(0)
	;;#ASMSTART
	v_dot2c_f32_f16 v33, v12, v0
	;;#ASMEND
	s_nop 0
	;;#ASMSTART
	v_dot2c_f32_f16 v33, v13, v1
	;;#ASMEND
	s_nop 0
	;; [unrolled: 4-line block ×3, first 2 shown]
	;;#ASMSTART
	v_dot2c_f32_f16 v33, v15, v3
	;;#ASMEND
.LBB10_13:                              ;   in Loop: Header=BB10_14 Depth=2
	s_or_b64 exec, exec, s[10:11]
	s_addk_i32 s45, 0x400
	s_cmp_ge_u32 s45, s20
	s_cbranch_scc1 .LBB10_28
.LBB10_14:                              ;   Parent Loop BB10_7 Depth=1
                                        ; =>  This Loop Header: Depth=2
                                        ;       Child Loop BB10_19 Depth 3
	s_cmp_eq_u32 s45, 0
	s_cselect_b64 s[10:11], -1, 0
	s_add_i32 s26, s44, s37
	s_cmp_eq_u32 s45, s26
	s_cselect_b64 s[28:29], -1, 0
	s_or_b64 s[28:29], s[10:11], s[28:29]
	s_andn2_b64 vcc, exec, s[28:29]
	s_cbranch_vccz .LBB10_16
; %bb.15:                               ;   in Loop: Header=BB10_14 Depth=2
	s_and_saveexec_b64 s[10:11], s[8:9]
	s_cbranch_execz .LBB10_13
	s_branch .LBB10_23
.LBB10_16:                              ;   in Loop: Header=BB10_14 Depth=2
	s_and_b64 s[10:11], s[10:11], exec
	s_cselect_b32 s44, s44, s26
	s_and_b64 vcc, exec, s[4:5]
	s_barrier
	s_cbranch_vccnz .LBB10_22
; %bb.17:                               ;   in Loop: Header=BB10_14 Depth=2
	v_add_u32_e32 v0, s44, v42
	s_mov_b32 s30, 0
	s_mov_b64 s[26:27], 0
	v_mov_b32_e32 v1, v41
                                        ; implicit-def: $sgpr28_sgpr29
	s_branch .LBB10_19
.LBB10_18:                              ;   in Loop: Header=BB10_19 Depth=3
	s_or_b64 exec, exec, s[10:11]
	s_and_b64 s[10:11], exec, s[28:29]
	s_or_b64 s[26:27], s[10:11], s[26:27]
	s_andn2_b64 exec, exec, s[26:27]
	s_cbranch_execz .LBB10_21
.LBB10_19:                              ;   Parent Loop BB10_7 Depth=1
                                        ;     Parent Loop BB10_14 Depth=2
                                        ; =>    This Inner Loop Header: Depth=3
	s_waitcnt vmcnt(0)
	v_add_u32_e32 v2, s30, v42
	v_add_u32_e32 v34, s30, v0
	v_cmp_gt_u32_e32 vcc, s22, v34
	v_cmp_gt_u32_e64 s[10:11], s37, v2
	s_and_b64 s[34:35], s[10:11], vcc
	s_or_b64 s[28:29], s[28:29], exec
	s_and_saveexec_b64 s[10:11], s[34:35]
	s_cbranch_execz .LBB10_18
; %bb.20:                               ;   in Loop: Header=BB10_19 Depth=3
	v_lshl_add_u64 v[2:3], v[34:35], 1, s[14:15]
	global_load_dwordx4 v[2:5], v[2:3], off
	s_add_i32 s30, s30, s38
	s_cmp_ge_u32 s30, s37
	s_cselect_b64 s[34:35], -1, 0
	s_andn2_b64 s[28:29], s[28:29], exec
	s_and_b64 s[34:35], s[34:35], exec
	s_or_b64 s[28:29], s[28:29], s[34:35]
	s_waitcnt vmcnt(0)
	ds_write_b128 v1, v[2:5]
	v_add_u32_e32 v1, s43, v1
	s_branch .LBB10_18
.LBB10_21:                              ;   in Loop: Header=BB10_14 Depth=2
	s_or_b64 exec, exec, s[26:27]
.LBB10_22:                              ;   in Loop: Header=BB10_14 Depth=2
	s_waitcnt lgkmcnt(0)
	s_barrier
	s_and_saveexec_b64 s[10:11], s[8:9]
	s_cbranch_execz .LBB10_13
.LBB10_23:                              ;   in Loop: Header=BB10_14 Depth=2
	v_add_u32_e32 v45, s45, v39
	v_min_u32_e32 v34, s39, v45
	v_add_u32_e32 v46, 0x100, v45
	v_lshl_add_u64 v[0:1], v[34:35], 1, v[36:37]
	v_min_u32_e32 v34, s39, v46
	v_add_u32_e32 v44, 0x200, v45
	s_waitcnt vmcnt(0)
	v_lshl_add_u64 v[2:3], v[34:35], 1, v[36:37]
	v_min_u32_e32 v34, s39, v44
	v_add_u32_e32 v43, 0x300, v45
	v_lshl_add_u64 v[12:13], v[34:35], 1, v[36:37]
	v_min_u32_e32 v34, s39, v43
	global_load_dwordx4 v[16:19], v[0:1], off nt
	global_load_dwordx4 v[8:11], v[2:3], off nt
	v_lshl_add_u64 v[14:15], v[34:35], 1, v[36:37]
	global_load_dwordx4 v[4:7], v[12:13], off nt
	global_load_dwordx4 v[0:3], v[14:15], off nt
	v_cmp_gt_u32_e32 vcc, s20, v45
	v_mov_b32_e32 v30, 0
	v_mov_b32_e32 v31, 0
	;; [unrolled: 1-line block ×16, first 2 shown]
	s_and_saveexec_b64 s[26:27], vcc
	s_cbranch_execz .LBB10_12
; %bb.24:                               ;   in Loop: Header=BB10_14 Depth=2
	v_subrev_u32_e32 v12, s44, v45
	v_lshlrev_b32_e32 v34, 1, v12
	ds_read_b128 v[28:31], v34
	v_cmp_gt_u32_e32 vcc, s20, v46
	v_mov_b32_e32 v15, 0
	v_mov_b32_e32 v14, 0
	v_mov_b32_e32 v13, 0
	v_mov_b32_e32 v12, 0
	v_mov_b32_e32 v23, 0
	v_mov_b32_e32 v22, 0
	v_mov_b32_e32 v21, 0
	v_mov_b32_e32 v20, 0
	v_mov_b32_e32 v27, 0
	v_mov_b32_e32 v26, 0
	v_mov_b32_e32 v25, 0
	v_mov_b32_e32 v24, 0
	s_and_saveexec_b64 s[28:29], vcc
	s_cbranch_execz .LBB10_11
; %bb.25:                               ;   in Loop: Header=BB10_14 Depth=2
	ds_read_b128 v[24:27], v34 offset:512
	v_cmp_gt_u32_e32 vcc, s20, v44
	v_mov_b32_e32 v15, 0
	v_mov_b32_e32 v14, 0
	v_mov_b32_e32 v13, 0
	v_mov_b32_e32 v12, 0
	v_mov_b32_e32 v23, 0
	v_mov_b32_e32 v22, 0
	v_mov_b32_e32 v21, 0
	v_mov_b32_e32 v20, 0
	s_and_saveexec_b64 s[30:31], vcc
	s_cbranch_execz .LBB10_10
; %bb.26:                               ;   in Loop: Header=BB10_14 Depth=2
	ds_read_b128 v[20:23], v34 offset:1024
	v_cmp_gt_u32_e32 vcc, s20, v43
	v_mov_b32_e32 v15, 0
	v_mov_b32_e32 v14, 0
	v_mov_b32_e32 v13, 0
	v_mov_b32_e32 v12, 0
	s_and_saveexec_b64 s[34:35], vcc
	s_cbranch_execz .LBB10_9
; %bb.27:                               ;   in Loop: Header=BB10_14 Depth=2
	ds_read_b128 v[12:15], v34 offset:1536
	s_branch .LBB10_9
.LBB10_28:                              ;   in Loop: Header=BB10_7 Depth=1
	v_cmp_le_u32_e32 vcc, s23, v32
                                        ; implicit-def: $vgpr0
	s_and_saveexec_b64 s[8:9], vcc
	s_xor_b64 s[8:9], exec, s[8:9]
; %bb.29:                               ;   in Loop: Header=BB10_7 Depth=1
	v_add_u32_e32 v0, s41, v32
                                        ; implicit-def: $vgpr32
                                        ; implicit-def: $vgpr33
; %bb.30:                               ;   in Loop: Header=BB10_7 Depth=1
	s_andn2_saveexec_b64 s[10:11], s[8:9]
	s_cbranch_execz .LBB10_6
; %bb.31:                               ;   in Loop: Header=BB10_7 Depth=1
	v_cvt_i32_f32_e32 v0, v33
	s_nop 1
	v_cvt_f32_i32_dpp v0, v0 row_shr:8 row_mask:0xf bank_mask:0xf bound_ctrl:1
	v_add_f32_e32 v0, v33, v0
	v_cvt_i32_f32_e32 v1, v0
	s_nop 1
	v_cvt_f32_i32_dpp v1, v1 row_shr:4 row_mask:0xf bank_mask:0xf bound_ctrl:1
	v_add_f32_e32 v0, v0, v1
	;; [unrolled: 4-line block ×4, first 2 shown]
	v_cvt_i32_f32_e32 v1, v0
	s_nop 1
	v_cvt_f32_i32_dpp v1, v1 row_bcast:15 row_mask:0xf bank_mask:0xf bound_ctrl:1
	v_add_f32_e32 v0, v0, v1
	v_cvt_i32_f32_e32 v1, v0
	s_nop 1
	v_mov_b32_dpp v1, v1 row_bcast:31 row_mask:0xf bank_mask:0xf bound_ctrl:1
	s_and_saveexec_b64 s[8:9], s[0:1]
	s_cbranch_execz .LBB10_35
; %bb.32:                               ;   in Loop: Header=BB10_7 Depth=1
	s_and_b64 vcc, exec, s[6:7]
	s_cbranch_vccnz .LBB10_37
; %bb.33:                               ;   in Loop: Header=BB10_7 Depth=1
	s_waitcnt vmcnt(0)
	v_mul_hi_u32 v2, v32, v40
	v_mul_lo_u32 v2, v2, s36
	v_sub_u32_e32 v2, v32, v2
	v_subrev_u32_e32 v3, s36, v2
	v_cmp_le_u32_e32 vcc, s36, v2
	s_nop 1
	v_cndmask_b32_e32 v2, v2, v3, vcc
	v_subrev_u32_e32 v3, s36, v2
	v_cmp_le_u32_e32 vcc, s36, v2
	s_nop 1
	v_cndmask_b32_e32 v34, v2, v3, vcc
	v_lshl_add_u64 v[2:3], v[34:35], 1, s[16:17]
	global_load_ushort v2, v[2:3], off
	v_cmp_ne_u32_e32 vcc, 0, v38
	s_and_b64 exec, exec, vcc
	s_cbranch_execz .LBB10_35
.LBB10_34:                              ;   in Loop: Header=BB10_7 Depth=1
	v_cvt_f32_i32_e32 v1, v1
	s_waitcnt vmcnt(0)
	v_cvt_f32_f16_e32 v2, v2
	v_mov_b32_e32 v33, v35
	v_add_f32_e32 v0, v0, v1
	v_add_f32_e32 v0, v0, v2
	v_cvt_f16_f32_e32 v2, v0
	v_lshl_add_u64 v[0:1], v[32:33], 1, s[18:19]
	global_store_short v[0:1], v2, off
.LBB10_35:                              ;   in Loop: Header=BB10_7 Depth=1
	s_or_b64 exec, exec, s[8:9]
	v_add_u32_e32 v0, s41, v32
	v_add_u32_e32 v1, 1, v0
	v_cmp_gt_u32_e32 vcc, s23, v0
	v_cmp_le_u32_e64 s[8:9], s23, v1
	s_and_b64 s[26:27], vcc, s[8:9]
	s_and_saveexec_b64 s[8:9], s[26:27]
	s_cbranch_execz .LBB10_5
; %bb.36:                               ;   in Loop: Header=BB10_7 Depth=1
	v_add_u32_e32 v0, s42, v32
	v_cmp_eq_u32_e32 vcc, 1, v0
	v_mov_b32_e32 v0, s40
	s_nop 0
	v_cndmask_b32_e32 v38, 0, v38, vcc
	s_branch .LBB10_5
.LBB10_37:                              ;   in Loop: Header=BB10_7 Depth=1
	s_waitcnt vmcnt(0)
	v_mov_b32_e32 v2, 0
	v_cmp_ne_u32_e32 vcc, 0, v38
	s_and_b64 exec, exec, vcc
	s_cbranch_execnz .LBB10_34
	s_branch .LBB10_35
.LBB10_38:
	s_endpgm
	.section	.rodata,"a",@progbits
	.p2align	6, 0x0
	.amdhsa_kernel _Z16wvSplitK_hf_big_I6__halfLi32ELi1ELi16ELi8ELi4ELi1EEviiiiiiPKT_S3_S3_PS1_ii
		.amdhsa_group_segment_fixed_size 65536
		.amdhsa_private_segment_fixed_size 0
		.amdhsa_kernarg_size 64
		.amdhsa_user_sgpr_count 2
		.amdhsa_user_sgpr_dispatch_ptr 0
		.amdhsa_user_sgpr_queue_ptr 0
		.amdhsa_user_sgpr_kernarg_segment_ptr 1
		.amdhsa_user_sgpr_dispatch_id 0
		.amdhsa_user_sgpr_kernarg_preload_length 0
		.amdhsa_user_sgpr_kernarg_preload_offset 0
		.amdhsa_user_sgpr_private_segment_size 0
		.amdhsa_uses_dynamic_stack 0
		.amdhsa_enable_private_segment 0
		.amdhsa_system_sgpr_workgroup_id_x 1
		.amdhsa_system_sgpr_workgroup_id_y 0
		.amdhsa_system_sgpr_workgroup_id_z 0
		.amdhsa_system_sgpr_workgroup_info 0
		.amdhsa_system_vgpr_workitem_id 1
		.amdhsa_next_free_vgpr 47
		.amdhsa_next_free_sgpr 46
		.amdhsa_accum_offset 48
		.amdhsa_reserve_vcc 1
		.amdhsa_float_round_mode_32 0
		.amdhsa_float_round_mode_16_64 0
		.amdhsa_float_denorm_mode_32 3
		.amdhsa_float_denorm_mode_16_64 3
		.amdhsa_dx10_clamp 1
		.amdhsa_ieee_mode 1
		.amdhsa_fp16_overflow 0
		.amdhsa_tg_split 0
		.amdhsa_exception_fp_ieee_invalid_op 0
		.amdhsa_exception_fp_denorm_src 0
		.amdhsa_exception_fp_ieee_div_zero 0
		.amdhsa_exception_fp_ieee_overflow 0
		.amdhsa_exception_fp_ieee_underflow 0
		.amdhsa_exception_fp_ieee_inexact 0
		.amdhsa_exception_int_div_zero 0
	.end_amdhsa_kernel
	.section	.text._Z16wvSplitK_hf_big_I6__halfLi32ELi1ELi16ELi8ELi4ELi1EEviiiiiiPKT_S3_S3_PS1_ii,"axG",@progbits,_Z16wvSplitK_hf_big_I6__halfLi32ELi1ELi16ELi8ELi4ELi1EEviiiiiiPKT_S3_S3_PS1_ii,comdat
.Lfunc_end10:
	.size	_Z16wvSplitK_hf_big_I6__halfLi32ELi1ELi16ELi8ELi4ELi1EEviiiiiiPKT_S3_S3_PS1_ii, .Lfunc_end10-_Z16wvSplitK_hf_big_I6__halfLi32ELi1ELi16ELi8ELi4ELi1EEviiiiiiPKT_S3_S3_PS1_ii
                                        ; -- End function
	.section	.AMDGPU.csdata,"",@progbits
; Kernel info:
; codeLenInByte = 1732
; NumSgprs: 52
; NumVgprs: 47
; NumAgprs: 0
; TotalNumVgprs: 47
; ScratchSize: 0
; MemoryBound: 0
; FloatMode: 240
; IeeeMode: 1
; LDSByteSize: 65536 bytes/workgroup (compile time only)
; SGPRBlocks: 6
; VGPRBlocks: 5
; NumSGPRsForWavesPerEU: 52
; NumVGPRsForWavesPerEU: 47
; AccumOffset: 48
; Occupancy: 2
; WaveLimiterHint : 0
; COMPUTE_PGM_RSRC2:SCRATCH_EN: 0
; COMPUTE_PGM_RSRC2:USER_SGPR: 2
; COMPUTE_PGM_RSRC2:TRAP_HANDLER: 0
; COMPUTE_PGM_RSRC2:TGID_X_EN: 1
; COMPUTE_PGM_RSRC2:TGID_Y_EN: 0
; COMPUTE_PGM_RSRC2:TGID_Z_EN: 0
; COMPUTE_PGM_RSRC2:TIDIG_COMP_CNT: 1
; COMPUTE_PGM_RSRC3_GFX90A:ACCUM_OFFSET: 11
; COMPUTE_PGM_RSRC3_GFX90A:TG_SPLIT: 0
	.section	.text._Z16wvSplitK_hf_sml_I6__halfLi32ELi2ELi16ELi8ELi2ELi1EEviiiiiiPKT_S3_S3_PS1_ii,"axG",@progbits,_Z16wvSplitK_hf_sml_I6__halfLi32ELi2ELi16ELi8ELi2ELi1EEviiiiiiPKT_S3_S3_PS1_ii,comdat
	.protected	_Z16wvSplitK_hf_sml_I6__halfLi32ELi2ELi16ELi8ELi2ELi1EEviiiiiiPKT_S3_S3_PS1_ii ; -- Begin function _Z16wvSplitK_hf_sml_I6__halfLi32ELi2ELi16ELi8ELi2ELi1EEviiiiiiPKT_S3_S3_PS1_ii
	.globl	_Z16wvSplitK_hf_sml_I6__halfLi32ELi2ELi16ELi8ELi2ELi1EEviiiiiiPKT_S3_S3_PS1_ii
	.p2align	8
	.type	_Z16wvSplitK_hf_sml_I6__halfLi32ELi2ELi16ELi8ELi2ELi1EEviiiiiiPKT_S3_S3_PS1_ii,@function
_Z16wvSplitK_hf_sml_I6__halfLi32ELi2ELi16ELi8ELi2ELi1EEviiiiiiPKT_S3_S3_PS1_ii: ; @_Z16wvSplitK_hf_sml_I6__halfLi32ELi2ELi16ELi8ELi2ELi1EEviiiiiiPKT_S3_S3_PS1_ii
; %bb.0:
	s_load_dwordx4 s[4:7], s[0:1], 0x0
	v_and_b32_e32 v4, 0x3ff, v0
	v_bfe_u32 v5, v0, 10, 10
	v_lshlrev_b32_e32 v34, 3, v4
	v_lshl_add_u32 v6, v5, 8, v34
	s_waitcnt lgkmcnt(0)
	s_min_u32 s3, s6, 0x8000
	v_cmp_gt_u32_e32 vcc, s3, v6
	s_and_saveexec_b64 s[8:9], vcc
	s_cbranch_execz .LBB11_9
; %bb.1:
	s_load_dwordx2 s[10:11], s[0:1], 0x20
	v_lshlrev_b32_e32 v0, 1, v6
	v_add_u32_e32 v1, 0x1000, v6
	v_cmp_gt_u32_e32 vcc, s3, v1
	s_waitcnt lgkmcnt(0)
	global_load_dwordx4 v[8:11], v0, s[10:11]
	s_waitcnt vmcnt(0)
	ds_write_b128 v0, v[8:11]
	s_and_saveexec_b64 s[12:13], vcc
	s_xor_b64 s[12:13], exec, s[12:13]
	s_cbranch_execz .LBB11_9
; %bb.2:
	v_mov_b32_e32 v1, 0
	v_lshl_add_u64 v[2:3], s[10:11], 0, v[0:1]
	v_add_co_u32_e32 v8, vcc, 0x2000, v2
	v_add_u32_e32 v1, 0x2000, v6
	s_nop 0
	v_addc_co_u32_e32 v9, vcc, 0, v3, vcc
	global_load_dwordx4 v[8:11], v[8:9], off
	v_cmp_gt_u32_e32 vcc, s3, v1
	s_waitcnt vmcnt(0)
	ds_write_b128 v0, v[8:11] offset:8192
	s_and_saveexec_b64 s[10:11], vcc
	s_xor_b64 s[10:11], exec, s[10:11]
	s_cbranch_execz .LBB11_9
; %bb.3:
	v_add_co_u32_e32 v8, vcc, 0x4000, v2
	v_add_u32_e32 v1, 0x3000, v6
	s_nop 0
	v_addc_co_u32_e32 v9, vcc, 0, v3, vcc
	global_load_dwordx4 v[8:11], v[8:9], off
	v_cmp_gt_u32_e32 vcc, s3, v1
	s_waitcnt vmcnt(0)
	ds_write_b128 v0, v[8:11] offset:16384
	s_and_saveexec_b64 s[10:11], vcc
	s_xor_b64 s[10:11], exec, s[10:11]
	s_cbranch_execz .LBB11_9
; %bb.4:
	;; [unrolled: 12-line block ×6, first 2 shown]
	v_add_co_u32_e32 v2, vcc, 0xe000, v2
	s_nop 1
	v_addc_co_u32_e32 v3, vcc, 0, v3, vcc
	global_load_dwordx4 v[6:9], v[2:3], off
	s_waitcnt vmcnt(0)
	ds_write_b128 v0, v[6:9] offset:57344
.LBB11_9:
	s_or_b64 exec, exec, s[8:9]
	s_load_dwordx2 s[14:15], s[0:1], 0x38
	s_waitcnt lgkmcnt(0)
	s_barrier
	v_cmp_gt_u32_e32 vcc, s14, v5
	s_and_saveexec_b64 s[8:9], vcc
	s_cbranch_execz .LBB11_26
; %bb.10:
	s_load_dword s6, s[0:1], 0x10
	s_mul_i32 s2, s2, s14
	v_add_lshl_u32 v24, s2, v5, 1
	v_cmp_gt_u32_e32 vcc, s7, v24
	s_and_b64 exec, exec, vcc
	s_cbranch_execz .LBB11_26
; %bb.11:
	s_waitcnt lgkmcnt(0)
	v_cvt_f32_u32_e32 v0, s6
	s_load_dwordx4 s[8:11], s[0:1], 0x28
	s_load_dwordx2 s[12:13], s[0:1], 0x18
	s_cmp_lg_u32 s4, 0
	s_cselect_b64 s[2:3], -1, 0
	v_rcp_iflag_f32_e32 v0, v0
	s_add_i32 s22, s4, -8
	s_add_i32 s23, s7, -1
	s_mul_i32 s18, s14, s15
	v_mul_f32_e32 v0, 0x4f7ffffe, v0
	v_cvt_u32_f32_e32 v0, v0
	s_waitcnt lgkmcnt(0)
	s_cmp_lg_u64 s[8:9], 0
	s_cselect_b64 s[16:17], -1, 0
	s_lshl_b32 s24, s18, 1
	s_sub_i32 s18, 0, s6
	v_mul_lo_u32 v1, s18, v0
	v_mul_hi_u32 v1, v0, v1
	v_add_u32_e32 v35, v0, v1
	v_cndmask_b32_e64 v0, 0, 1, s[2:3]
	v_cmp_eq_u32_e64 s[0:1], 31, v4
	s_mov_b64 s[14:15], 0
	v_lshlrev_b32_e32 v36, 4, v4
	v_cmp_ne_u32_e64 s[2:3], 1, v0
	v_mov_b32_e32 v27, 0
	s_branch .LBB11_14
.LBB11_12:                              ;   in Loop: Header=BB11_14 Depth=1
	v_cvt_f32_i32_e32 v3, v3
	v_cvt_f32_i32_e32 v2, v2
	s_waitcnt vmcnt(1)
	v_cvt_f32_f16_e32 v5, v5
	s_waitcnt vmcnt(0)
	v_cvt_f32_f16_e32 v4, v4
	v_add_f32_e32 v0, v0, v3
	v_add_f32_e32 v1, v1, v2
	;; [unrolled: 1-line block ×3, first 2 shown]
	v_cvt_f16_f32_e32 v2, v0
	v_add_f32_e32 v0, v1, v4
	v_cvt_f16_f32_e32 v3, v0
	v_lshl_add_u64 v[0:1], v[24:25], 1, s[10:11]
	global_store_short v[0:1], v2, off
	v_lshl_add_u64 v[0:1], v[28:29], 1, s[10:11]
	global_store_short v[0:1], v3, off
.LBB11_13:                              ;   in Loop: Header=BB11_14 Depth=1
	s_or_b64 exec, exec, s[18:19]
	v_add_u32_e32 v24, s24, v24
	v_cmp_le_u32_e32 vcc, s7, v24
	s_or_b64 s[14:15], vcc, s[14:15]
	s_andn2_b64 exec, exec, s[14:15]
	s_cbranch_execz .LBB11_26
.LBB11_14:                              ; =>This Loop Header: Depth=1
                                        ;     Child Loop BB11_18 Depth 2
	s_mov_b32 s25, 0
	s_and_b64 vcc, exec, s[2:3]
	v_or_b32_e32 v28, 1, v24
	v_mov_b32_e32 v29, v27
	v_mov_b32_e32 v25, v27
	s_cbranch_vccnz .LBB11_21
; %bb.15:                               ;   in Loop: Header=BB11_14 Depth=1
	v_min_u32_e32 v0, s23, v24
	v_mul_lo_u32 v26, v0, s5
	v_min_u32_e32 v0, s23, v28
	v_mul_lo_u32 v0, v0, s5
	v_mov_b32_e32 v1, v27
	v_mov_b32_e32 v25, 0
	v_lshlrev_b64 v[30:31], 1, v[26:27]
	v_lshlrev_b64 v[32:33], 1, v[0:1]
	v_mov_b32_e32 v37, v36
	v_mov_b32_e32 v29, 0
	s_branch .LBB11_18
.LBB11_16:                              ;   in Loop: Header=BB11_18 Depth=2
	s_or_b64 exec, exec, s[20:21]
.LBB11_17:                              ;   in Loop: Header=BB11_18 Depth=2
	s_or_b64 exec, exec, s[18:19]
	s_waitcnt vmcnt(3) lgkmcnt(0)
	;;#ASMSTART
	v_dot2c_f32_f16 v25, v20, v16
	;;#ASMEND
	s_waitcnt vmcnt(2)
	;;#ASMSTART
	v_dot2c_f32_f16 v29, v20, v12
	;;#ASMEND
	s_addk_i32 s25, 0x200
	;;#ASMSTART
	v_dot2c_f32_f16 v25, v21, v17
	;;#ASMEND
	;;#ASMSTART
	v_dot2c_f32_f16 v29, v21, v13
	;;#ASMEND
	s_cmp_ge_u32 s25, s4
	;;#ASMSTART
	v_dot2c_f32_f16 v25, v22, v18
	;;#ASMEND
	;;#ASMSTART
	v_dot2c_f32_f16 v29, v22, v14
	;;#ASMEND
	v_add_u32_e32 v37, 0x400, v37
	;;#ASMSTART
	v_dot2c_f32_f16 v25, v23, v19
	;;#ASMEND
	;;#ASMSTART
	v_dot2c_f32_f16 v29, v23, v15
	;;#ASMEND
	s_waitcnt vmcnt(1)
	;;#ASMSTART
	v_dot2c_f32_f16 v25, v8, v4
	;;#ASMEND
	s_waitcnt vmcnt(0)
	;;#ASMSTART
	v_dot2c_f32_f16 v29, v8, v0
	;;#ASMEND
	;;#ASMSTART
	v_dot2c_f32_f16 v25, v9, v5
	;;#ASMEND
	s_nop 0
	;;#ASMSTART
	v_dot2c_f32_f16 v29, v9, v1
	;;#ASMEND
	;;#ASMSTART
	v_dot2c_f32_f16 v25, v10, v6
	;;#ASMEND
	s_nop 0
	;; [unrolled: 7-line block ×3, first 2 shown]
	;;#ASMSTART
	v_dot2c_f32_f16 v29, v11, v3
	;;#ASMEND
	s_cbranch_scc1 .LBB11_21
.LBB11_18:                              ;   Parent Loop BB11_14 Depth=1
                                        ; =>  This Inner Loop Header: Depth=2
	v_add_u32_e32 v20, s25, v34
	v_min_u32_e32 v26, s22, v20
	v_lshl_add_u64 v[0:1], v[26:27], 1, s[12:13]
	v_add_u32_e32 v38, 0x100, v20
	v_lshl_add_u64 v[2:3], v[0:1], 0, v[30:31]
	v_lshl_add_u64 v[0:1], v[0:1], 0, v[32:33]
	v_min_u32_e32 v26, s22, v38
	global_load_dwordx4 v[16:19], v[2:3], off nt
	global_load_dwordx4 v[12:15], v[0:1], off nt
	v_lshl_add_u64 v[0:1], v[26:27], 1, s[12:13]
	v_lshl_add_u64 v[8:9], v[0:1], 0, v[30:31]
	;; [unrolled: 1-line block ×3, first 2 shown]
	global_load_dwordx4 v[4:7], v[8:9], off nt
	global_load_dwordx4 v[0:3], v[10:11], off nt
	v_cmp_gt_u32_e32 vcc, s4, v20
	v_mov_b32_e32 v22, 0
	v_mov_b32_e32 v23, 0
	;; [unrolled: 1-line block ×8, first 2 shown]
	s_and_saveexec_b64 s[18:19], vcc
	s_cbranch_execz .LBB11_17
; %bb.19:                               ;   in Loop: Header=BB11_18 Depth=2
	ds_read_b128 v[20:23], v37
	v_cmp_gt_u32_e32 vcc, s4, v38
	v_mov_b32_e32 v11, 0
	v_mov_b32_e32 v10, 0
	;; [unrolled: 1-line block ×4, first 2 shown]
	s_and_saveexec_b64 s[20:21], vcc
	s_cbranch_execz .LBB11_16
; %bb.20:                               ;   in Loop: Header=BB11_18 Depth=2
	ds_read_b128 v[8:11], v37 offset:512
	s_branch .LBB11_16
.LBB11_21:                              ;   in Loop: Header=BB11_14 Depth=1
	; sched_barrier mask(0x00000000)
	v_cvt_i32_f32_e32 v0, v25
	v_cvt_i32_f32_e32 v1, v29
	s_nop 0
	v_cvt_f32_i32_dpp v0, v0 row_shr:8 row_mask:0xf bank_mask:0xf bound_ctrl:1
	v_cvt_f32_i32_dpp v1, v1 row_shr:8 row_mask:0xf bank_mask:0xf bound_ctrl:1
	v_add_f32_e32 v0, v25, v0
	v_add_f32_e32 v1, v29, v1
	v_cvt_i32_f32_e32 v2, v0
	v_cvt_i32_f32_e32 v3, v1
	s_nop 0
	v_cvt_f32_i32_dpp v2, v2 row_shr:4 row_mask:0xf bank_mask:0xf bound_ctrl:1
	v_cvt_f32_i32_dpp v3, v3 row_shr:4 row_mask:0xf bank_mask:0xf bound_ctrl:1
	v_add_f32_e32 v0, v0, v2
	v_add_f32_e32 v1, v1, v3
	;; [unrolled: 7-line block ×4, first 2 shown]
	v_cvt_i32_f32_e32 v2, v0
	v_cvt_i32_f32_e32 v3, v1
	s_nop 0
	v_cvt_f32_i32_dpp v2, v2 row_bcast:15 row_mask:0xf bank_mask:0xf bound_ctrl:1
	v_cvt_f32_i32_dpp v3, v3 row_bcast:15 row_mask:0xf bank_mask:0xf bound_ctrl:1
	v_add_f32_e32 v0, v0, v2
	v_add_f32_e32 v1, v1, v3
	v_cvt_i32_f32_e32 v2, v0
	v_cvt_i32_f32_e32 v4, v1
	s_nop 0
	v_mov_b32_dpp v3, v2 row_bcast:31 row_mask:0xf bank_mask:0xf bound_ctrl:1
	v_mov_b32_dpp v2, v4 row_bcast:31 row_mask:0xf bank_mask:0xf bound_ctrl:1
	s_and_saveexec_b64 s[18:19], s[0:1]
	s_cbranch_execz .LBB11_13
; %bb.22:                               ;   in Loop: Header=BB11_14 Depth=1
	s_and_b64 vcc, exec, s[16:17]
	s_cbranch_vccz .LBB11_24
; %bb.23:                               ;   in Loop: Header=BB11_14 Depth=1
	v_mul_hi_u32 v4, v24, v35
	v_mul_lo_u32 v4, v4, s6
	v_sub_u32_e32 v4, v24, v4
	v_subrev_u32_e32 v5, s6, v4
	v_cmp_le_u32_e32 vcc, s6, v4
	v_mov_b32_e32 v25, v27
	v_mov_b32_e32 v29, v27
	v_cndmask_b32_e32 v4, v4, v5, vcc
	v_subrev_u32_e32 v5, s6, v4
	v_cmp_le_u32_e32 vcc, s6, v4
	s_nop 1
	v_cndmask_b32_e32 v26, v4, v5, vcc
	v_mul_hi_u32 v4, v28, v35
	v_mul_lo_u32 v4, v4, s6
	v_sub_u32_e32 v4, v28, v4
	v_subrev_u32_e32 v5, s6, v4
	v_cmp_le_u32_e32 vcc, s6, v4
	v_lshl_add_u64 v[6:7], v[26:27], 1, s[8:9]
	s_nop 0
	v_cndmask_b32_e32 v4, v4, v5, vcc
	v_subrev_u32_e32 v5, s6, v4
	v_cmp_le_u32_e32 vcc, s6, v4
	s_nop 1
	v_cndmask_b32_e32 v26, v4, v5, vcc
	v_lshl_add_u64 v[8:9], v[26:27], 1, s[8:9]
	global_load_ushort v5, v[6:7], off
	global_load_ushort v4, v[8:9], off
	s_cbranch_execnz .LBB11_12
	s_branch .LBB11_25
.LBB11_24:                              ;   in Loop: Header=BB11_14 Depth=1
                                        ; implicit-def: $vgpr5
                                        ; implicit-def: $vgpr4
.LBB11_25:                              ;   in Loop: Header=BB11_14 Depth=1
	v_mov_b32_e32 v25, v27
	v_mov_b32_e32 v29, v27
	s_waitcnt vmcnt(0)
	v_mov_b32_e32 v4, 0
	v_mov_b32_e32 v5, 0
	s_branch .LBB11_12
.LBB11_26:
	s_endpgm
	.section	.rodata,"a",@progbits
	.p2align	6, 0x0
	.amdhsa_kernel _Z16wvSplitK_hf_sml_I6__halfLi32ELi2ELi16ELi8ELi2ELi1EEviiiiiiPKT_S3_S3_PS1_ii
		.amdhsa_group_segment_fixed_size 65536
		.amdhsa_private_segment_fixed_size 0
		.amdhsa_kernarg_size 64
		.amdhsa_user_sgpr_count 2
		.amdhsa_user_sgpr_dispatch_ptr 0
		.amdhsa_user_sgpr_queue_ptr 0
		.amdhsa_user_sgpr_kernarg_segment_ptr 1
		.amdhsa_user_sgpr_dispatch_id 0
		.amdhsa_user_sgpr_kernarg_preload_length 0
		.amdhsa_user_sgpr_kernarg_preload_offset 0
		.amdhsa_user_sgpr_private_segment_size 0
		.amdhsa_uses_dynamic_stack 0
		.amdhsa_enable_private_segment 0
		.amdhsa_system_sgpr_workgroup_id_x 1
		.amdhsa_system_sgpr_workgroup_id_y 0
		.amdhsa_system_sgpr_workgroup_id_z 0
		.amdhsa_system_sgpr_workgroup_info 0
		.amdhsa_system_vgpr_workitem_id 1
		.amdhsa_next_free_vgpr 39
		.amdhsa_next_free_sgpr 26
		.amdhsa_accum_offset 40
		.amdhsa_reserve_vcc 1
		.amdhsa_float_round_mode_32 0
		.amdhsa_float_round_mode_16_64 0
		.amdhsa_float_denorm_mode_32 3
		.amdhsa_float_denorm_mode_16_64 3
		.amdhsa_dx10_clamp 1
		.amdhsa_ieee_mode 1
		.amdhsa_fp16_overflow 0
		.amdhsa_tg_split 0
		.amdhsa_exception_fp_ieee_invalid_op 0
		.amdhsa_exception_fp_denorm_src 0
		.amdhsa_exception_fp_ieee_div_zero 0
		.amdhsa_exception_fp_ieee_overflow 0
		.amdhsa_exception_fp_ieee_underflow 0
		.amdhsa_exception_fp_ieee_inexact 0
		.amdhsa_exception_int_div_zero 0
	.end_amdhsa_kernel
	.section	.text._Z16wvSplitK_hf_sml_I6__halfLi32ELi2ELi16ELi8ELi2ELi1EEviiiiiiPKT_S3_S3_PS1_ii,"axG",@progbits,_Z16wvSplitK_hf_sml_I6__halfLi32ELi2ELi16ELi8ELi2ELi1EEviiiiiiPKT_S3_S3_PS1_ii,comdat
.Lfunc_end11:
	.size	_Z16wvSplitK_hf_sml_I6__halfLi32ELi2ELi16ELi8ELi2ELi1EEviiiiiiPKT_S3_S3_PS1_ii, .Lfunc_end11-_Z16wvSplitK_hf_sml_I6__halfLi32ELi2ELi16ELi8ELi2ELi1EEviiiiiiPKT_S3_S3_PS1_ii
                                        ; -- End function
	.section	.AMDGPU.csdata,"",@progbits
; Kernel info:
; codeLenInByte = 1696
; NumSgprs: 32
; NumVgprs: 39
; NumAgprs: 0
; TotalNumVgprs: 39
; ScratchSize: 0
; MemoryBound: 0
; FloatMode: 240
; IeeeMode: 1
; LDSByteSize: 65536 bytes/workgroup (compile time only)
; SGPRBlocks: 3
; VGPRBlocks: 4
; NumSGPRsForWavesPerEU: 32
; NumVGPRsForWavesPerEU: 39
; AccumOffset: 40
; Occupancy: 2
; WaveLimiterHint : 0
; COMPUTE_PGM_RSRC2:SCRATCH_EN: 0
; COMPUTE_PGM_RSRC2:USER_SGPR: 2
; COMPUTE_PGM_RSRC2:TRAP_HANDLER: 0
; COMPUTE_PGM_RSRC2:TGID_X_EN: 1
; COMPUTE_PGM_RSRC2:TGID_Y_EN: 0
; COMPUTE_PGM_RSRC2:TGID_Z_EN: 0
; COMPUTE_PGM_RSRC2:TIDIG_COMP_CNT: 1
; COMPUTE_PGM_RSRC3_GFX90A:ACCUM_OFFSET: 9
; COMPUTE_PGM_RSRC3_GFX90A:TG_SPLIT: 0
	.section	.text._Z12wvSplitK_hf_I6__halfLi32ELi2ELi16ELi8ELi2ELi1EEviiiiiiPKT_S3_S3_PS1_ii,"axG",@progbits,_Z12wvSplitK_hf_I6__halfLi32ELi2ELi16ELi8ELi2ELi1EEviiiiiiPKT_S3_S3_PS1_ii,comdat
	.protected	_Z12wvSplitK_hf_I6__halfLi32ELi2ELi16ELi8ELi2ELi1EEviiiiiiPKT_S3_S3_PS1_ii ; -- Begin function _Z12wvSplitK_hf_I6__halfLi32ELi2ELi16ELi8ELi2ELi1EEviiiiiiPKT_S3_S3_PS1_ii
	.globl	_Z12wvSplitK_hf_I6__halfLi32ELi2ELi16ELi8ELi2ELi1EEviiiiiiPKT_S3_S3_PS1_ii
	.p2align	8
	.type	_Z12wvSplitK_hf_I6__halfLi32ELi2ELi16ELi8ELi2ELi1EEviiiiiiPKT_S3_S3_PS1_ii,@function
_Z12wvSplitK_hf_I6__halfLi32ELi2ELi16ELi8ELi2ELi1EEviiiiiiPKT_S3_S3_PS1_ii: ; @_Z12wvSplitK_hf_I6__halfLi32ELi2ELi16ELi8ELi2ELi1EEviiiiiiPKT_S3_S3_PS1_ii
; %bb.0:
	s_load_dwordx2 s[4:5], s[0:1], 0x38
	s_load_dwordx2 s[16:17], s[0:1], 0x20
	s_load_dwordx4 s[8:11], s[0:1], 0x0
	s_load_dword s33, s[0:1], 0x10
	v_bfe_u32 v4, v0, 10, 10
	s_waitcnt lgkmcnt(0)
	s_mul_i32 s2, s2, s4
	v_add_lshl_u32 v26, s2, v4, 1
	s_mov_b32 s6, 1
	v_add_u32_e32 v1, 2, v26
	v_cmp_gt_u32_e32 vcc, s11, v26
	v_cmp_le_u32_e64 s[2:3], s11, v1
	s_mov_b32 s7, s6
	s_and_b64 s[12:13], vcc, s[2:3]
	v_mov_b64_e32 v[24:25], s[6:7]
	s_and_saveexec_b64 s[2:3], s[12:13]
	s_cbranch_execz .LBB12_6
; %bb.1:
	s_add_i32 s20, s11, -2
	v_cmp_ne_u32_e32 vcc, s20, v26
	v_mov_b64_e32 v[24:25], s[6:7]
	s_and_saveexec_b64 s[6:7], vcc
	s_cbranch_execz .LBB12_5
; %bb.2:
	v_subrev_u32_e32 v1, s20, v26
	s_mov_b32 s12, 1
	v_cmp_lt_u32_e32 vcc, 1, v1
	s_mov_b64 s[14:15], 0
	s_mov_b64 s[18:19], 0
	v_cndmask_b32_e32 v2, 1, v1, vcc
	s_mov_b32 s13, s12
.LBB12_3:                               ; =>This Inner Loop Header: Depth=1
	s_cmp_lg_u32 s18, 1
	s_cselect_b32 s13, s13, 0
	s_cmp_lg_u32 s18, 0
	s_cselect_b32 s12, s12, 0
	s_add_u32 s18, s18, 1
	s_addc_u32 s19, s19, 0
	v_cmp_eq_u32_e32 vcc, s18, v2
	s_or_b64 s[14:15], vcc, s[14:15]
	v_mov_b64_e32 v[24:25], s[12:13]
	s_andn2_b64 exec, exec, s[14:15]
	s_cbranch_execnz .LBB12_3
; %bb.4:
	s_or_b64 exec, exec, s[14:15]
	v_mov_b32_e32 v26, s20
.LBB12_5:
	s_or_b64 exec, exec, s[6:7]
.LBB12_6:
	s_or_b64 exec, exec, s[2:3]
	v_and_b32_e32 v5, 0x3ff, v0
	v_lshlrev_b32_e32 v40, 3, v5
	v_lshl_add_u32 v6, v4, 8, v40
	s_min_u32 s6, s10, 0x8000
	v_cmp_gt_u32_e32 vcc, s6, v6
	s_and_saveexec_b64 s[2:3], vcc
	s_cbranch_execz .LBB12_15
; %bb.7:
	v_lshlrev_b32_e32 v0, 1, v6
	global_load_dwordx4 v[8:11], v0, s[16:17]
	v_add_u32_e32 v1, 0x1000, v6
	v_cmp_gt_u32_e32 vcc, s6, v1
	s_waitcnt vmcnt(0)
	ds_write_b128 v0, v[8:11]
	s_and_saveexec_b64 s[12:13], vcc
	s_xor_b64 s[12:13], exec, s[12:13]
	s_cbranch_execz .LBB12_15
; %bb.8:
	v_mov_b32_e32 v1, 0
	v_lshl_add_u64 v[2:3], s[16:17], 0, v[0:1]
	v_add_co_u32_e32 v8, vcc, 0x2000, v2
	v_add_u32_e32 v1, 0x2000, v6
	s_nop 0
	v_addc_co_u32_e32 v9, vcc, 0, v3, vcc
	global_load_dwordx4 v[8:11], v[8:9], off
	v_cmp_gt_u32_e32 vcc, s6, v1
	s_waitcnt vmcnt(0)
	ds_write_b128 v0, v[8:11] offset:8192
	s_and_saveexec_b64 s[12:13], vcc
	s_xor_b64 s[12:13], exec, s[12:13]
	s_cbranch_execz .LBB12_15
; %bb.9:
	v_add_co_u32_e32 v8, vcc, 0x4000, v2
	v_add_u32_e32 v1, 0x3000, v6
	s_nop 0
	v_addc_co_u32_e32 v9, vcc, 0, v3, vcc
	global_load_dwordx4 v[8:11], v[8:9], off
	v_cmp_gt_u32_e32 vcc, s6, v1
	s_waitcnt vmcnt(0)
	ds_write_b128 v0, v[8:11] offset:16384
	s_and_saveexec_b64 s[12:13], vcc
	s_xor_b64 s[12:13], exec, s[12:13]
	s_cbranch_execz .LBB12_15
; %bb.10:
	;; [unrolled: 12-line block ×6, first 2 shown]
	v_add_co_u32_e32 v2, vcc, 0xe000, v2
	s_nop 1
	v_addc_co_u32_e32 v3, vcc, 0, v3, vcc
	global_load_dwordx4 v[6:9], v[2:3], off
	s_waitcnt vmcnt(0)
	ds_write_b128 v0, v[6:9] offset:57344
.LBB12_15:
	s_or_b64 exec, exec, s[2:3]
	v_cmp_gt_u32_e32 vcc, s4, v4
	v_cmp_gt_u32_e64 s[2:3], s11, v26
	s_and_b64 s[2:3], vcc, s[2:3]
	s_waitcnt lgkmcnt(0)
	s_barrier
	s_and_saveexec_b64 s[6:7], s[2:3]
	s_cbranch_execz .LBB12_46
; %bb.16:
	v_cvt_f32_u32_e32 v0, s33
	s_load_dwordx4 s[12:15], s[0:1], 0x28
	s_load_dwordx2 s[18:19], s[0:1], 0x18
	s_cmp_lg_u32 s8, 0
	s_cselect_b64 s[2:3], -1, 0
	v_rcp_iflag_f32_e32 v0, v0
	s_add_i32 s10, s8, -8
	s_add_i32 s34, s11, -1
	s_mul_i32 s6, s4, s5
	v_mul_f32_e32 v0, 0x4f7ffffe, v0
	v_cvt_u32_f32_e32 v0, v0
	s_waitcnt lgkmcnt(0)
	s_cmp_lg_u64 s[12:13], 0
	s_cselect_b64 s[4:5], -1, 0
	s_lshl_b32 s35, s6, 1
	s_sub_i32 s6, 0, s33
	v_mul_lo_u32 v1, s6, v0
	v_mul_hi_u32 v1, v0, v1
	v_add_u32_e32 v41, v0, v1
	v_cndmask_b32_e64 v0, 0, 1, s[2:3]
	v_cmp_ne_u32_e64 s[2:3], 1, v0
	v_cndmask_b32_e64 v0, 0, 1, s[4:5]
	v_cmp_eq_u32_e64 s[0:1], 31, v5
	s_mov_b64 s[20:21], 0
	s_add_i32 s36, s11, -2
	v_mov_b32_e32 v29, 0
	v_lshlrev_b32_e32 v42, 4, v5
	s_movk_i32 s37, 0x7fff
	v_cmp_ne_u32_e64 s[4:5], 1, v0
	s_mov_b32 s22, 0
	s_branch .LBB12_19
.LBB12_17:                              ;   in Loop: Header=BB12_19 Depth=1
	s_or_b64 exec, exec, s[26:27]
	v_mov_b32_e32 v26, s36
.LBB12_18:                              ;   in Loop: Header=BB12_19 Depth=1
	s_or_b64 exec, exec, s[24:25]
	v_cmp_le_u32_e32 vcc, s11, v26
	s_or_b64 s[20:21], vcc, s[20:21]
	s_andn2_b64 exec, exec, s[20:21]
	s_cbranch_execz .LBB12_46
.LBB12_19:                              ; =>This Loop Header: Depth=1
                                        ;     Child Loop BB12_24 Depth 2
                                        ;     Child Loop BB12_44 Depth 2
	s_and_b64 vcc, exec, s[2:3]
	v_add_u32_e32 v30, 1, v26
	v_mov_b32_e32 v31, v29
	v_mov_b32_e32 v27, v29
	s_cbranch_vccnz .LBB12_34
; %bb.20:                               ;   in Loop: Header=BB12_19 Depth=1
	v_min_u32_e32 v0, s34, v26
	v_mul_lo_u32 v28, v0, s9
	v_min_u32_e32 v0, s34, v30
	v_mul_lo_u32 v0, v0, s9
	v_mov_b32_e32 v1, v29
	v_mov_b32_e32 v27, 0
	v_lshlrev_b64 v[32:33], 1, v[28:29]
	v_lshlrev_b64 v[34:35], 1, v[0:1]
	v_mov_b32_e32 v43, v42
	v_mov_b32_e32 v31, 0
	s_mov_b32 s28, s22
	s_branch .LBB12_24
.LBB12_21:                              ;   in Loop: Header=BB12_24 Depth=2
	s_or_b64 exec, exec, s[26:27]
.LBB12_22:                              ;   in Loop: Header=BB12_24 Depth=2
	s_or_b64 exec, exec, s[24:25]
.LBB12_23:                              ;   in Loop: Header=BB12_24 Depth=2
	s_or_b64 exec, exec, s[6:7]
	s_waitcnt vmcnt(0) lgkmcnt(0)
	;;#ASMSTART
	v_dot2c_f32_f16 v27, v16, v12
	;;#ASMEND
	;;#ASMSTART
	v_dot2c_f32_f16 v31, v16, v8
	;;#ASMEND
	s_addk_i32 s28, 0x200
	;;#ASMSTART
	v_dot2c_f32_f16 v27, v17, v13
	;;#ASMEND
	;;#ASMSTART
	v_dot2c_f32_f16 v31, v17, v9
	;;#ASMEND
	s_cmp_ge_u32 s28, s8
	;;#ASMSTART
	v_dot2c_f32_f16 v27, v18, v14
	;;#ASMEND
	;;#ASMSTART
	v_dot2c_f32_f16 v31, v18, v10
	;;#ASMEND
	v_add_u32_e32 v43, 0x400, v43
	;;#ASMSTART
	v_dot2c_f32_f16 v27, v19, v15
	;;#ASMEND
	;;#ASMSTART
	v_dot2c_f32_f16 v31, v19, v11
	;;#ASMEND
	s_nop 0
	;;#ASMSTART
	v_dot2c_f32_f16 v27, v20, v4
	;;#ASMEND
	;;#ASMSTART
	v_dot2c_f32_f16 v31, v20, v0
	;;#ASMEND
	s_nop 0
	;; [unrolled: 7-line block ×4, first 2 shown]
	;;#ASMSTART
	v_dot2c_f32_f16 v27, v23, v7
	;;#ASMEND
	;;#ASMSTART
	v_dot2c_f32_f16 v31, v23, v3
	;;#ASMEND
	s_cbranch_scc1 .LBB12_34
.LBB12_24:                              ;   Parent Loop BB12_19 Depth=1
                                        ; =>  This Inner Loop Header: Depth=2
	v_add_u32_e32 v38, s28, v40
	v_min_u32_e32 v28, s10, v38
	v_lshl_add_u64 v[0:1], v[28:29], 1, s[18:19]
	v_add_u32_e32 v36, 0x100, v38
	v_lshl_add_u64 v[2:3], v[0:1], 0, v[32:33]
	v_lshl_add_u64 v[0:1], v[0:1], 0, v[34:35]
	v_min_u32_e32 v28, s10, v36
	global_load_dwordx4 v[12:15], v[2:3], off nt
	global_load_dwordx4 v[8:11], v[0:1], off nt
	v_lshl_add_u64 v[0:1], v[28:29], 1, s[18:19]
	v_lshl_add_u64 v[16:17], v[0:1], 0, v[32:33]
	;; [unrolled: 1-line block ×3, first 2 shown]
	global_load_dwordx4 v[4:7], v[16:17], off nt
	global_load_dwordx4 v[0:3], v[18:19], off nt
	s_mov_b32 s23, s22
	v_cmp_gt_u32_e32 vcc, s8, v38
	v_mov_b64_e32 v[16:17], s[22:23]
	v_mov_b32_e32 v23, 0
	v_mov_b32_e32 v22, 0
	;; [unrolled: 1-line block ×4, first 2 shown]
	v_mov_b64_e32 v[18:19], s[22:23]
	s_and_saveexec_b64 s[6:7], vcc
	s_cbranch_execz .LBB12_23
; %bb.25:                               ;   in Loop: Header=BB12_24 Depth=2
	v_cmp_lt_u32_e32 vcc, s37, v38
                                        ; implicit-def: $vgpr16_vgpr17
	s_and_saveexec_b64 s[24:25], vcc
	s_xor_b64 s[24:25], exec, s[24:25]
	s_cbranch_execz .LBB12_27
; %bb.26:                               ;   in Loop: Header=BB12_24 Depth=2
	v_mov_b32_e32 v39, v29
	v_lshl_add_u64 v[16:17], v[38:39], 1, s[16:17]
	global_load_dwordx4 v[16:19], v[16:17], off
.LBB12_27:                              ;   in Loop: Header=BB12_24 Depth=2
	s_andn2_saveexec_b64 s[24:25], s[24:25]
	s_cbranch_execz .LBB12_29
; %bb.28:                               ;   in Loop: Header=BB12_24 Depth=2
	s_waitcnt vmcnt(0)
	ds_read_b128 v[16:19], v43
.LBB12_29:                              ;   in Loop: Header=BB12_24 Depth=2
	s_or_b64 exec, exec, s[24:25]
	v_cmp_gt_u32_e32 vcc, s8, v36
	v_mov_b32_e32 v23, 0
	v_mov_b32_e32 v22, 0
	;; [unrolled: 1-line block ×4, first 2 shown]
	s_and_saveexec_b64 s[24:25], vcc
	s_cbranch_execz .LBB12_22
; %bb.30:                               ;   in Loop: Header=BB12_24 Depth=2
	v_cmp_lt_u32_e32 vcc, s37, v36
                                        ; implicit-def: $vgpr23
	s_and_saveexec_b64 s[26:27], vcc
	s_xor_b64 s[26:27], exec, s[26:27]
	s_cbranch_execz .LBB12_32
; %bb.31:                               ;   in Loop: Header=BB12_24 Depth=2
	v_mov_b32_e32 v37, v29
	v_lshl_add_u64 v[20:21], v[36:37], 1, s[16:17]
	global_load_dwordx4 v[20:23], v[20:21], off
.LBB12_32:                              ;   in Loop: Header=BB12_24 Depth=2
	s_andn2_saveexec_b64 s[26:27], s[26:27]
	s_cbranch_execz .LBB12_21
; %bb.33:                               ;   in Loop: Header=BB12_24 Depth=2
	s_waitcnt vmcnt(0)
	ds_read_b128 v[20:23], v43 offset:512
	s_branch .LBB12_21
.LBB12_34:                              ;   in Loop: Header=BB12_19 Depth=1
	v_cvt_i32_f32_e32 v0, v27
	v_cvt_i32_f32_e32 v1, v31
	s_nop 0
	v_cvt_f32_i32_dpp v0, v0 row_shr:8 row_mask:0xf bank_mask:0xf bound_ctrl:1
	v_cvt_f32_i32_dpp v1, v1 row_shr:8 row_mask:0xf bank_mask:0xf bound_ctrl:1
	v_add_f32_e32 v0, v27, v0
	v_add_f32_e32 v1, v31, v1
	v_cvt_i32_f32_e32 v2, v0
	v_cvt_i32_f32_e32 v3, v1
	s_nop 0
	v_cvt_f32_i32_dpp v2, v2 row_shr:4 row_mask:0xf bank_mask:0xf bound_ctrl:1
	v_cvt_f32_i32_dpp v3, v3 row_shr:4 row_mask:0xf bank_mask:0xf bound_ctrl:1
	v_add_f32_e32 v0, v0, v2
	v_add_f32_e32 v1, v1, v3
	;; [unrolled: 7-line block ×4, first 2 shown]
	v_cvt_i32_f32_e32 v2, v0
	v_cvt_i32_f32_e32 v3, v1
	s_nop 0
	v_cvt_f32_i32_dpp v2, v2 row_bcast:15 row_mask:0xf bank_mask:0xf bound_ctrl:1
	v_cvt_f32_i32_dpp v3, v3 row_bcast:15 row_mask:0xf bank_mask:0xf bound_ctrl:1
	v_add_f32_e32 v2, v0, v2
	v_add_f32_e32 v0, v1, v3
	v_cvt_i32_f32_e32 v1, v2
	s_waitcnt vmcnt(0)
	v_cvt_i32_f32_e32 v4, v0
	v_mov_b32_dpp v3, v1 row_bcast:31 row_mask:0xf bank_mask:0xf bound_ctrl:1
	s_nop 0
	v_mov_b32_dpp v1, v4 row_bcast:31 row_mask:0xf bank_mask:0xf bound_ctrl:1
	s_and_saveexec_b64 s[6:7], s[0:1]
	s_cbranch_execz .LBB12_41
; %bb.35:                               ;   in Loop: Header=BB12_19 Depth=1
	s_and_b64 vcc, exec, s[4:5]
	v_mov_b32_e32 v4, 0
	v_mov_b32_e32 v5, 0
	s_cbranch_vccnz .LBB12_37
; %bb.36:                               ;   in Loop: Header=BB12_19 Depth=1
	v_mul_hi_u32 v4, v26, v41
	v_mul_lo_u32 v4, v4, s33
	v_sub_u32_e32 v4, v26, v4
	v_subrev_u32_e32 v5, s33, v4
	v_cmp_le_u32_e32 vcc, s33, v4
	s_nop 1
	v_cndmask_b32_e32 v4, v4, v5, vcc
	v_subrev_u32_e32 v5, s33, v4
	v_cmp_le_u32_e32 vcc, s33, v4
	s_nop 1
	v_cndmask_b32_e32 v28, v4, v5, vcc
	v_mul_hi_u32 v4, v30, v41
	v_mul_lo_u32 v4, v4, s33
	v_sub_u32_e32 v4, v30, v4
	v_subrev_u32_e32 v5, s33, v4
	v_cmp_le_u32_e32 vcc, s33, v4
	v_lshl_add_u64 v[6:7], v[28:29], 1, s[12:13]
	s_nop 0
	v_cndmask_b32_e32 v4, v4, v5, vcc
	v_subrev_u32_e32 v5, s33, v4
	v_cmp_le_u32_e32 vcc, s33, v4
	s_nop 1
	v_cndmask_b32_e32 v28, v4, v5, vcc
	v_lshl_add_u64 v[8:9], v[28:29], 1, s[12:13]
	global_load_ushort v5, v[6:7], off
	global_load_ushort v4, v[8:9], off
.LBB12_37:                              ;   in Loop: Header=BB12_19 Depth=1
	v_cmp_ne_u32_e32 vcc, 0, v24
	s_and_saveexec_b64 s[24:25], vcc
	s_cbranch_execz .LBB12_39
; %bb.38:                               ;   in Loop: Header=BB12_19 Depth=1
	v_cvt_f32_i32_e32 v3, v3
	s_waitcnt vmcnt(1)
	v_cvt_f32_f16_e32 v5, v5
	v_mov_b32_e32 v27, v29
	v_add_f32_e32 v2, v2, v3
	v_add_f32_e32 v2, v2, v5
	v_cvt_f16_f32_e32 v5, v2
	v_lshl_add_u64 v[2:3], v[26:27], 1, s[14:15]
	global_store_short v[2:3], v5, off
.LBB12_39:                              ;   in Loop: Header=BB12_19 Depth=1
	s_or_b64 exec, exec, s[24:25]
	v_cmp_ne_u32_e32 vcc, 0, v25
	s_and_b64 exec, exec, vcc
	s_cbranch_execz .LBB12_41
; %bb.40:                               ;   in Loop: Header=BB12_19 Depth=1
	v_cvt_f32_i32_e32 v1, v1
	s_waitcnt vmcnt(0)
	v_cvt_f32_f16_e32 v2, v4
	v_mov_b32_e32 v31, v29
	v_add_f32_e32 v0, v0, v1
	v_add_f32_e32 v0, v0, v2
	v_cvt_f16_f32_e32 v2, v0
	v_lshl_add_u64 v[0:1], v[30:31], 1, s[14:15]
	global_store_short v[0:1], v2, off
.LBB12_41:                              ;   in Loop: Header=BB12_19 Depth=1
	s_or_b64 exec, exec, s[6:7]
	v_add_u32_e32 v26, s35, v26
	v_add_u32_e32 v0, 2, v26
	v_cmp_gt_u32_e32 vcc, s11, v26
	v_cmp_le_u32_e64 s[6:7], s11, v0
	s_and_b64 s[6:7], vcc, s[6:7]
	s_and_saveexec_b64 s[24:25], s[6:7]
	s_cbranch_execz .LBB12_18
; %bb.42:                               ;   in Loop: Header=BB12_19 Depth=1
	v_cmp_ne_u32_e32 vcc, s36, v26
	s_and_saveexec_b64 s[26:27], vcc
	s_cbranch_execz .LBB12_17
; %bb.43:                               ;   in Loop: Header=BB12_19 Depth=1
	v_subrev_u32_e32 v0, s36, v26
	v_cmp_lt_u32_e32 vcc, 1, v0
	s_mov_b64 s[28:29], 0
	s_mov_b64 s[30:31], 0
	v_cndmask_b32_e32 v0, 1, v0, vcc
.LBB12_44:                              ;   Parent Loop BB12_19 Depth=1
                                        ; =>  This Inner Loop Header: Depth=2
	s_cmp_lg_u32 s30, 1
	s_cselect_b64 vcc, -1, 0
	s_cmp_lg_u32 s30, 0
	v_cndmask_b32_e32 v25, 0, v25, vcc
	s_cselect_b64 vcc, -1, 0
	s_add_u32 s30, s30, 1
	s_addc_u32 s31, s31, 0
	v_cmp_eq_u32_e64 s[6:7], s30, v0
	s_or_b64 s[28:29], s[6:7], s[28:29]
	v_cndmask_b32_e32 v24, 0, v24, vcc
	s_andn2_b64 exec, exec, s[28:29]
	s_cbranch_execnz .LBB12_44
; %bb.45:                               ;   in Loop: Header=BB12_19 Depth=1
	s_or_b64 exec, exec, s[28:29]
	s_branch .LBB12_17
.LBB12_46:
	s_endpgm
	.section	.rodata,"a",@progbits
	.p2align	6, 0x0
	.amdhsa_kernel _Z12wvSplitK_hf_I6__halfLi32ELi2ELi16ELi8ELi2ELi1EEviiiiiiPKT_S3_S3_PS1_ii
		.amdhsa_group_segment_fixed_size 65536
		.amdhsa_private_segment_fixed_size 0
		.amdhsa_kernarg_size 64
		.amdhsa_user_sgpr_count 2
		.amdhsa_user_sgpr_dispatch_ptr 0
		.amdhsa_user_sgpr_queue_ptr 0
		.amdhsa_user_sgpr_kernarg_segment_ptr 1
		.amdhsa_user_sgpr_dispatch_id 0
		.amdhsa_user_sgpr_kernarg_preload_length 0
		.amdhsa_user_sgpr_kernarg_preload_offset 0
		.amdhsa_user_sgpr_private_segment_size 0
		.amdhsa_uses_dynamic_stack 0
		.amdhsa_enable_private_segment 0
		.amdhsa_system_sgpr_workgroup_id_x 1
		.amdhsa_system_sgpr_workgroup_id_y 0
		.amdhsa_system_sgpr_workgroup_id_z 0
		.amdhsa_system_sgpr_workgroup_info 0
		.amdhsa_system_vgpr_workitem_id 1
		.amdhsa_next_free_vgpr 44
		.amdhsa_next_free_sgpr 38
		.amdhsa_accum_offset 44
		.amdhsa_reserve_vcc 1
		.amdhsa_float_round_mode_32 0
		.amdhsa_float_round_mode_16_64 0
		.amdhsa_float_denorm_mode_32 3
		.amdhsa_float_denorm_mode_16_64 3
		.amdhsa_dx10_clamp 1
		.amdhsa_ieee_mode 1
		.amdhsa_fp16_overflow 0
		.amdhsa_tg_split 0
		.amdhsa_exception_fp_ieee_invalid_op 0
		.amdhsa_exception_fp_denorm_src 0
		.amdhsa_exception_fp_ieee_div_zero 0
		.amdhsa_exception_fp_ieee_overflow 0
		.amdhsa_exception_fp_ieee_underflow 0
		.amdhsa_exception_fp_ieee_inexact 0
		.amdhsa_exception_int_div_zero 0
	.end_amdhsa_kernel
	.section	.text._Z12wvSplitK_hf_I6__halfLi32ELi2ELi16ELi8ELi2ELi1EEviiiiiiPKT_S3_S3_PS1_ii,"axG",@progbits,_Z12wvSplitK_hf_I6__halfLi32ELi2ELi16ELi8ELi2ELi1EEviiiiiiPKT_S3_S3_PS1_ii,comdat
.Lfunc_end12:
	.size	_Z12wvSplitK_hf_I6__halfLi32ELi2ELi16ELi8ELi2ELi1EEviiiiiiPKT_S3_S3_PS1_ii, .Lfunc_end12-_Z12wvSplitK_hf_I6__halfLi32ELi2ELi16ELi8ELi2ELi1EEviiiiiiPKT_S3_S3_PS1_ii
                                        ; -- End function
	.section	.AMDGPU.csdata,"",@progbits
; Kernel info:
; codeLenInByte = 2100
; NumSgprs: 44
; NumVgprs: 44
; NumAgprs: 0
; TotalNumVgprs: 44
; ScratchSize: 0
; MemoryBound: 1
; FloatMode: 240
; IeeeMode: 1
; LDSByteSize: 65536 bytes/workgroup (compile time only)
; SGPRBlocks: 5
; VGPRBlocks: 5
; NumSGPRsForWavesPerEU: 44
; NumVGPRsForWavesPerEU: 44
; AccumOffset: 44
; Occupancy: 2
; WaveLimiterHint : 0
; COMPUTE_PGM_RSRC2:SCRATCH_EN: 0
; COMPUTE_PGM_RSRC2:USER_SGPR: 2
; COMPUTE_PGM_RSRC2:TRAP_HANDLER: 0
; COMPUTE_PGM_RSRC2:TGID_X_EN: 1
; COMPUTE_PGM_RSRC2:TGID_Y_EN: 0
; COMPUTE_PGM_RSRC2:TGID_Z_EN: 0
; COMPUTE_PGM_RSRC2:TIDIG_COMP_CNT: 1
; COMPUTE_PGM_RSRC3_GFX90A:ACCUM_OFFSET: 10
; COMPUTE_PGM_RSRC3_GFX90A:TG_SPLIT: 0
	.section	.text._Z16wvSplitK_hf_big_I6__halfLi32ELi2ELi16ELi8ELi2ELi1EEviiiiiiPKT_S3_S3_PS1_ii,"axG",@progbits,_Z16wvSplitK_hf_big_I6__halfLi32ELi2ELi16ELi8ELi2ELi1EEviiiiiiPKT_S3_S3_PS1_ii,comdat
	.protected	_Z16wvSplitK_hf_big_I6__halfLi32ELi2ELi16ELi8ELi2ELi1EEviiiiiiPKT_S3_S3_PS1_ii ; -- Begin function _Z16wvSplitK_hf_big_I6__halfLi32ELi2ELi16ELi8ELi2ELi1EEviiiiiiPKT_S3_S3_PS1_ii
	.globl	_Z16wvSplitK_hf_big_I6__halfLi32ELi2ELi16ELi8ELi2ELi1EEviiiiiiPKT_S3_S3_PS1_ii
	.p2align	8
	.type	_Z16wvSplitK_hf_big_I6__halfLi32ELi2ELi16ELi8ELi2ELi1EEviiiiiiPKT_S3_S3_PS1_ii,@function
_Z16wvSplitK_hf_big_I6__halfLi32ELi2ELi16ELi8ELi2ELi1EEviiiiiiPKT_S3_S3_PS1_ii: ; @_Z16wvSplitK_hf_big_I6__halfLi32ELi2ELi16ELi8ELi2ELi1EEviiiiiiPKT_S3_S3_PS1_ii
; %bb.0:
	s_load_dwordx2 s[4:5], s[0:1], 0x38
	v_bfe_u32 v1, v0, 10, 10
	s_waitcnt lgkmcnt(0)
	v_cmp_gt_u32_e32 vcc, s4, v1
	s_and_saveexec_b64 s[6:7], vcc
	s_cbranch_execz .LBB13_44
; %bb.1:
	s_load_dwordx4 s[20:23], s[0:1], 0x0
	s_mul_i32 s2, s2, s4
	v_add_lshl_u32 v26, s2, v1, 1
	s_mov_b32 s6, 1
	v_add_u32_e32 v2, 2, v26
	s_waitcnt lgkmcnt(0)
	v_cmp_gt_u32_e32 vcc, s23, v26
	v_cmp_le_u32_e64 s[2:3], s23, v2
	s_mov_b32 s7, s6
	s_and_b64 s[8:9], vcc, s[2:3]
	v_mov_b64_e32 v[24:25], s[6:7]
	s_and_saveexec_b64 s[2:3], s[8:9]
	s_cbranch_execz .LBB13_7
; %bb.2:
	s_add_i32 s14, s23, -2
	v_cmp_ne_u32_e32 vcc, s14, v26
	v_mov_b64_e32 v[24:25], s[6:7]
	s_and_saveexec_b64 s[6:7], vcc
	s_cbranch_execz .LBB13_6
; %bb.3:
	v_subrev_u32_e32 v2, s14, v26
	s_mov_b32 s8, 1
	v_cmp_lt_u32_e32 vcc, 1, v2
	s_mov_b64 s[10:11], 0
	s_mov_b64 s[12:13], 0
	v_cndmask_b32_e32 v2, 1, v2, vcc
	s_mov_b32 s9, s8
.LBB13_4:                               ; =>This Inner Loop Header: Depth=1
	s_cmp_lg_u32 s12, 1
	s_cselect_b32 s9, s9, 0
	s_cmp_lg_u32 s12, 0
	s_cselect_b32 s8, s8, 0
	s_add_u32 s12, s12, 1
	s_addc_u32 s13, s13, 0
	v_cmp_eq_u32_e32 vcc, s12, v2
	s_or_b64 s[10:11], vcc, s[10:11]
	v_mov_b64_e32 v[24:25], s[8:9]
	s_andn2_b64 exec, exec, s[10:11]
	s_cbranch_execnz .LBB13_4
; %bb.5:
	s_or_b64 exec, exec, s[10:11]
	v_mov_b32_e32 v26, s14
.LBB13_6:
	s_or_b64 exec, exec, s[6:7]
.LBB13_7:
	s_or_b64 exec, exec, s[2:3]
	s_lshl_b32 s2, s4, 1
	s_abs_i32 s3, s2
	v_cvt_f32_u32_e32 v2, s3
	s_sub_i32 s8, 0, s3
	s_abs_i32 s7, s23
	s_ashr_i32 s6, s23, 31
	v_rcp_iflag_f32_e32 v2, v2
	s_nop 0
	v_mul_f32_e32 v2, 0x4f7ffffe, v2
	v_cvt_u32_f32_e32 v2, v2
	s_nop 0
	v_readfirstlane_b32 s9, v2
	s_mul_i32 s8, s8, s9
	s_mul_hi_u32 s8, s9, s8
	s_add_i32 s9, s9, s8
	s_mul_hi_u32 s8, s7, s9
	s_mul_i32 s8, s8, s3
	s_sub_i32 s7, s7, s8
	s_sub_i32 s8, s7, s3
	s_cmp_ge_u32 s7, s3
	s_cselect_b32 s7, s8, s7
	s_sub_i32 s8, s7, s3
	s_cmp_ge_u32 s7, s3
	s_cselect_b32 s3, s8, s7
	s_xor_b32 s3, s3, s6
	s_sub_i32 s3, s3, s6
	s_add_i32 s2, s2, s23
	s_sub_i32 s2, s2, s3
	s_cmp_eq_u32 s3, 0
	s_cselect_b32 s33, s23, s2
	v_cmp_gt_u32_e32 vcc, s33, v26
	s_and_b64 exec, exec, vcc
	s_cbranch_execz .LBB13_44
; %bb.8:
	s_load_dwordx8 s[12:19], s[0:1], 0x18
	s_load_dword s38, s[0:1], 0x10
	s_min_u32 s39, s22, 0x8000
	s_cmp_lg_u32 s20, 0
	s_cselect_b64 s[2:3], -1, 0
	s_cmp_lg_u32 s22, 0
	s_waitcnt lgkmcnt(0)
	v_cvt_f32_u32_e32 v2, s38
	s_mul_i32 s0, s5, s4
	s_cselect_b64 s[6:7], -1, 0
	v_and_b32_e32 v0, 0x3ff, v0
	v_rcp_iflag_f32_e32 v2, v2
	s_lshl_b32 s40, s4, 8
	s_add_i32 s41, s20, -8
	s_add_i32 s42, s23, -1
	v_mul_f32_e32 v2, 0x4f7ffffe, v2
	v_cvt_u32_f32_e32 v2, v2
	s_lshl_b32 s43, s0, 1
	v_lshlrev_b32_e32 v34, 3, v0
	v_cmp_eq_u32_e64 s[0:1], 31, v0
	s_cmp_lg_u64 s[16:17], 0
	v_lshlrev_b32_e32 v0, 4, v0
	s_cselect_b64 s[8:9], -1, 0
	s_add_i32 s44, s23, -2
	s_sub_i32 s5, 0, s38
	v_lshl_add_u32 v36, v1, 9, v0
	v_cndmask_b32_e64 v0, 0, 1, s[2:3]
	v_mul_lo_u32 v3, s5, v2
	s_add_u32 s26, s18, 2
	v_cmp_ne_u32_e64 s[2:3], 1, v0
	v_cndmask_b32_e64 v0, 0, 1, s[6:7]
	v_mul_hi_u32 v3, v2, v3
	s_addc_u32 s27, s19, 0
	s_lshl_b32 s45, s4, 9
	v_cmp_ne_u32_e64 s[4:5], 1, v0
	v_cndmask_b32_e64 v0, 0, 1, s[8:9]
	s_mov_b64 s[24:25], 0
	v_add_u32_e32 v35, v2, v3
	v_mov_b32_e32 v29, 0
	v_lshl_add_u32 v37, v1, 8, v34
	v_cmp_ne_u32_e64 s[6:7], 1, v0
	s_branch .LBB13_12
.LBB13_9:                               ;   in Loop: Header=BB13_12 Depth=1
	s_or_b64 exec, exec, s[30:31]
	v_mov_b32_e32 v26, s44
.LBB13_10:                              ;   in Loop: Header=BB13_12 Depth=1
	s_or_b64 exec, exec, s[28:29]
.LBB13_11:                              ;   in Loop: Header=BB13_12 Depth=1
	s_or_b64 exec, exec, s[10:11]
	v_cmp_le_u32_e32 vcc, s33, v26
	s_or_b64 s[24:25], vcc, s[24:25]
	s_andn2_b64 exec, exec, s[24:25]
	s_cbranch_execz .LBB13_44
.LBB13_12:                              ; =>This Loop Header: Depth=1
                                        ;     Child Loop BB13_17 Depth 2
                                        ;       Child Loop BB13_22 Depth 3
                                        ;     Child Loop BB13_42 Depth 2
	s_mov_b32 s34, 0
	s_and_b64 vcc, exec, s[2:3]
	v_mov_b32_e32 v38, v29
	v_mov_b32_e32 v27, v29
	s_cbranch_vccnz .LBB13_29
; %bb.13:                               ;   in Loop: Header=BB13_12 Depth=1
	v_min_u32_e32 v0, s42, v26
	v_mul_lo_u32 v28, v0, s21
	v_add_u32_e32 v0, 1, v26
	v_min_u32_e32 v0, s42, v0
	v_mul_lo_u32 v0, v0, s21
	v_mov_b32_e32 v1, v29
	v_cmp_gt_u32_e64 s[8:9], s23, v26
	v_mov_b32_e32 v27, 0
	v_lshlrev_b64 v[30:31], 1, v[28:29]
	v_lshlrev_b64 v[32:33], 1, v[0:1]
	v_mov_b32_e32 v38, 0
	s_mov_b32 s35, 0
	s_branch .LBB13_17
.LBB13_14:                              ;   in Loop: Header=BB13_17 Depth=2
	s_or_b64 exec, exec, s[30:31]
.LBB13_15:                              ;   in Loop: Header=BB13_17 Depth=2
	s_or_b64 exec, exec, s[28:29]
	s_waitcnt vmcnt(3) lgkmcnt(0)
	;;#ASMSTART
	v_dot2c_f32_f16 v27, v20, v16
	;;#ASMEND
	s_waitcnt vmcnt(2)
	;;#ASMSTART
	v_dot2c_f32_f16 v38, v20, v12
	;;#ASMEND
	;;#ASMSTART
	v_dot2c_f32_f16 v27, v21, v17
	;;#ASMEND
	s_nop 0
	;;#ASMSTART
	v_dot2c_f32_f16 v38, v21, v13
	;;#ASMEND
	;;#ASMSTART
	v_dot2c_f32_f16 v27, v22, v18
	;;#ASMEND
	s_nop 0
	;; [unrolled: 7-line block ×3, first 2 shown]
	;;#ASMSTART
	v_dot2c_f32_f16 v38, v23, v15
	;;#ASMEND
	s_waitcnt vmcnt(1)
	;;#ASMSTART
	v_dot2c_f32_f16 v27, v4, v8
	;;#ASMEND
	s_waitcnt vmcnt(0)
	;;#ASMSTART
	v_dot2c_f32_f16 v38, v4, v0
	;;#ASMEND
	;;#ASMSTART
	v_dot2c_f32_f16 v27, v5, v9
	;;#ASMEND
	s_nop 0
	;;#ASMSTART
	v_dot2c_f32_f16 v38, v5, v1
	;;#ASMEND
	;;#ASMSTART
	v_dot2c_f32_f16 v27, v6, v10
	;;#ASMEND
	s_nop 0
	;; [unrolled: 7-line block ×3, first 2 shown]
	;;#ASMSTART
	v_dot2c_f32_f16 v38, v7, v3
	;;#ASMEND
.LBB13_16:                              ;   in Loop: Header=BB13_17 Depth=2
	s_or_b64 exec, exec, s[10:11]
	s_addk_i32 s35, 0x200
	s_cmp_ge_u32 s35, s20
	s_cbranch_scc1 .LBB13_29
.LBB13_17:                              ;   Parent Loop BB13_12 Depth=1
                                        ; =>  This Loop Header: Depth=2
                                        ;       Child Loop BB13_22 Depth 3
	s_cmp_eq_u32 s35, 0
	s_cselect_b64 s[10:11], -1, 0
	s_add_i32 s28, s34, s39
	s_cmp_eq_u32 s35, s28
	s_cselect_b64 s[30:31], -1, 0
	s_or_b64 s[30:31], s[10:11], s[30:31]
	s_andn2_b64 vcc, exec, s[30:31]
	s_cbranch_vccz .LBB13_19
; %bb.18:                               ;   in Loop: Header=BB13_17 Depth=2
	s_and_saveexec_b64 s[10:11], s[8:9]
	s_cbranch_execz .LBB13_16
	s_branch .LBB13_26
.LBB13_19:                              ;   in Loop: Header=BB13_17 Depth=2
	s_and_b64 s[10:11], s[10:11], exec
	s_cselect_b32 s34, s34, s28
	s_and_b64 vcc, exec, s[4:5]
	s_barrier
	s_cbranch_vccnz .LBB13_25
; %bb.20:                               ;   in Loop: Header=BB13_17 Depth=2
	v_add_u32_e32 v0, s34, v37
	s_mov_b32 s36, 0
	s_mov_b64 s[28:29], 0
	v_mov_b32_e32 v1, v36
                                        ; implicit-def: $sgpr30_sgpr31
	s_branch .LBB13_22
.LBB13_21:                              ;   in Loop: Header=BB13_22 Depth=3
	s_or_b64 exec, exec, s[10:11]
	s_and_b64 s[10:11], exec, s[30:31]
	s_or_b64 s[28:29], s[10:11], s[28:29]
	s_andn2_b64 exec, exec, s[28:29]
	s_cbranch_execz .LBB13_24
.LBB13_22:                              ;   Parent Loop BB13_12 Depth=1
                                        ;     Parent Loop BB13_17 Depth=2
                                        ; =>    This Inner Loop Header: Depth=3
	v_add_u32_e32 v2, s36, v37
	v_add_u32_e32 v28, s36, v0
	v_cmp_gt_u32_e32 vcc, s22, v28
	v_cmp_gt_u32_e64 s[10:11], s39, v2
	s_and_b64 s[46:47], s[10:11], vcc
	s_or_b64 s[30:31], s[30:31], exec
	s_and_saveexec_b64 s[10:11], s[46:47]
	s_cbranch_execz .LBB13_21
; %bb.23:                               ;   in Loop: Header=BB13_22 Depth=3
	v_lshl_add_u64 v[2:3], v[28:29], 1, s[14:15]
	global_load_dwordx4 v[2:5], v[2:3], off
	s_add_i32 s36, s36, s40
	s_cmp_ge_u32 s36, s39
	s_cselect_b64 s[46:47], -1, 0
	s_andn2_b64 s[30:31], s[30:31], exec
	s_and_b64 s[46:47], s[46:47], exec
	s_or_b64 s[30:31], s[30:31], s[46:47]
	s_waitcnt vmcnt(0)
	ds_write_b128 v1, v[2:5]
	v_add_u32_e32 v1, s45, v1
	s_branch .LBB13_21
.LBB13_24:                              ;   in Loop: Header=BB13_17 Depth=2
	s_or_b64 exec, exec, s[28:29]
.LBB13_25:                              ;   in Loop: Header=BB13_17 Depth=2
	s_waitcnt lgkmcnt(0)
	s_barrier
	s_and_saveexec_b64 s[10:11], s[8:9]
	s_cbranch_execz .LBB13_16
.LBB13_26:                              ;   in Loop: Header=BB13_17 Depth=2
	v_add_u32_e32 v39, s35, v34
	v_min_u32_e32 v28, s41, v39
	v_lshl_add_u64 v[0:1], v[28:29], 1, s[12:13]
	v_add_u32_e32 v40, 0x100, v39
	v_lshl_add_u64 v[2:3], v[0:1], 0, v[30:31]
	v_lshl_add_u64 v[0:1], v[0:1], 0, v[32:33]
	v_min_u32_e32 v28, s41, v40
	global_load_dwordx4 v[16:19], v[2:3], off nt
	global_load_dwordx4 v[12:15], v[0:1], off nt
	v_lshl_add_u64 v[0:1], v[28:29], 1, s[12:13]
	s_waitcnt vmcnt(2)
	v_lshl_add_u64 v[4:5], v[0:1], 0, v[30:31]
	v_lshl_add_u64 v[6:7], v[0:1], 0, v[32:33]
	global_load_dwordx4 v[8:11], v[4:5], off nt
	global_load_dwordx4 v[0:3], v[6:7], off nt
	v_cmp_gt_u32_e32 vcc, s20, v39
	v_mov_b32_e32 v22, 0
	v_mov_b32_e32 v23, 0
	;; [unrolled: 1-line block ×8, first 2 shown]
	s_and_saveexec_b64 s[28:29], vcc
	s_cbranch_execz .LBB13_15
; %bb.27:                               ;   in Loop: Header=BB13_17 Depth=2
	v_subrev_u32_e32 v4, s34, v39
	v_lshlrev_b32_e32 v28, 1, v4
	ds_read_b128 v[20:23], v28
	v_cmp_gt_u32_e32 vcc, s20, v40
	v_mov_b32_e32 v7, 0
	v_mov_b32_e32 v6, 0
	;; [unrolled: 1-line block ×4, first 2 shown]
	s_and_saveexec_b64 s[30:31], vcc
	s_cbranch_execz .LBB13_14
; %bb.28:                               ;   in Loop: Header=BB13_17 Depth=2
	ds_read_b128 v[4:7], v28 offset:512
	s_branch .LBB13_14
.LBB13_29:                              ;   in Loop: Header=BB13_12 Depth=1
	v_cmp_le_u32_e32 vcc, s23, v26
	s_and_saveexec_b64 s[8:9], vcc
	s_xor_b64 s[8:9], exec, s[8:9]
; %bb.30:                               ;   in Loop: Header=BB13_12 Depth=1
	v_add_u32_e32 v26, s43, v26
                                        ; implicit-def: $vgpr27
                                        ; implicit-def: $vgpr38
; %bb.31:                               ;   in Loop: Header=BB13_12 Depth=1
	s_andn2_saveexec_b64 s[10:11], s[8:9]
	s_cbranch_execz .LBB13_11
; %bb.32:                               ;   in Loop: Header=BB13_12 Depth=1
	v_cvt_i32_f32_e32 v0, v27
	v_cvt_i32_f32_e32 v1, v38
	s_nop 0
	v_cvt_f32_i32_dpp v0, v0 row_shr:8 row_mask:0xf bank_mask:0xf bound_ctrl:1
	v_cvt_f32_i32_dpp v1, v1 row_shr:8 row_mask:0xf bank_mask:0xf bound_ctrl:1
	v_add_f32_e32 v0, v27, v0
	v_add_f32_e32 v1, v38, v1
	v_cvt_i32_f32_e32 v2, v0
	v_cvt_i32_f32_e32 v3, v1
	s_nop 0
	v_cvt_f32_i32_dpp v2, v2 row_shr:4 row_mask:0xf bank_mask:0xf bound_ctrl:1
	v_cvt_f32_i32_dpp v3, v3 row_shr:4 row_mask:0xf bank_mask:0xf bound_ctrl:1
	v_add_f32_e32 v0, v0, v2
	v_add_f32_e32 v1, v1, v3
	;; [unrolled: 7-line block ×4, first 2 shown]
	v_cvt_i32_f32_e32 v2, v0
	v_cvt_i32_f32_e32 v3, v1
	s_nop 0
	v_cvt_f32_i32_dpp v2, v2 row_bcast:15 row_mask:0xf bank_mask:0xf bound_ctrl:1
	v_cvt_f32_i32_dpp v3, v3 row_bcast:15 row_mask:0xf bank_mask:0xf bound_ctrl:1
	v_add_f32_e32 v2, v0, v2
	v_add_f32_e32 v0, v1, v3
	v_cvt_i32_f32_e32 v1, v2
	s_waitcnt vmcnt(0)
	v_cvt_i32_f32_e32 v4, v0
	v_mov_b32_dpp v3, v1 row_bcast:31 row_mask:0xf bank_mask:0xf bound_ctrl:1
	s_nop 0
	v_mov_b32_dpp v1, v4 row_bcast:31 row_mask:0xf bank_mask:0xf bound_ctrl:1
	s_and_saveexec_b64 s[8:9], s[0:1]
	s_cbranch_execz .LBB13_39
; %bb.33:                               ;   in Loop: Header=BB13_12 Depth=1
	s_and_b64 vcc, exec, s[6:7]
	v_mov_b32_e32 v4, 0
	v_mov_b32_e32 v5, 0
	s_cbranch_vccnz .LBB13_35
; %bb.34:                               ;   in Loop: Header=BB13_12 Depth=1
	v_mul_hi_u32 v4, v26, v35
	v_mul_lo_u32 v4, v4, s38
	v_sub_u32_e32 v4, v26, v4
	v_subrev_u32_e32 v5, s38, v4
	v_cmp_le_u32_e32 vcc, s38, v4
	s_nop 1
	v_cndmask_b32_e32 v4, v4, v5, vcc
	v_subrev_u32_e32 v5, s38, v4
	v_cmp_le_u32_e32 vcc, s38, v4
	s_nop 1
	v_cndmask_b32_e32 v28, v4, v5, vcc
	v_add_u32_e32 v4, 1, v26
	v_mul_hi_u32 v5, v4, v35
	v_mul_lo_u32 v5, v5, s38
	v_sub_u32_e32 v4, v4, v5
	v_subrev_u32_e32 v5, s38, v4
	v_cmp_le_u32_e32 vcc, s38, v4
	v_lshl_add_u64 v[6:7], v[28:29], 1, s[16:17]
	s_nop 0
	v_cndmask_b32_e32 v4, v4, v5, vcc
	v_subrev_u32_e32 v5, s38, v4
	v_cmp_le_u32_e32 vcc, s38, v4
	s_nop 1
	v_cndmask_b32_e32 v28, v4, v5, vcc
	v_lshl_add_u64 v[8:9], v[28:29], 1, s[16:17]
	global_load_ushort v5, v[6:7], off
	global_load_ushort v4, v[8:9], off
.LBB13_35:                              ;   in Loop: Header=BB13_12 Depth=1
	v_cmp_ne_u32_e32 vcc, 0, v24
	s_and_saveexec_b64 s[28:29], vcc
	s_cbranch_execz .LBB13_37
; %bb.36:                               ;   in Loop: Header=BB13_12 Depth=1
	v_cvt_f32_i32_e32 v3, v3
	s_waitcnt vmcnt(1)
	v_cvt_f32_f16_e32 v5, v5
	v_mov_b32_e32 v27, v29
	v_add_f32_e32 v2, v2, v3
	v_add_f32_e32 v2, v2, v5
	v_cvt_f16_f32_e32 v5, v2
	v_lshl_add_u64 v[2:3], v[26:27], 1, s[18:19]
	global_store_short v[2:3], v5, off
.LBB13_37:                              ;   in Loop: Header=BB13_12 Depth=1
	s_or_b64 exec, exec, s[28:29]
	v_cmp_ne_u32_e32 vcc, 0, v25
	s_and_b64 exec, exec, vcc
	s_cbranch_execz .LBB13_39
; %bb.38:                               ;   in Loop: Header=BB13_12 Depth=1
	v_cvt_f32_i32_e32 v1, v1
	s_waitcnt vmcnt(0)
	v_cvt_f32_f16_e32 v2, v4
	v_mov_b32_e32 v27, v29
	v_add_f32_e32 v0, v0, v1
	v_add_f32_e32 v0, v0, v2
	v_cvt_f16_f32_e32 v2, v0
	v_lshl_add_u64 v[0:1], v[26:27], 1, s[26:27]
	global_store_short v[0:1], v2, off
.LBB13_39:                              ;   in Loop: Header=BB13_12 Depth=1
	s_or_b64 exec, exec, s[8:9]
	v_add_u32_e32 v26, s43, v26
	v_add_u32_e32 v0, 2, v26
	v_cmp_gt_u32_e32 vcc, s23, v26
	v_cmp_le_u32_e64 s[8:9], s23, v0
	s_and_b64 s[8:9], vcc, s[8:9]
	s_and_saveexec_b64 s[28:29], s[8:9]
	s_cbranch_execz .LBB13_10
; %bb.40:                               ;   in Loop: Header=BB13_12 Depth=1
	v_cmp_ne_u32_e32 vcc, s44, v26
	s_and_saveexec_b64 s[30:31], vcc
	s_cbranch_execz .LBB13_9
; %bb.41:                               ;   in Loop: Header=BB13_12 Depth=1
	v_subrev_u32_e32 v0, s44, v26
	v_cmp_lt_u32_e32 vcc, 1, v0
	s_mov_b64 s[34:35], 0
	s_mov_b64 s[36:37], 0
	v_cndmask_b32_e32 v0, 1, v0, vcc
.LBB13_42:                              ;   Parent Loop BB13_12 Depth=1
                                        ; =>  This Inner Loop Header: Depth=2
	s_cmp_lg_u32 s36, 1
	s_cselect_b64 vcc, -1, 0
	s_cmp_lg_u32 s36, 0
	v_cndmask_b32_e32 v25, 0, v25, vcc
	s_cselect_b64 vcc, -1, 0
	s_add_u32 s36, s36, 1
	s_addc_u32 s37, s37, 0
	v_cmp_eq_u32_e64 s[8:9], s36, v0
	s_or_b64 s[34:35], s[8:9], s[34:35]
	v_cndmask_b32_e32 v24, 0, v24, vcc
	s_andn2_b64 exec, exec, s[34:35]
	s_cbranch_execnz .LBB13_42
; %bb.43:                               ;   in Loop: Header=BB13_12 Depth=1
	s_or_b64 exec, exec, s[34:35]
	s_branch .LBB13_9
.LBB13_44:
	s_endpgm
	.section	.rodata,"a",@progbits
	.p2align	6, 0x0
	.amdhsa_kernel _Z16wvSplitK_hf_big_I6__halfLi32ELi2ELi16ELi8ELi2ELi1EEviiiiiiPKT_S3_S3_PS1_ii
		.amdhsa_group_segment_fixed_size 65536
		.amdhsa_private_segment_fixed_size 0
		.amdhsa_kernarg_size 64
		.amdhsa_user_sgpr_count 2
		.amdhsa_user_sgpr_dispatch_ptr 0
		.amdhsa_user_sgpr_queue_ptr 0
		.amdhsa_user_sgpr_kernarg_segment_ptr 1
		.amdhsa_user_sgpr_dispatch_id 0
		.amdhsa_user_sgpr_kernarg_preload_length 0
		.amdhsa_user_sgpr_kernarg_preload_offset 0
		.amdhsa_user_sgpr_private_segment_size 0
		.amdhsa_uses_dynamic_stack 0
		.amdhsa_enable_private_segment 0
		.amdhsa_system_sgpr_workgroup_id_x 1
		.amdhsa_system_sgpr_workgroup_id_y 0
		.amdhsa_system_sgpr_workgroup_id_z 0
		.amdhsa_system_sgpr_workgroup_info 0
		.amdhsa_system_vgpr_workitem_id 1
		.amdhsa_next_free_vgpr 41
		.amdhsa_next_free_sgpr 48
		.amdhsa_accum_offset 44
		.amdhsa_reserve_vcc 1
		.amdhsa_float_round_mode_32 0
		.amdhsa_float_round_mode_16_64 0
		.amdhsa_float_denorm_mode_32 3
		.amdhsa_float_denorm_mode_16_64 3
		.amdhsa_dx10_clamp 1
		.amdhsa_ieee_mode 1
		.amdhsa_fp16_overflow 0
		.amdhsa_tg_split 0
		.amdhsa_exception_fp_ieee_invalid_op 0
		.amdhsa_exception_fp_denorm_src 0
		.amdhsa_exception_fp_ieee_div_zero 0
		.amdhsa_exception_fp_ieee_overflow 0
		.amdhsa_exception_fp_ieee_underflow 0
		.amdhsa_exception_fp_ieee_inexact 0
		.amdhsa_exception_int_div_zero 0
	.end_amdhsa_kernel
	.section	.text._Z16wvSplitK_hf_big_I6__halfLi32ELi2ELi16ELi8ELi2ELi1EEviiiiiiPKT_S3_S3_PS1_ii,"axG",@progbits,_Z16wvSplitK_hf_big_I6__halfLi32ELi2ELi16ELi8ELi2ELi1EEviiiiiiPKT_S3_S3_PS1_ii,comdat
.Lfunc_end13:
	.size	_Z16wvSplitK_hf_big_I6__halfLi32ELi2ELi16ELi8ELi2ELi1EEviiiiiiPKT_S3_S3_PS1_ii, .Lfunc_end13-_Z16wvSplitK_hf_big_I6__halfLi32ELi2ELi16ELi8ELi2ELi1EEviiiiiiPKT_S3_S3_PS1_ii
                                        ; -- End function
	.section	.AMDGPU.csdata,"",@progbits
; Kernel info:
; codeLenInByte = 1960
; NumSgprs: 54
; NumVgprs: 41
; NumAgprs: 0
; TotalNumVgprs: 41
; ScratchSize: 0
; MemoryBound: 0
; FloatMode: 240
; IeeeMode: 1
; LDSByteSize: 65536 bytes/workgroup (compile time only)
; SGPRBlocks: 6
; VGPRBlocks: 5
; NumSGPRsForWavesPerEU: 54
; NumVGPRsForWavesPerEU: 41
; AccumOffset: 44
; Occupancy: 2
; WaveLimiterHint : 0
; COMPUTE_PGM_RSRC2:SCRATCH_EN: 0
; COMPUTE_PGM_RSRC2:USER_SGPR: 2
; COMPUTE_PGM_RSRC2:TRAP_HANDLER: 0
; COMPUTE_PGM_RSRC2:TGID_X_EN: 1
; COMPUTE_PGM_RSRC2:TGID_Y_EN: 0
; COMPUTE_PGM_RSRC2:TGID_Z_EN: 0
; COMPUTE_PGM_RSRC2:TIDIG_COMP_CNT: 1
; COMPUTE_PGM_RSRC3_GFX90A:ACCUM_OFFSET: 10
; COMPUTE_PGM_RSRC3_GFX90A:TG_SPLIT: 0
	.section	.text._Z16wvSplitK_hf_sml_I6__halfLi32ELi3ELi16ELi8ELi2ELi1EEviiiiiiPKT_S3_S3_PS1_ii,"axG",@progbits,_Z16wvSplitK_hf_sml_I6__halfLi32ELi3ELi16ELi8ELi2ELi1EEviiiiiiPKT_S3_S3_PS1_ii,comdat
	.protected	_Z16wvSplitK_hf_sml_I6__halfLi32ELi3ELi16ELi8ELi2ELi1EEviiiiiiPKT_S3_S3_PS1_ii ; -- Begin function _Z16wvSplitK_hf_sml_I6__halfLi32ELi3ELi16ELi8ELi2ELi1EEviiiiiiPKT_S3_S3_PS1_ii
	.globl	_Z16wvSplitK_hf_sml_I6__halfLi32ELi3ELi16ELi8ELi2ELi1EEviiiiiiPKT_S3_S3_PS1_ii
	.p2align	8
	.type	_Z16wvSplitK_hf_sml_I6__halfLi32ELi3ELi16ELi8ELi2ELi1EEviiiiiiPKT_S3_S3_PS1_ii,@function
_Z16wvSplitK_hf_sml_I6__halfLi32ELi3ELi16ELi8ELi2ELi1EEviiiiiiPKT_S3_S3_PS1_ii: ; @_Z16wvSplitK_hf_sml_I6__halfLi32ELi3ELi16ELi8ELi2ELi1EEviiiiiiPKT_S3_S3_PS1_ii
; %bb.0:
	s_load_dwordx4 s[4:7], s[0:1], 0x0
	v_and_b32_e32 v4, 0x3ff, v0
	v_bfe_u32 v5, v0, 10, 10
	v_lshlrev_b32_e32 v46, 3, v4
	v_lshl_add_u32 v6, v5, 8, v46
	s_waitcnt lgkmcnt(0)
	s_min_u32 s3, s6, 0x8000
	v_cmp_gt_u32_e32 vcc, s3, v6
	s_and_saveexec_b64 s[8:9], vcc
	s_cbranch_execz .LBB14_9
; %bb.1:
	s_load_dwordx2 s[10:11], s[0:1], 0x20
	v_lshlrev_b32_e32 v0, 1, v6
	v_add_u32_e32 v1, 0x1000, v6
	v_cmp_gt_u32_e32 vcc, s3, v1
	s_waitcnt lgkmcnt(0)
	global_load_dwordx4 v[8:11], v0, s[10:11]
	s_waitcnt vmcnt(0)
	ds_write_b128 v0, v[8:11]
	s_and_saveexec_b64 s[12:13], vcc
	s_xor_b64 s[12:13], exec, s[12:13]
	s_cbranch_execz .LBB14_9
; %bb.2:
	v_mov_b32_e32 v1, 0
	v_lshl_add_u64 v[2:3], s[10:11], 0, v[0:1]
	v_add_co_u32_e32 v8, vcc, 0x2000, v2
	v_add_u32_e32 v1, 0x2000, v6
	s_nop 0
	v_addc_co_u32_e32 v9, vcc, 0, v3, vcc
	global_load_dwordx4 v[8:11], v[8:9], off
	v_cmp_gt_u32_e32 vcc, s3, v1
	s_waitcnt vmcnt(0)
	ds_write_b128 v0, v[8:11] offset:8192
	s_and_saveexec_b64 s[10:11], vcc
	s_xor_b64 s[10:11], exec, s[10:11]
	s_cbranch_execz .LBB14_9
; %bb.3:
	v_add_co_u32_e32 v8, vcc, 0x4000, v2
	v_add_u32_e32 v1, 0x3000, v6
	s_nop 0
	v_addc_co_u32_e32 v9, vcc, 0, v3, vcc
	global_load_dwordx4 v[8:11], v[8:9], off
	v_cmp_gt_u32_e32 vcc, s3, v1
	s_waitcnt vmcnt(0)
	ds_write_b128 v0, v[8:11] offset:16384
	s_and_saveexec_b64 s[10:11], vcc
	s_xor_b64 s[10:11], exec, s[10:11]
	s_cbranch_execz .LBB14_9
; %bb.4:
	;; [unrolled: 12-line block ×6, first 2 shown]
	v_add_co_u32_e32 v2, vcc, 0xe000, v2
	s_nop 1
	v_addc_co_u32_e32 v3, vcc, 0, v3, vcc
	global_load_dwordx4 v[6:9], v[2:3], off
	s_waitcnt vmcnt(0)
	ds_write_b128 v0, v[6:9] offset:57344
.LBB14_9:
	s_or_b64 exec, exec, s[8:9]
	s_load_dwordx2 s[14:15], s[0:1], 0x38
	s_waitcnt lgkmcnt(0)
	s_barrier
	v_cmp_gt_u32_e32 vcc, s14, v5
	s_and_saveexec_b64 s[8:9], vcc
	s_cbranch_execz .LBB14_26
; %bb.10:
	s_load_dword s6, s[0:1], 0x10
	s_mul_i32 s2, s2, s14
	v_add_u32_e32 v0, s2, v5
	v_lshl_add_u32 v32, v0, 1, v0
	v_cmp_gt_u32_e32 vcc, s7, v32
	s_and_b64 exec, exec, vcc
	s_cbranch_execz .LBB14_26
; %bb.11:
	s_waitcnt lgkmcnt(0)
	v_cvt_f32_u32_e32 v0, s6
	s_load_dwordx4 s[8:11], s[0:1], 0x28
	s_load_dwordx2 s[12:13], s[0:1], 0x18
	s_cmp_lg_u32 s4, 0
	s_cselect_b64 s[2:3], -1, 0
	v_rcp_iflag_f32_e32 v0, v0
	s_add_i32 s22, s4, -8
	s_add_i32 s23, s7, -1
	s_waitcnt lgkmcnt(0)
	s_cmp_lg_u64 s[8:9], 0
	v_mul_f32_e32 v0, 0x4f7ffffe, v0
	v_cvt_u32_f32_e32 v0, v0
	s_cselect_b64 s[16:17], -1, 0
	s_sub_i32 s18, 0, s6
	s_mul_i32 s24, s14, s15
	v_mul_lo_u32 v1, s18, v0
	v_mul_hi_u32 v1, v0, v1
	v_add_u32_e32 v47, v0, v1
	v_cndmask_b32_e64 v0, 0, 1, s[2:3]
	v_cmp_eq_u32_e64 s[0:1], 31, v4
	s_mov_b64 s[14:15], 0
	s_mul_i32 s24, s24, 3
	v_lshlrev_b32_e32 v48, 4, v4
	v_cmp_ne_u32_e64 s[2:3], 1, v0
	v_mov_b32_e32 v35, 0
	s_branch .LBB14_14
.LBB14_12:                              ;   in Loop: Header=BB14_14 Depth=1
	v_cvt_f32_i32_e32 v5, v5
	s_waitcnt vmcnt(2)
	v_cvt_f32_f16_e32 v8, v8
	v_cvt_f32_i32_e32 v3, v3
	v_cvt_f32_i32_e32 v4, v4
	v_add_f32_e32 v0, v0, v5
	v_add_f32_e32 v0, v0, v8
	;; [unrolled: 1-line block ×3, first 2 shown]
	v_cvt_f16_f32_e32 v3, v0
	s_waitcnt vmcnt(1)
	v_cvt_f32_f16_e32 v5, v7
	s_waitcnt vmcnt(0)
	v_cvt_f32_f16_e32 v6, v6
	v_add_f32_e32 v4, v1, v4
	v_lshl_add_u64 v[0:1], v[32:33], 1, s[10:11]
	global_store_short v[0:1], v3, off
	v_add_f32_e32 v0, v4, v5
	v_cvt_f16_f32_e32 v3, v0
	v_add_f32_e32 v0, v2, v6
	v_cvt_f16_f32_e32 v2, v0
	v_lshl_add_u64 v[0:1], v[38:39], 1, s[10:11]
	global_store_short v[0:1], v3, off
	v_lshl_add_u64 v[0:1], v[36:37], 1, s[10:11]
	global_store_short v[0:1], v2, off
.LBB14_13:                              ;   in Loop: Header=BB14_14 Depth=1
	s_or_b64 exec, exec, s[18:19]
	v_add_u32_e32 v32, s24, v32
	v_cmp_le_u32_e32 vcc, s7, v32
	s_or_b64 s[14:15], vcc, s[14:15]
	s_andn2_b64 exec, exec, s[14:15]
	s_cbranch_execz .LBB14_26
.LBB14_14:                              ; =>This Loop Header: Depth=1
                                        ;     Child Loop BB14_18 Depth 2
	s_mov_b32 s25, 0
	s_and_b64 vcc, exec, s[2:3]
	v_add_u32_e32 v38, 1, v32
	v_add_u32_e32 v36, 2, v32
	v_mov_b32_e32 v39, v35
	v_mov_b32_e32 v37, v35
	;; [unrolled: 1-line block ×3, first 2 shown]
	s_cbranch_vccnz .LBB14_21
; %bb.15:                               ;   in Loop: Header=BB14_14 Depth=1
	v_min_u32_e32 v0, s23, v32
	v_mul_lo_u32 v34, v0, s5
	v_min_u32_e32 v0, s23, v38
	v_min_u32_e32 v2, s23, v36
	v_mul_lo_u32 v0, v0, s5
	v_mov_b32_e32 v1, v35
	v_mul_lo_u32 v2, v2, s5
	v_mov_b32_e32 v3, v35
	v_mov_b32_e32 v33, 0
	v_lshlrev_b64 v[40:41], 1, v[34:35]
	v_lshlrev_b64 v[42:43], 1, v[0:1]
	;; [unrolled: 1-line block ×3, first 2 shown]
	v_mov_b32_e32 v49, v48
	v_mov_b32_e32 v37, 0
	;; [unrolled: 1-line block ×3, first 2 shown]
	s_branch .LBB14_18
.LBB14_16:                              ;   in Loop: Header=BB14_18 Depth=2
	s_or_b64 exec, exec, s[20:21]
.LBB14_17:                              ;   in Loop: Header=BB14_18 Depth=2
	s_or_b64 exec, exec, s[18:19]
	s_waitcnt vmcnt(5) lgkmcnt(0)
	;;#ASMSTART
	v_dot2c_f32_f16 v39, v28, v24
	;;#ASMEND
	s_waitcnt vmcnt(4)
	;;#ASMSTART
	v_dot2c_f32_f16 v37, v28, v20
	;;#ASMEND
	s_waitcnt vmcnt(3)
	;;#ASMSTART
	v_dot2c_f32_f16 v33, v28, v16
	;;#ASMEND
	s_addk_i32 s25, 0x200
	;;#ASMSTART
	v_dot2c_f32_f16 v39, v29, v25
	;;#ASMEND
	;;#ASMSTART
	v_dot2c_f32_f16 v37, v29, v21
	;;#ASMEND
	;;#ASMSTART
	v_dot2c_f32_f16 v33, v29, v17
	;;#ASMEND
	s_cmp_ge_u32 s25, s4
	;;#ASMSTART
	v_dot2c_f32_f16 v39, v30, v26
	;;#ASMEND
	;;#ASMSTART
	v_dot2c_f32_f16 v37, v30, v22
	;;#ASMEND
	;;#ASMSTART
	v_dot2c_f32_f16 v33, v30, v18
	;;#ASMEND
	v_add_u32_e32 v49, 0x400, v49
	;;#ASMSTART
	v_dot2c_f32_f16 v39, v31, v27
	;;#ASMEND
	;;#ASMSTART
	v_dot2c_f32_f16 v37, v31, v23
	;;#ASMEND
	;; [unrolled: 3-line block ×3, first 2 shown]
	s_waitcnt vmcnt(2)
	;;#ASMSTART
	v_dot2c_f32_f16 v39, v8, v12
	;;#ASMEND
	s_waitcnt vmcnt(1)
	;;#ASMSTART
	v_dot2c_f32_f16 v37, v8, v4
	;;#ASMEND
	;; [unrolled: 4-line block ×3, first 2 shown]
	;;#ASMSTART
	v_dot2c_f32_f16 v39, v9, v13
	;;#ASMEND
	;;#ASMSTART
	v_dot2c_f32_f16 v37, v9, v5
	;;#ASMEND
	s_nop 0
	;;#ASMSTART
	v_dot2c_f32_f16 v33, v9, v1
	;;#ASMEND
	;;#ASMSTART
	v_dot2c_f32_f16 v39, v10, v14
	;;#ASMEND
	;;#ASMSTART
	v_dot2c_f32_f16 v37, v10, v6
	;;#ASMEND
	s_nop 0
	;;#ASMSTART
	v_dot2c_f32_f16 v33, v10, v2
	;;#ASMEND
	;; [unrolled: 10-line block ×3, first 2 shown]
	s_cbranch_scc1 .LBB14_21
.LBB14_18:                              ;   Parent Loop BB14_14 Depth=1
                                        ; =>  This Inner Loop Header: Depth=2
	v_add_u32_e32 v28, s25, v46
	v_min_u32_e32 v34, s22, v28
	v_lshl_add_u64 v[0:1], v[34:35], 1, s[12:13]
	v_add_u32_e32 v50, 0x100, v28
	v_lshl_add_u64 v[2:3], v[0:1], 0, v[40:41]
	v_min_u32_e32 v34, s22, v50
	v_lshl_add_u64 v[4:5], v[0:1], 0, v[42:43]
	global_load_dwordx4 v[24:27], v[2:3], off nt
	global_load_dwordx4 v[20:23], v[4:5], off nt
	v_lshl_add_u64 v[2:3], v[34:35], 1, s[12:13]
	v_lshl_add_u64 v[0:1], v[0:1], 0, v[44:45]
	;; [unrolled: 1-line block ×4, first 2 shown]
	global_load_dwordx4 v[16:19], v[0:1], off nt
	global_load_dwordx4 v[12:15], v[4:5], off nt
	v_lshl_add_u64 v[10:11], v[2:3], 0, v[44:45]
	global_load_dwordx4 v[4:7], v[8:9], off nt
	global_load_dwordx4 v[0:3], v[10:11], off nt
	v_cmp_gt_u32_e32 vcc, s4, v28
	v_mov_b32_e32 v30, 0
	v_mov_b32_e32 v31, 0
	;; [unrolled: 1-line block ×8, first 2 shown]
	s_and_saveexec_b64 s[18:19], vcc
	s_cbranch_execz .LBB14_17
; %bb.19:                               ;   in Loop: Header=BB14_18 Depth=2
	ds_read_b128 v[28:31], v49
	v_cmp_gt_u32_e32 vcc, s4, v50
	v_mov_b32_e32 v11, 0
	v_mov_b32_e32 v10, 0
	;; [unrolled: 1-line block ×4, first 2 shown]
	s_and_saveexec_b64 s[20:21], vcc
	s_cbranch_execz .LBB14_16
; %bb.20:                               ;   in Loop: Header=BB14_18 Depth=2
	ds_read_b128 v[8:11], v49 offset:512
	s_branch .LBB14_16
.LBB14_21:                              ;   in Loop: Header=BB14_14 Depth=1
	; sched_barrier mask(0x00000000)
	v_cvt_i32_f32_e32 v0, v39
	v_cvt_i32_f32_e32 v1, v37
	v_cvt_i32_f32_e32 v2, v33
	v_cvt_f32_i32_dpp v0, v0 row_shr:8 row_mask:0xf bank_mask:0xf bound_ctrl:1
	v_cvt_f32_i32_dpp v1, v1 row_shr:8 row_mask:0xf bank_mask:0xf bound_ctrl:1
	v_cvt_f32_i32_dpp v2, v2 row_shr:8 row_mask:0xf bank_mask:0xf bound_ctrl:1
	v_add_f32_e32 v0, v39, v0
	v_add_f32_e32 v1, v37, v1
	v_add_f32_e32 v2, v33, v2
	v_cvt_i32_f32_e32 v3, v0
	v_cvt_i32_f32_e32 v4, v1
	v_cvt_i32_f32_e32 v5, v2
	v_cvt_f32_i32_dpp v3, v3 row_shr:4 row_mask:0xf bank_mask:0xf bound_ctrl:1
	v_cvt_f32_i32_dpp v4, v4 row_shr:4 row_mask:0xf bank_mask:0xf bound_ctrl:1
	v_cvt_f32_i32_dpp v5, v5 row_shr:4 row_mask:0xf bank_mask:0xf bound_ctrl:1
	v_add_f32_e32 v0, v0, v3
	v_add_f32_e32 v1, v1, v4
	v_add_f32_e32 v2, v2, v5
	;; [unrolled: 9-line block ×4, first 2 shown]
	v_cvt_i32_f32_e32 v3, v0
	v_cvt_i32_f32_e32 v4, v1
	v_cvt_i32_f32_e32 v5, v2
	v_cvt_f32_i32_dpp v3, v3 row_bcast:15 row_mask:0xf bank_mask:0xf bound_ctrl:1
	v_cvt_f32_i32_dpp v4, v4 row_bcast:15 row_mask:0xf bank_mask:0xf bound_ctrl:1
	;; [unrolled: 1-line block ×3, first 2 shown]
	v_add_f32_e32 v0, v0, v3
	v_add_f32_e32 v1, v1, v4
	;; [unrolled: 1-line block ×3, first 2 shown]
	v_cvt_i32_f32_e32 v3, v0
	v_cvt_i32_f32_e32 v4, v1
	;; [unrolled: 1-line block ×3, first 2 shown]
	v_mov_b32_dpp v5, v3 row_bcast:31 row_mask:0xf bank_mask:0xf bound_ctrl:1
	v_mov_b32_dpp v4, v4 row_bcast:31 row_mask:0xf bank_mask:0xf bound_ctrl:1
	;; [unrolled: 1-line block ×3, first 2 shown]
	s_and_saveexec_b64 s[18:19], s[0:1]
	s_cbranch_execz .LBB14_13
; %bb.22:                               ;   in Loop: Header=BB14_14 Depth=1
	s_and_b64 vcc, exec, s[16:17]
	s_cbranch_vccz .LBB14_24
; %bb.23:                               ;   in Loop: Header=BB14_14 Depth=1
	v_mul_hi_u32 v6, v32, v47
	v_mul_lo_u32 v6, v6, s6
	v_sub_u32_e32 v6, v32, v6
	v_subrev_u32_e32 v7, s6, v6
	v_cmp_le_u32_e32 vcc, s6, v6
	v_mov_b32_e32 v33, v35
	v_mov_b32_e32 v39, v35
	v_cndmask_b32_e32 v6, v6, v7, vcc
	v_subrev_u32_e32 v7, s6, v6
	v_cmp_le_u32_e32 vcc, s6, v6
	v_mov_b32_e32 v37, v35
	s_nop 0
	v_cndmask_b32_e32 v34, v6, v7, vcc
	v_mul_hi_u32 v6, v38, v47
	v_mul_lo_u32 v6, v6, s6
	v_sub_u32_e32 v6, v38, v6
	v_subrev_u32_e32 v7, s6, v6
	v_cmp_le_u32_e32 vcc, s6, v6
	v_lshl_add_u64 v[10:11], v[34:35], 1, s[8:9]
	s_nop 0
	v_cndmask_b32_e32 v6, v6, v7, vcc
	v_subrev_u32_e32 v7, s6, v6
	v_cmp_le_u32_e32 vcc, s6, v6
	s_nop 1
	v_cndmask_b32_e32 v34, v6, v7, vcc
	v_mul_hi_u32 v6, v36, v47
	v_mul_lo_u32 v6, v6, s6
	v_sub_u32_e32 v6, v36, v6
	v_subrev_u32_e32 v7, s6, v6
	v_cmp_le_u32_e32 vcc, s6, v6
	v_lshl_add_u64 v[12:13], v[34:35], 1, s[8:9]
	s_nop 0
	v_cndmask_b32_e32 v6, v6, v7, vcc
	v_subrev_u32_e32 v7, s6, v6
	v_cmp_le_u32_e32 vcc, s6, v6
	s_nop 1
	v_cndmask_b32_e32 v34, v6, v7, vcc
	v_lshl_add_u64 v[14:15], v[34:35], 1, s[8:9]
	global_load_ushort v8, v[10:11], off
	global_load_ushort v7, v[12:13], off
	;; [unrolled: 1-line block ×3, first 2 shown]
	s_cbranch_execnz .LBB14_12
	s_branch .LBB14_25
.LBB14_24:                              ;   in Loop: Header=BB14_14 Depth=1
                                        ; implicit-def: $vgpr6
                                        ; implicit-def: $vgpr7
                                        ; implicit-def: $vgpr8
.LBB14_25:                              ;   in Loop: Header=BB14_14 Depth=1
	v_mov_b32_e32 v33, v35
	v_mov_b32_e32 v39, v35
	;; [unrolled: 1-line block ×3, first 2 shown]
	s_waitcnt vmcnt(2)
	v_mov_b32_e32 v8, 0
	s_waitcnt vmcnt(1)
	v_mov_b32_e32 v7, 0
	;; [unrolled: 2-line block ×3, first 2 shown]
	s_branch .LBB14_12
.LBB14_26:
	s_endpgm
	.section	.rodata,"a",@progbits
	.p2align	6, 0x0
	.amdhsa_kernel _Z16wvSplitK_hf_sml_I6__halfLi32ELi3ELi16ELi8ELi2ELi1EEviiiiiiPKT_S3_S3_PS1_ii
		.amdhsa_group_segment_fixed_size 65536
		.amdhsa_private_segment_fixed_size 0
		.amdhsa_kernarg_size 64
		.amdhsa_user_sgpr_count 2
		.amdhsa_user_sgpr_dispatch_ptr 0
		.amdhsa_user_sgpr_queue_ptr 0
		.amdhsa_user_sgpr_kernarg_segment_ptr 1
		.amdhsa_user_sgpr_dispatch_id 0
		.amdhsa_user_sgpr_kernarg_preload_length 0
		.amdhsa_user_sgpr_kernarg_preload_offset 0
		.amdhsa_user_sgpr_private_segment_size 0
		.amdhsa_uses_dynamic_stack 0
		.amdhsa_enable_private_segment 0
		.amdhsa_system_sgpr_workgroup_id_x 1
		.amdhsa_system_sgpr_workgroup_id_y 0
		.amdhsa_system_sgpr_workgroup_id_z 0
		.amdhsa_system_sgpr_workgroup_info 0
		.amdhsa_system_vgpr_workitem_id 1
		.amdhsa_next_free_vgpr 51
		.amdhsa_next_free_sgpr 26
		.amdhsa_accum_offset 52
		.amdhsa_reserve_vcc 1
		.amdhsa_float_round_mode_32 0
		.amdhsa_float_round_mode_16_64 0
		.amdhsa_float_denorm_mode_32 3
		.amdhsa_float_denorm_mode_16_64 3
		.amdhsa_dx10_clamp 1
		.amdhsa_ieee_mode 1
		.amdhsa_fp16_overflow 0
		.amdhsa_tg_split 0
		.amdhsa_exception_fp_ieee_invalid_op 0
		.amdhsa_exception_fp_denorm_src 0
		.amdhsa_exception_fp_ieee_div_zero 0
		.amdhsa_exception_fp_ieee_overflow 0
		.amdhsa_exception_fp_ieee_underflow 0
		.amdhsa_exception_fp_ieee_inexact 0
		.amdhsa_exception_int_div_zero 0
	.end_amdhsa_kernel
	.section	.text._Z16wvSplitK_hf_sml_I6__halfLi32ELi3ELi16ELi8ELi2ELi1EEviiiiiiPKT_S3_S3_PS1_ii,"axG",@progbits,_Z16wvSplitK_hf_sml_I6__halfLi32ELi3ELi16ELi8ELi2ELi1EEviiiiiiPKT_S3_S3_PS1_ii,comdat
.Lfunc_end14:
	.size	_Z16wvSplitK_hf_sml_I6__halfLi32ELi3ELi16ELi8ELi2ELi1EEviiiiiiPKT_S3_S3_PS1_ii, .Lfunc_end14-_Z16wvSplitK_hf_sml_I6__halfLi32ELi3ELi16ELi8ELi2ELi1EEviiiiiiPKT_S3_S3_PS1_ii
                                        ; -- End function
	.section	.AMDGPU.csdata,"",@progbits
; Kernel info:
; codeLenInByte = 2036
; NumSgprs: 32
; NumVgprs: 51
; NumAgprs: 0
; TotalNumVgprs: 51
; ScratchSize: 0
; MemoryBound: 0
; FloatMode: 240
; IeeeMode: 1
; LDSByteSize: 65536 bytes/workgroup (compile time only)
; SGPRBlocks: 3
; VGPRBlocks: 6
; NumSGPRsForWavesPerEU: 32
; NumVGPRsForWavesPerEU: 51
; AccumOffset: 52
; Occupancy: 2
; WaveLimiterHint : 0
; COMPUTE_PGM_RSRC2:SCRATCH_EN: 0
; COMPUTE_PGM_RSRC2:USER_SGPR: 2
; COMPUTE_PGM_RSRC2:TRAP_HANDLER: 0
; COMPUTE_PGM_RSRC2:TGID_X_EN: 1
; COMPUTE_PGM_RSRC2:TGID_Y_EN: 0
; COMPUTE_PGM_RSRC2:TGID_Z_EN: 0
; COMPUTE_PGM_RSRC2:TIDIG_COMP_CNT: 1
; COMPUTE_PGM_RSRC3_GFX90A:ACCUM_OFFSET: 12
; COMPUTE_PGM_RSRC3_GFX90A:TG_SPLIT: 0
	.section	.text._Z12wvSplitK_hf_I6__halfLi32ELi3ELi16ELi8ELi2ELi1EEviiiiiiPKT_S3_S3_PS1_ii,"axG",@progbits,_Z12wvSplitK_hf_I6__halfLi32ELi3ELi16ELi8ELi2ELi1EEviiiiiiPKT_S3_S3_PS1_ii,comdat
	.protected	_Z12wvSplitK_hf_I6__halfLi32ELi3ELi16ELi8ELi2ELi1EEviiiiiiPKT_S3_S3_PS1_ii ; -- Begin function _Z12wvSplitK_hf_I6__halfLi32ELi3ELi16ELi8ELi2ELi1EEviiiiiiPKT_S3_S3_PS1_ii
	.globl	_Z12wvSplitK_hf_I6__halfLi32ELi3ELi16ELi8ELi2ELi1EEviiiiiiPKT_S3_S3_PS1_ii
	.p2align	8
	.type	_Z12wvSplitK_hf_I6__halfLi32ELi3ELi16ELi8ELi2ELi1EEviiiiiiPKT_S3_S3_PS1_ii,@function
_Z12wvSplitK_hf_I6__halfLi32ELi3ELi16ELi8ELi2ELi1EEviiiiiiPKT_S3_S3_PS1_ii: ; @_Z12wvSplitK_hf_I6__halfLi32ELi3ELi16ELi8ELi2ELi1EEviiiiiiPKT_S3_S3_PS1_ii
; %bb.0:
	s_load_dwordx2 s[20:21], s[0:1], 0x38
	s_load_dwordx2 s[16:17], s[0:1], 0x20
	s_load_dwordx4 s[8:11], s[0:1], 0x0
	s_load_dword s33, s[0:1], 0x10
	v_bfe_u32 v4, v0, 10, 10
	s_waitcnt lgkmcnt(0)
	s_mul_i32 s2, s2, s20
	v_add_u32_e32 v1, s2, v4
	v_lshl_add_u32 v36, v1, 1, v1
	s_mov_b32 s4, 1
	v_add_u32_e32 v1, 3, v36
	s_mov_b32 s6, s4
	v_cmp_gt_u32_e32 vcc, s11, v36
	v_cmp_le_u32_e64 s[2:3], s11, v1
	s_mov_b32 s5, s4
	v_mov_b32_e32 v34, s6
	s_and_b64 s[12:13], vcc, s[2:3]
	v_mov_b32_e32 v33, s5
	v_mov_b32_e32 v32, s4
	s_and_saveexec_b64 s[2:3], s[12:13]
	s_cbranch_execz .LBB15_6
; %bb.1:
	s_add_i32 s7, s11, -3
	v_mov_b32_e32 v34, s6
	v_cmp_ne_u32_e32 vcc, s7, v36
	v_mov_b32_e32 v33, s5
	v_mov_b32_e32 v32, s4
	s_and_saveexec_b64 s[12:13], vcc
	s_cbranch_execz .LBB15_5
; %bb.2:
	v_subrev_u32_e32 v1, s7, v36
	v_cmp_lt_u32_e32 vcc, 1, v1
	s_mov_b64 s[14:15], 0
	s_mov_b64 s[18:19], 0
	v_cndmask_b32_e32 v2, 1, v1, vcc
	s_mov_b32 s5, s4
	s_mov_b32 s6, s4
.LBB15_3:                               ; =>This Inner Loop Header: Depth=1
	s_cmp_lg_u32 s18, 2
	s_cselect_b32 s6, s6, 0
	s_cmp_lg_u32 s18, 1
	s_cselect_b32 s5, s5, 0
	s_cmp_lg_u32 s18, 0
	s_cselect_b32 s4, s4, 0
	s_add_u32 s18, s18, 1
	s_addc_u32 s19, s19, 0
	v_cmp_eq_u32_e32 vcc, s18, v2
	v_mov_b32_e32 v34, s6
	s_or_b64 s[14:15], vcc, s[14:15]
	v_mov_b32_e32 v33, s5
	v_mov_b32_e32 v32, s4
	s_andn2_b64 exec, exec, s[14:15]
	s_cbranch_execnz .LBB15_3
; %bb.4:
	s_or_b64 exec, exec, s[14:15]
	v_mov_b32_e32 v36, s7
.LBB15_5:
	s_or_b64 exec, exec, s[12:13]
.LBB15_6:
	s_or_b64 exec, exec, s[2:3]
	v_and_b32_e32 v5, 0x3ff, v0
	v_lshlrev_b32_e32 v35, 3, v5
	v_lshl_add_u32 v6, v4, 8, v35
	s_min_u32 s4, s10, 0x8000
	v_cmp_gt_u32_e32 vcc, s4, v6
	s_and_saveexec_b64 s[2:3], vcc
	s_cbranch_execz .LBB15_15
; %bb.7:
	v_lshlrev_b32_e32 v0, 1, v6
	global_load_dwordx4 v[8:11], v0, s[16:17]
	v_add_u32_e32 v1, 0x1000, v6
	v_cmp_gt_u32_e32 vcc, s4, v1
	s_waitcnt vmcnt(0)
	ds_write_b128 v0, v[8:11]
	s_and_saveexec_b64 s[6:7], vcc
	s_xor_b64 s[6:7], exec, s[6:7]
	s_cbranch_execz .LBB15_15
; %bb.8:
	v_mov_b32_e32 v1, 0
	v_lshl_add_u64 v[2:3], s[16:17], 0, v[0:1]
	v_add_co_u32_e32 v8, vcc, 0x2000, v2
	v_add_u32_e32 v1, 0x2000, v6
	s_nop 0
	v_addc_co_u32_e32 v9, vcc, 0, v3, vcc
	global_load_dwordx4 v[8:11], v[8:9], off
	v_cmp_gt_u32_e32 vcc, s4, v1
	s_waitcnt vmcnt(0)
	ds_write_b128 v0, v[8:11] offset:8192
	s_and_saveexec_b64 s[6:7], vcc
	s_xor_b64 s[6:7], exec, s[6:7]
	s_cbranch_execz .LBB15_15
; %bb.9:
	v_add_co_u32_e32 v8, vcc, 0x4000, v2
	v_add_u32_e32 v1, 0x3000, v6
	s_nop 0
	v_addc_co_u32_e32 v9, vcc, 0, v3, vcc
	global_load_dwordx4 v[8:11], v[8:9], off
	v_cmp_gt_u32_e32 vcc, s4, v1
	s_waitcnt vmcnt(0)
	ds_write_b128 v0, v[8:11] offset:16384
	s_and_saveexec_b64 s[6:7], vcc
	s_xor_b64 s[6:7], exec, s[6:7]
	s_cbranch_execz .LBB15_15
; %bb.10:
	v_add_co_u32_e32 v8, vcc, 0x6000, v2
	v_add_u32_e32 v1, 0x4000, v6
	s_nop 0
	v_addc_co_u32_e32 v9, vcc, 0, v3, vcc
	global_load_dwordx4 v[8:11], v[8:9], off
	v_cmp_gt_u32_e32 vcc, s4, v1
	s_waitcnt vmcnt(0)
	ds_write_b128 v0, v[8:11] offset:24576
	s_and_saveexec_b64 s[6:7], vcc
	s_xor_b64 s[6:7], exec, s[6:7]
	s_cbranch_execz .LBB15_15
; %bb.11:
	v_add_co_u32_e32 v8, vcc, 0x8000, v2
	v_add_u32_e32 v1, 0x5000, v6
	s_nop 0
	v_addc_co_u32_e32 v9, vcc, 0, v3, vcc
	global_load_dwordx4 v[8:11], v[8:9], off
	v_cmp_gt_u32_e32 vcc, s4, v1
	s_waitcnt vmcnt(0)
	ds_write_b128 v0, v[8:11] offset:32768
	s_and_saveexec_b64 s[6:7], vcc
	s_xor_b64 s[6:7], exec, s[6:7]
	s_cbranch_execz .LBB15_15
; %bb.12:
	v_add_co_u32_e32 v8, vcc, 0xa000, v2
	v_add_u32_e32 v1, 0x6000, v6
	s_nop 0
	v_addc_co_u32_e32 v9, vcc, 0, v3, vcc
	global_load_dwordx4 v[8:11], v[8:9], off
	v_cmp_gt_u32_e32 vcc, s4, v1
	s_waitcnt vmcnt(0)
	ds_write_b128 v0, v[8:11] offset:40960
	s_and_saveexec_b64 s[6:7], vcc
	s_xor_b64 s[6:7], exec, s[6:7]
	s_cbranch_execz .LBB15_15
; %bb.13:
	v_add_co_u32_e32 v8, vcc, 0xc000, v2
	v_add_u32_e32 v1, 0x7000, v6
	s_nop 0
	v_addc_co_u32_e32 v9, vcc, 0, v3, vcc
	global_load_dwordx4 v[8:11], v[8:9], off
	v_cmp_gt_u32_e32 vcc, s4, v1
	s_waitcnt vmcnt(0)
	ds_write_b128 v0, v[8:11] offset:49152
	s_and_saveexec_b64 s[4:5], vcc
	s_xor_b64 s[4:5], exec, s[4:5]
	s_cbranch_execz .LBB15_15
; %bb.14:
	v_add_co_u32_e32 v2, vcc, 0xe000, v2
	s_nop 1
	v_addc_co_u32_e32 v3, vcc, 0, v3, vcc
	global_load_dwordx4 v[6:9], v[2:3], off
	s_waitcnt vmcnt(0)
	ds_write_b128 v0, v[6:9] offset:57344
.LBB15_15:
	s_or_b64 exec, exec, s[2:3]
	v_cmp_gt_u32_e32 vcc, s20, v4
	v_cmp_gt_u32_e64 s[2:3], s11, v36
	s_and_b64 s[2:3], vcc, s[2:3]
	s_waitcnt lgkmcnt(0)
	s_barrier
	s_and_saveexec_b64 s[4:5], s[2:3]
	s_cbranch_execz .LBB15_48
; %bb.16:
	v_cvt_f32_u32_e32 v0, s33
	s_load_dwordx4 s[12:15], s[0:1], 0x28
	s_load_dwordx2 s[18:19], s[0:1], 0x18
	s_cmp_lg_u32 s8, 0
	s_cselect_b64 s[2:3], -1, 0
	v_rcp_iflag_f32_e32 v0, v0
	s_add_i32 s10, s8, -8
	s_add_i32 s34, s11, -1
	s_waitcnt lgkmcnt(0)
	s_cmp_lg_u64 s[12:13], 0
	v_mul_f32_e32 v0, 0x4f7ffffe, v0
	v_cvt_u32_f32_e32 v0, v0
	s_cselect_b64 s[4:5], -1, 0
	s_sub_i32 s6, 0, s33
	s_mul_i32 s35, s20, s21
	v_mul_lo_u32 v1, s6, v0
	v_mul_hi_u32 v1, v0, v1
	v_add_u32_e32 v54, v0, v1
	v_cndmask_b32_e64 v0, 0, 1, s[2:3]
	v_cmp_ne_u32_e64 s[2:3], 1, v0
	v_cndmask_b32_e64 v0, 0, 1, s[4:5]
	v_cmp_eq_u32_e64 s[0:1], 31, v5
	s_mov_b64 s[20:21], 0
	s_mul_i32 s35, s35, 3
	s_add_i32 s36, s11, -3
	v_mov_b32_e32 v39, 0
	v_lshlrev_b32_e32 v55, 4, v5
	s_movk_i32 s37, 0x7fff
	s_mov_b32 s22, 0
	v_cmp_ne_u32_e64 s[4:5], 1, v0
	s_branch .LBB15_19
.LBB15_17:                              ;   in Loop: Header=BB15_19 Depth=1
	s_or_b64 exec, exec, s[26:27]
	v_mov_b32_e32 v36, s36
.LBB15_18:                              ;   in Loop: Header=BB15_19 Depth=1
	s_or_b64 exec, exec, s[24:25]
	v_cmp_le_u32_e32 vcc, s11, v36
	s_or_b64 s[20:21], vcc, s[20:21]
	s_andn2_b64 exec, exec, s[20:21]
	s_cbranch_execz .LBB15_48
.LBB15_19:                              ; =>This Loop Header: Depth=1
                                        ;     Child Loop BB15_24 Depth 2
                                        ;     Child Loop BB15_44 Depth 2
	s_and_b64 vcc, exec, s[2:3]
	v_add_u32_e32 v42, 1, v36
	v_add_u32_e32 v40, 2, v36
	v_mov_b32_e32 v43, v39
	v_mov_b32_e32 v41, v39
	;; [unrolled: 1-line block ×3, first 2 shown]
	s_cbranch_vccnz .LBB15_34
; %bb.20:                               ;   in Loop: Header=BB15_19 Depth=1
	v_min_u32_e32 v0, s34, v36
	v_mul_lo_u32 v38, v0, s9
	v_min_u32_e32 v0, s34, v42
	v_min_u32_e32 v2, s34, v40
	v_mul_lo_u32 v0, v0, s9
	v_mov_b32_e32 v1, v39
	v_mul_lo_u32 v2, v2, s9
	v_mov_b32_e32 v3, v39
	v_mov_b32_e32 v37, 0
	v_lshlrev_b64 v[44:45], 1, v[38:39]
	v_lshlrev_b64 v[46:47], 1, v[0:1]
	;; [unrolled: 1-line block ×3, first 2 shown]
	v_mov_b32_e32 v56, v55
	v_mov_b32_e32 v41, 0
	;; [unrolled: 1-line block ×3, first 2 shown]
	s_mov_b32 s28, s22
	s_branch .LBB15_24
.LBB15_21:                              ;   in Loop: Header=BB15_24 Depth=2
	s_or_b64 exec, exec, s[26:27]
.LBB15_22:                              ;   in Loop: Header=BB15_24 Depth=2
	s_or_b64 exec, exec, s[24:25]
.LBB15_23:                              ;   in Loop: Header=BB15_24 Depth=2
	s_or_b64 exec, exec, s[6:7]
	s_waitcnt vmcnt(0) lgkmcnt(0)
	;;#ASMSTART
	v_dot2c_f32_f16 v43, v24, v20
	;;#ASMEND
	;;#ASMSTART
	v_dot2c_f32_f16 v41, v24, v16
	;;#ASMEND
	;; [unrolled: 3-line block ×3, first 2 shown]
	s_addk_i32 s28, 0x200
	;;#ASMSTART
	v_dot2c_f32_f16 v43, v25, v21
	;;#ASMEND
	;;#ASMSTART
	v_dot2c_f32_f16 v41, v25, v17
	;;#ASMEND
	;; [unrolled: 3-line block ×3, first 2 shown]
	s_cmp_ge_u32 s28, s8
	;;#ASMSTART
	v_dot2c_f32_f16 v43, v26, v22
	;;#ASMEND
	;;#ASMSTART
	v_dot2c_f32_f16 v41, v26, v18
	;;#ASMEND
	;; [unrolled: 3-line block ×3, first 2 shown]
	v_add_u32_e32 v56, 0x400, v56
	;;#ASMSTART
	v_dot2c_f32_f16 v43, v27, v23
	;;#ASMEND
	;;#ASMSTART
	v_dot2c_f32_f16 v41, v27, v19
	;;#ASMEND
	;;#ASMSTART
	v_dot2c_f32_f16 v37, v27, v15
	;;#ASMEND
	s_nop 0
	;;#ASMSTART
	v_dot2c_f32_f16 v43, v28, v8
	;;#ASMEND
	;;#ASMSTART
	v_dot2c_f32_f16 v41, v28, v4
	;;#ASMEND
	;;#ASMSTART
	v_dot2c_f32_f16 v37, v28, v0
	;;#ASMEND
	s_nop 0
	;;#ASMSTART
	v_dot2c_f32_f16 v43, v29, v9
	;;#ASMEND
	;;#ASMSTART
	v_dot2c_f32_f16 v41, v29, v5
	;;#ASMEND
	;;#ASMSTART
	v_dot2c_f32_f16 v37, v29, v1
	;;#ASMEND
	s_nop 0
	;;#ASMSTART
	v_dot2c_f32_f16 v43, v30, v10
	;;#ASMEND
	;;#ASMSTART
	v_dot2c_f32_f16 v41, v30, v6
	;;#ASMEND
	;;#ASMSTART
	v_dot2c_f32_f16 v37, v30, v2
	;;#ASMEND
	s_nop 0
	;;#ASMSTART
	v_dot2c_f32_f16 v43, v31, v11
	;;#ASMEND
	;;#ASMSTART
	v_dot2c_f32_f16 v41, v31, v7
	;;#ASMEND
	;; [unrolled: 3-line block ×3, first 2 shown]
	s_cbranch_scc1 .LBB15_34
.LBB15_24:                              ;   Parent Loop BB15_19 Depth=1
                                        ; =>  This Inner Loop Header: Depth=2
	v_add_u32_e32 v52, s28, v35
	v_min_u32_e32 v38, s10, v52
	v_lshl_add_u64 v[0:1], v[38:39], 1, s[18:19]
	v_add_u32_e32 v50, 0x100, v52
	v_lshl_add_u64 v[2:3], v[0:1], 0, v[44:45]
	v_min_u32_e32 v38, s10, v50
	v_lshl_add_u64 v[4:5], v[0:1], 0, v[46:47]
	global_load_dwordx4 v[20:23], v[2:3], off nt
	global_load_dwordx4 v[16:19], v[4:5], off nt
	v_lshl_add_u64 v[2:3], v[38:39], 1, s[18:19]
	v_lshl_add_u64 v[0:1], v[0:1], 0, v[48:49]
	;; [unrolled: 1-line block ×4, first 2 shown]
	global_load_dwordx4 v[12:15], v[0:1], off nt
	global_load_dwordx4 v[8:11], v[4:5], off nt
	v_lshl_add_u64 v[26:27], v[2:3], 0, v[48:49]
	global_load_dwordx4 v[4:7], v[24:25], off nt
	global_load_dwordx4 v[0:3], v[26:27], off nt
	s_mov_b32 s23, s22
	v_cmp_gt_u32_e32 vcc, s8, v52
	v_mov_b64_e32 v[24:25], s[22:23]
	v_mov_b32_e32 v31, 0
	v_mov_b32_e32 v30, 0
	;; [unrolled: 1-line block ×4, first 2 shown]
	v_mov_b64_e32 v[26:27], s[22:23]
	s_and_saveexec_b64 s[6:7], vcc
	s_cbranch_execz .LBB15_23
; %bb.25:                               ;   in Loop: Header=BB15_24 Depth=2
	v_cmp_lt_u32_e32 vcc, s37, v52
                                        ; implicit-def: $vgpr24_vgpr25
	s_and_saveexec_b64 s[24:25], vcc
	s_xor_b64 s[24:25], exec, s[24:25]
	s_cbranch_execz .LBB15_27
; %bb.26:                               ;   in Loop: Header=BB15_24 Depth=2
	v_mov_b32_e32 v53, v39
	v_lshl_add_u64 v[24:25], v[52:53], 1, s[16:17]
	global_load_dwordx4 v[24:27], v[24:25], off
.LBB15_27:                              ;   in Loop: Header=BB15_24 Depth=2
	s_andn2_saveexec_b64 s[24:25], s[24:25]
	s_cbranch_execz .LBB15_29
; %bb.28:                               ;   in Loop: Header=BB15_24 Depth=2
	s_waitcnt vmcnt(0)
	ds_read_b128 v[24:27], v56
.LBB15_29:                              ;   in Loop: Header=BB15_24 Depth=2
	s_or_b64 exec, exec, s[24:25]
	v_cmp_gt_u32_e32 vcc, s8, v50
	v_mov_b32_e32 v31, 0
	v_mov_b32_e32 v30, 0
	;; [unrolled: 1-line block ×4, first 2 shown]
	s_and_saveexec_b64 s[24:25], vcc
	s_cbranch_execz .LBB15_22
; %bb.30:                               ;   in Loop: Header=BB15_24 Depth=2
	v_cmp_lt_u32_e32 vcc, s37, v50
                                        ; implicit-def: $vgpr31
	s_and_saveexec_b64 s[26:27], vcc
	s_xor_b64 s[26:27], exec, s[26:27]
	s_cbranch_execz .LBB15_32
; %bb.31:                               ;   in Loop: Header=BB15_24 Depth=2
	v_mov_b32_e32 v51, v39
	v_lshl_add_u64 v[28:29], v[50:51], 1, s[16:17]
	global_load_dwordx4 v[28:31], v[28:29], off
.LBB15_32:                              ;   in Loop: Header=BB15_24 Depth=2
	s_andn2_saveexec_b64 s[26:27], s[26:27]
	s_cbranch_execz .LBB15_21
; %bb.33:                               ;   in Loop: Header=BB15_24 Depth=2
	s_waitcnt vmcnt(0)
	ds_read_b128 v[28:31], v56 offset:512
	s_branch .LBB15_21
.LBB15_34:                              ;   in Loop: Header=BB15_19 Depth=1
	v_cvt_i32_f32_e32 v0, v43
	v_cvt_i32_f32_e32 v1, v41
	v_cvt_i32_f32_e32 v2, v37
	v_cvt_f32_i32_dpp v0, v0 row_shr:8 row_mask:0xf bank_mask:0xf bound_ctrl:1
	v_cvt_f32_i32_dpp v1, v1 row_shr:8 row_mask:0xf bank_mask:0xf bound_ctrl:1
	v_cvt_f32_i32_dpp v2, v2 row_shr:8 row_mask:0xf bank_mask:0xf bound_ctrl:1
	v_add_f32_e32 v0, v43, v0
	v_add_f32_e32 v1, v41, v1
	v_add_f32_e32 v2, v37, v2
	v_cvt_i32_f32_e32 v3, v0
	v_cvt_i32_f32_e32 v4, v1
	v_cvt_i32_f32_e32 v5, v2
	v_cvt_f32_i32_dpp v3, v3 row_shr:4 row_mask:0xf bank_mask:0xf bound_ctrl:1
	v_cvt_f32_i32_dpp v4, v4 row_shr:4 row_mask:0xf bank_mask:0xf bound_ctrl:1
	v_cvt_f32_i32_dpp v5, v5 row_shr:4 row_mask:0xf bank_mask:0xf bound_ctrl:1
	v_add_f32_e32 v0, v0, v3
	v_add_f32_e32 v1, v1, v4
	v_add_f32_e32 v2, v2, v5
	;; [unrolled: 9-line block ×4, first 2 shown]
	v_cvt_i32_f32_e32 v2, v0
	v_cvt_i32_f32_e32 v4, v1
	;; [unrolled: 1-line block ×3, first 2 shown]
	v_cvt_f32_i32_dpp v2, v2 row_bcast:15 row_mask:0xf bank_mask:0xf bound_ctrl:1
	s_waitcnt vmcnt(0)
	v_cvt_f32_i32_dpp v6, v4 row_bcast:15 row_mask:0xf bank_mask:0xf bound_ctrl:1
	v_cvt_f32_i32_dpp v5, v5 row_bcast:15 row_mask:0xf bank_mask:0xf bound_ctrl:1
	v_add_f32_e32 v4, v0, v2
	v_add_f32_e32 v2, v1, v6
	;; [unrolled: 1-line block ×3, first 2 shown]
	v_cvt_i32_f32_e32 v1, v4
	v_cvt_i32_f32_e32 v3, v2
	;; [unrolled: 1-line block ×3, first 2 shown]
	v_mov_b32_dpp v5, v1 row_bcast:31 row_mask:0xf bank_mask:0xf bound_ctrl:1
	v_mov_b32_dpp v3, v3 row_bcast:31 row_mask:0xf bank_mask:0xf bound_ctrl:1
	;; [unrolled: 1-line block ×3, first 2 shown]
	s_and_saveexec_b64 s[6:7], s[0:1]
	s_cbranch_execz .LBB15_41
; %bb.35:                               ;   in Loop: Header=BB15_19 Depth=1
	s_and_b64 vcc, exec, s[4:5]
	v_mov_b32_e32 v8, 0
	v_mov_b32_e32 v7, 0
	;; [unrolled: 1-line block ×3, first 2 shown]
	s_cbranch_vccnz .LBB15_37
; %bb.36:                               ;   in Loop: Header=BB15_19 Depth=1
	v_mul_hi_u32 v6, v36, v54
	v_mul_lo_u32 v6, v6, s33
	v_sub_u32_e32 v6, v36, v6
	v_subrev_u32_e32 v7, s33, v6
	v_cmp_le_u32_e32 vcc, s33, v6
	s_nop 1
	v_cndmask_b32_e32 v6, v6, v7, vcc
	v_subrev_u32_e32 v7, s33, v6
	v_cmp_le_u32_e32 vcc, s33, v6
	s_nop 1
	v_cndmask_b32_e32 v38, v6, v7, vcc
	v_mul_hi_u32 v6, v42, v54
	v_mul_lo_u32 v6, v6, s33
	v_sub_u32_e32 v6, v42, v6
	v_subrev_u32_e32 v7, s33, v6
	v_cmp_le_u32_e32 vcc, s33, v6
	v_lshl_add_u64 v[10:11], v[38:39], 1, s[12:13]
	s_nop 0
	v_cndmask_b32_e32 v6, v6, v7, vcc
	v_subrev_u32_e32 v7, s33, v6
	v_cmp_le_u32_e32 vcc, s33, v6
	s_nop 1
	v_cndmask_b32_e32 v38, v6, v7, vcc
	v_mul_hi_u32 v6, v40, v54
	v_mul_lo_u32 v6, v6, s33
	v_sub_u32_e32 v6, v40, v6
	v_subrev_u32_e32 v7, s33, v6
	v_cmp_le_u32_e32 vcc, s33, v6
	v_lshl_add_u64 v[12:13], v[38:39], 1, s[12:13]
	s_nop 0
	v_cndmask_b32_e32 v6, v6, v7, vcc
	v_subrev_u32_e32 v7, s33, v6
	v_cmp_le_u32_e32 vcc, s33, v6
	s_nop 1
	v_cndmask_b32_e32 v38, v6, v7, vcc
	v_lshl_add_u64 v[14:15], v[38:39], 1, s[12:13]
	global_load_ushort v8, v[10:11], off
	global_load_ushort v7, v[12:13], off
	;; [unrolled: 1-line block ×3, first 2 shown]
.LBB15_37:                              ;   in Loop: Header=BB15_19 Depth=1
	v_cmp_ne_u32_e32 vcc, 0, v32
	s_and_saveexec_b64 s[24:25], vcc
	s_cbranch_execnz .LBB15_46
; %bb.38:                               ;   in Loop: Header=BB15_19 Depth=1
	s_or_b64 exec, exec, s[24:25]
	v_cmp_ne_u32_e32 vcc, 0, v33
	s_and_saveexec_b64 s[24:25], vcc
	s_cbranch_execnz .LBB15_47
.LBB15_39:                              ;   in Loop: Header=BB15_19 Depth=1
	s_or_b64 exec, exec, s[24:25]
	v_cmp_ne_u32_e32 vcc, 0, v34
	s_and_b64 exec, exec, vcc
	s_cbranch_execz .LBB15_41
.LBB15_40:                              ;   in Loop: Header=BB15_19 Depth=1
	v_cvt_f32_i32_e32 v1, v1
	s_waitcnt vmcnt(0)
	v_cvt_f32_f16_e32 v2, v6
	v_mov_b32_e32 v41, v39
	v_add_f32_e32 v0, v0, v1
	v_add_f32_e32 v0, v0, v2
	v_cvt_f16_f32_e32 v2, v0
	v_lshl_add_u64 v[0:1], v[40:41], 1, s[14:15]
	global_store_short v[0:1], v2, off
.LBB15_41:                              ;   in Loop: Header=BB15_19 Depth=1
	s_or_b64 exec, exec, s[6:7]
	v_add_u32_e32 v36, s35, v36
	v_add_u32_e32 v0, 3, v36
	v_cmp_gt_u32_e32 vcc, s11, v36
	v_cmp_le_u32_e64 s[6:7], s11, v0
	s_and_b64 s[6:7], vcc, s[6:7]
	s_and_saveexec_b64 s[24:25], s[6:7]
	s_cbranch_execz .LBB15_18
; %bb.42:                               ;   in Loop: Header=BB15_19 Depth=1
	v_cmp_ne_u32_e32 vcc, s36, v36
	s_and_saveexec_b64 s[26:27], vcc
	s_cbranch_execz .LBB15_17
; %bb.43:                               ;   in Loop: Header=BB15_19 Depth=1
	v_subrev_u32_e32 v0, s36, v36
	v_cmp_lt_u32_e32 vcc, 1, v0
	s_mov_b64 s[28:29], 0
	s_mov_b64 s[30:31], 0
	v_cndmask_b32_e32 v0, 1, v0, vcc
.LBB15_44:                              ;   Parent Loop BB15_19 Depth=1
                                        ; =>  This Inner Loop Header: Depth=2
	s_cmp_lg_u32 s30, 2
	s_cselect_b64 vcc, -1, 0
	s_cmp_lg_u32 s30, 1
	v_cndmask_b32_e32 v34, 0, v34, vcc
	s_cselect_b64 vcc, -1, 0
	s_cmp_lg_u32 s30, 0
	v_cndmask_b32_e32 v33, 0, v33, vcc
	s_cselect_b64 vcc, -1, 0
	s_add_u32 s30, s30, 1
	s_addc_u32 s31, s31, 0
	v_cmp_eq_u32_e64 s[6:7], s30, v0
	s_or_b64 s[28:29], s[6:7], s[28:29]
	v_cndmask_b32_e32 v32, 0, v32, vcc
	s_andn2_b64 exec, exec, s[28:29]
	s_cbranch_execnz .LBB15_44
; %bb.45:                               ;   in Loop: Header=BB15_19 Depth=1
	s_or_b64 exec, exec, s[28:29]
	s_branch .LBB15_17
.LBB15_46:                              ;   in Loop: Header=BB15_19 Depth=1
	v_cvt_f32_i32_e32 v5, v5
	s_waitcnt vmcnt(2)
	v_cvt_f32_f16_e32 v8, v8
	v_mov_b32_e32 v37, v39
	v_add_f32_e32 v4, v4, v5
	v_add_f32_e32 v4, v4, v8
	v_cvt_f16_f32_e32 v8, v4
	v_lshl_add_u64 v[4:5], v[36:37], 1, s[14:15]
	global_store_short v[4:5], v8, off
	s_or_b64 exec, exec, s[24:25]
	v_cmp_ne_u32_e32 vcc, 0, v33
	s_and_saveexec_b64 s[24:25], vcc
	s_cbranch_execz .LBB15_39
.LBB15_47:                              ;   in Loop: Header=BB15_19 Depth=1
	v_cvt_f32_i32_e32 v3, v3
	s_waitcnt vmcnt(1)
	v_cvt_f32_f16_e32 v4, v7
	v_mov_b32_e32 v43, v39
	v_add_f32_e32 v2, v2, v3
	v_add_f32_e32 v2, v2, v4
	v_cvt_f16_f32_e32 v4, v2
	v_lshl_add_u64 v[2:3], v[42:43], 1, s[14:15]
	global_store_short v[2:3], v4, off
	s_or_b64 exec, exec, s[24:25]
	v_cmp_ne_u32_e32 vcc, 0, v34
	s_and_b64 exec, exec, vcc
	s_cbranch_execnz .LBB15_40
	s_branch .LBB15_41
.LBB15_48:
	s_endpgm
	.section	.rodata,"a",@progbits
	.p2align	6, 0x0
	.amdhsa_kernel _Z12wvSplitK_hf_I6__halfLi32ELi3ELi16ELi8ELi2ELi1EEviiiiiiPKT_S3_S3_PS1_ii
		.amdhsa_group_segment_fixed_size 65536
		.amdhsa_private_segment_fixed_size 0
		.amdhsa_kernarg_size 64
		.amdhsa_user_sgpr_count 2
		.amdhsa_user_sgpr_dispatch_ptr 0
		.amdhsa_user_sgpr_queue_ptr 0
		.amdhsa_user_sgpr_kernarg_segment_ptr 1
		.amdhsa_user_sgpr_dispatch_id 0
		.amdhsa_user_sgpr_kernarg_preload_length 0
		.amdhsa_user_sgpr_kernarg_preload_offset 0
		.amdhsa_user_sgpr_private_segment_size 0
		.amdhsa_uses_dynamic_stack 0
		.amdhsa_enable_private_segment 0
		.amdhsa_system_sgpr_workgroup_id_x 1
		.amdhsa_system_sgpr_workgroup_id_y 0
		.amdhsa_system_sgpr_workgroup_id_z 0
		.amdhsa_system_sgpr_workgroup_info 0
		.amdhsa_system_vgpr_workitem_id 1
		.amdhsa_next_free_vgpr 57
		.amdhsa_next_free_sgpr 38
		.amdhsa_accum_offset 60
		.amdhsa_reserve_vcc 1
		.amdhsa_float_round_mode_32 0
		.amdhsa_float_round_mode_16_64 0
		.amdhsa_float_denorm_mode_32 3
		.amdhsa_float_denorm_mode_16_64 3
		.amdhsa_dx10_clamp 1
		.amdhsa_ieee_mode 1
		.amdhsa_fp16_overflow 0
		.amdhsa_tg_split 0
		.amdhsa_exception_fp_ieee_invalid_op 0
		.amdhsa_exception_fp_denorm_src 0
		.amdhsa_exception_fp_ieee_div_zero 0
		.amdhsa_exception_fp_ieee_overflow 0
		.amdhsa_exception_fp_ieee_underflow 0
		.amdhsa_exception_fp_ieee_inexact 0
		.amdhsa_exception_int_div_zero 0
	.end_amdhsa_kernel
	.section	.text._Z12wvSplitK_hf_I6__halfLi32ELi3ELi16ELi8ELi2ELi1EEviiiiiiPKT_S3_S3_PS1_ii,"axG",@progbits,_Z12wvSplitK_hf_I6__halfLi32ELi3ELi16ELi8ELi2ELi1EEviiiiiiPKT_S3_S3_PS1_ii,comdat
.Lfunc_end15:
	.size	_Z12wvSplitK_hf_I6__halfLi32ELi3ELi16ELi8ELi2ELi1EEviiiiiiPKT_S3_S3_PS1_ii, .Lfunc_end15-_Z12wvSplitK_hf_I6__halfLi32ELi3ELi16ELi8ELi2ELi1EEviiiiiiPKT_S3_S3_PS1_ii
                                        ; -- End function
	.section	.AMDGPU.csdata,"",@progbits
; Kernel info:
; codeLenInByte = 2520
; NumSgprs: 44
; NumVgprs: 57
; NumAgprs: 0
; TotalNumVgprs: 57
; ScratchSize: 0
; MemoryBound: 1
; FloatMode: 240
; IeeeMode: 1
; LDSByteSize: 65536 bytes/workgroup (compile time only)
; SGPRBlocks: 5
; VGPRBlocks: 7
; NumSGPRsForWavesPerEU: 44
; NumVGPRsForWavesPerEU: 57
; AccumOffset: 60
; Occupancy: 2
; WaveLimiterHint : 0
; COMPUTE_PGM_RSRC2:SCRATCH_EN: 0
; COMPUTE_PGM_RSRC2:USER_SGPR: 2
; COMPUTE_PGM_RSRC2:TRAP_HANDLER: 0
; COMPUTE_PGM_RSRC2:TGID_X_EN: 1
; COMPUTE_PGM_RSRC2:TGID_Y_EN: 0
; COMPUTE_PGM_RSRC2:TGID_Z_EN: 0
; COMPUTE_PGM_RSRC2:TIDIG_COMP_CNT: 1
; COMPUTE_PGM_RSRC3_GFX90A:ACCUM_OFFSET: 14
; COMPUTE_PGM_RSRC3_GFX90A:TG_SPLIT: 0
	.section	.text._Z16wvSplitK_hf_big_I6__halfLi32ELi3ELi16ELi8ELi2ELi1EEviiiiiiPKT_S3_S3_PS1_ii,"axG",@progbits,_Z16wvSplitK_hf_big_I6__halfLi32ELi3ELi16ELi8ELi2ELi1EEviiiiiiPKT_S3_S3_PS1_ii,comdat
	.protected	_Z16wvSplitK_hf_big_I6__halfLi32ELi3ELi16ELi8ELi2ELi1EEviiiiiiPKT_S3_S3_PS1_ii ; -- Begin function _Z16wvSplitK_hf_big_I6__halfLi32ELi3ELi16ELi8ELi2ELi1EEviiiiiiPKT_S3_S3_PS1_ii
	.globl	_Z16wvSplitK_hf_big_I6__halfLi32ELi3ELi16ELi8ELi2ELi1EEviiiiiiPKT_S3_S3_PS1_ii
	.p2align	8
	.type	_Z16wvSplitK_hf_big_I6__halfLi32ELi3ELi16ELi8ELi2ELi1EEviiiiiiPKT_S3_S3_PS1_ii,@function
_Z16wvSplitK_hf_big_I6__halfLi32ELi3ELi16ELi8ELi2ELi1EEviiiiiiPKT_S3_S3_PS1_ii: ; @_Z16wvSplitK_hf_big_I6__halfLi32ELi3ELi16ELi8ELi2ELi1EEviiiiiiPKT_S3_S3_PS1_ii
; %bb.0:
	s_load_dwordx2 s[8:9], s[0:1], 0x38
	v_bfe_u32 v1, v0, 10, 10
	s_waitcnt lgkmcnt(0)
	v_cmp_gt_u32_e32 vcc, s8, v1
	s_and_saveexec_b64 s[4:5], vcc
	s_cbranch_execz .LBB16_46
; %bb.1:
	s_load_dwordx4 s[20:23], s[0:1], 0x0
	s_mul_i32 s2, s2, s8
	v_add_u32_e32 v2, s2, v1
	v_lshl_add_u32 v36, v2, 1, v2
	s_mov_b32 s4, 1
	v_add_u32_e32 v2, 3, v36
	s_mov_b32 s6, s4
	s_waitcnt lgkmcnt(0)
	v_cmp_gt_u32_e32 vcc, s23, v36
	v_cmp_le_u32_e64 s[2:3], s23, v2
	s_mov_b32 s5, s4
	v_mov_b32_e32 v34, s6
	s_and_b64 s[10:11], vcc, s[2:3]
	v_mov_b32_e32 v33, s5
	v_mov_b32_e32 v32, s4
	s_and_saveexec_b64 s[2:3], s[10:11]
	s_cbranch_execz .LBB16_7
; %bb.2:
	s_add_i32 s7, s23, -3
	v_mov_b32_e32 v34, s6
	v_cmp_ne_u32_e32 vcc, s7, v36
	v_mov_b32_e32 v33, s5
	v_mov_b32_e32 v32, s4
	s_and_saveexec_b64 s[10:11], vcc
	s_cbranch_execz .LBB16_6
; %bb.3:
	v_subrev_u32_e32 v2, s7, v36
	v_cmp_lt_u32_e32 vcc, 1, v2
	s_mov_b64 s[12:13], 0
	s_mov_b64 s[14:15], 0
	v_cndmask_b32_e32 v2, 1, v2, vcc
	s_mov_b32 s5, s4
	s_mov_b32 s6, s4
.LBB16_4:                               ; =>This Inner Loop Header: Depth=1
	s_cmp_lg_u32 s14, 2
	s_cselect_b32 s6, s6, 0
	s_cmp_lg_u32 s14, 1
	s_cselect_b32 s5, s5, 0
	;; [unrolled: 2-line block ×3, first 2 shown]
	s_add_u32 s14, s14, 1
	s_addc_u32 s15, s15, 0
	v_cmp_eq_u32_e32 vcc, s14, v2
	v_mov_b32_e32 v34, s6
	s_or_b64 s[12:13], vcc, s[12:13]
	v_mov_b32_e32 v33, s5
	v_mov_b32_e32 v32, s4
	s_andn2_b64 exec, exec, s[12:13]
	s_cbranch_execnz .LBB16_4
; %bb.5:
	s_or_b64 exec, exec, s[12:13]
	v_mov_b32_e32 v36, s7
.LBB16_6:
	s_or_b64 exec, exec, s[10:11]
.LBB16_7:
	s_or_b64 exec, exec, s[2:3]
	s_mul_i32 s43, s8, 3
	s_abs_i32 s2, s43
	v_cvt_f32_u32_e32 v2, s2
	s_sub_i32 s5, 0, s2
	s_abs_i32 s4, s23
	s_ashr_i32 s3, s23, 31
	v_rcp_iflag_f32_e32 v2, v2
	s_nop 0
	v_mul_f32_e32 v2, 0x4f7ffffe, v2
	v_cvt_u32_f32_e32 v2, v2
	s_nop 0
	v_readfirstlane_b32 s6, v2
	s_mul_i32 s5, s5, s6
	s_mul_hi_u32 s5, s6, s5
	s_add_i32 s6, s6, s5
	s_mul_hi_u32 s5, s4, s6
	s_mul_i32 s5, s5, s2
	s_sub_i32 s4, s4, s5
	s_sub_i32 s5, s4, s2
	s_cmp_ge_u32 s4, s2
	s_cselect_b32 s4, s5, s4
	s_sub_i32 s5, s4, s2
	s_cmp_ge_u32 s4, s2
	s_cselect_b32 s2, s5, s4
	s_xor_b32 s2, s2, s3
	s_sub_i32 s2, s2, s3
	s_add_i32 s3, s43, s23
	s_sub_i32 s3, s3, s2
	s_cmp_eq_u32 s2, 0
	s_cselect_b32 s33, s23, s3
	v_cmp_gt_u32_e32 vcc, s33, v36
	s_and_b64 exec, exec, vcc
	s_cbranch_execz .LBB16_46
; %bb.8:
	s_load_dwordx8 s[12:19], s[0:1], 0x18
	s_load_dword s38, s[0:1], 0x10
	s_min_u32 s39, s22, 0x8000
	s_cmp_lg_u32 s20, 0
	s_cselect_b64 s[2:3], -1, 0
	s_cmp_lg_u32 s22, 0
	s_waitcnt lgkmcnt(0)
	v_cvt_f32_u32_e32 v2, s38
	s_cselect_b64 s[4:5], -1, 0
	v_and_b32_e32 v0, 0x3ff, v0
	s_lshl_b32 s40, s8, 8
	v_rcp_iflag_f32_e32 v2, v2
	s_add_i32 s41, s20, -8
	s_add_i32 s42, s23, -1
	v_lshlrev_b32_e32 v35, 3, v0
	v_mul_f32_e32 v2, 0x4f7ffffe, v2
	v_cvt_u32_f32_e32 v2, v2
	v_cmp_eq_u32_e64 s[0:1], 31, v0
	s_cmp_lg_u64 s[16:17], 0
	v_lshlrev_b32_e32 v0, 4, v0
	s_mul_i32 s43, s43, s9
	s_cselect_b64 s[6:7], -1, 0
	s_sub_i32 s9, 0, s38
	v_lshl_add_u32 v47, v1, 9, v0
	v_cndmask_b32_e64 v0, 0, 1, s[2:3]
	s_add_i32 s44, s23, -3
	v_mul_lo_u32 v3, s9, v2
	v_cmp_ne_u32_e64 s[2:3], 1, v0
	v_cndmask_b32_e64 v0, 0, 1, s[4:5]
	v_mul_hi_u32 v3, v2, v3
	s_add_u32 s26, s18, 2
	v_cmp_ne_u32_e64 s[4:5], 1, v0
	v_cndmask_b32_e64 v0, 0, 1, s[6:7]
	s_mov_b64 s[24:25], 0
	v_add_u32_e32 v46, v2, v3
	v_mov_b32_e32 v39, 0
	s_addc_u32 s27, s19, 0
	s_lshl_b32 s45, s8, 9
	v_lshl_add_u32 v48, v1, 8, v35
	v_cmp_ne_u32_e64 s[6:7], 1, v0
	s_branch .LBB16_12
.LBB16_9:                               ;   in Loop: Header=BB16_12 Depth=1
	s_or_b64 exec, exec, s[30:31]
	v_mov_b32_e32 v36, s44
.LBB16_10:                              ;   in Loop: Header=BB16_12 Depth=1
	s_or_b64 exec, exec, s[28:29]
.LBB16_11:                              ;   in Loop: Header=BB16_12 Depth=1
	s_or_b64 exec, exec, s[10:11]
	v_cmp_le_u32_e32 vcc, s33, v36
	s_or_b64 s[24:25], vcc, s[24:25]
	s_andn2_b64 exec, exec, s[24:25]
	s_cbranch_execz .LBB16_46
.LBB16_12:                              ; =>This Loop Header: Depth=1
                                        ;     Child Loop BB16_17 Depth 2
                                        ;       Child Loop BB16_22 Depth 3
                                        ;     Child Loop BB16_42 Depth 2
	s_mov_b32 s34, 0
	s_and_b64 vcc, exec, s[2:3]
	v_mov_b32_e32 v50, v39
	v_mov_b32_e32 v49, v39
	;; [unrolled: 1-line block ×3, first 2 shown]
	s_cbranch_vccnz .LBB16_29
; %bb.13:                               ;   in Loop: Header=BB16_12 Depth=1
	v_min_u32_e32 v0, s42, v36
	v_mul_lo_u32 v38, v0, s21
	v_add_u32_e32 v0, 1, v36
	v_add_u32_e32 v2, 2, v36
	v_min_u32_e32 v0, s42, v0
	v_min_u32_e32 v2, s42, v2
	v_mul_lo_u32 v0, v0, s21
	v_mov_b32_e32 v1, v39
	v_mul_lo_u32 v2, v2, s21
	v_mov_b32_e32 v3, v39
	v_cmp_gt_u32_e64 s[8:9], s23, v36
	v_mov_b32_e32 v37, 0
	v_lshlrev_b64 v[40:41], 1, v[38:39]
	v_lshlrev_b64 v[42:43], 1, v[0:1]
	;; [unrolled: 1-line block ×3, first 2 shown]
	v_mov_b32_e32 v49, 0
	v_mov_b32_e32 v50, 0
	s_mov_b32 s35, 0
	s_branch .LBB16_17
.LBB16_14:                              ;   in Loop: Header=BB16_17 Depth=2
	s_or_b64 exec, exec, s[30:31]
.LBB16_15:                              ;   in Loop: Header=BB16_17 Depth=2
	s_or_b64 exec, exec, s[28:29]
	s_waitcnt vmcnt(5) lgkmcnt(0)
	;;#ASMSTART
	v_dot2c_f32_f16 v50, v24, v28
	;;#ASMEND
	s_waitcnt vmcnt(4)
	;;#ASMSTART
	v_dot2c_f32_f16 v49, v24, v20
	;;#ASMEND
	s_waitcnt vmcnt(3)
	;;#ASMSTART
	v_dot2c_f32_f16 v37, v24, v16
	;;#ASMEND
	;;#ASMSTART
	v_dot2c_f32_f16 v50, v25, v29
	;;#ASMEND
	;;#ASMSTART
	v_dot2c_f32_f16 v49, v25, v21
	;;#ASMEND
	s_nop 0
	;;#ASMSTART
	v_dot2c_f32_f16 v37, v25, v17
	;;#ASMEND
	;;#ASMSTART
	v_dot2c_f32_f16 v50, v26, v30
	;;#ASMEND
	;;#ASMSTART
	v_dot2c_f32_f16 v49, v26, v22
	;;#ASMEND
	s_nop 0
	;; [unrolled: 10-line block ×3, first 2 shown]
	;;#ASMSTART
	v_dot2c_f32_f16 v37, v27, v19
	;;#ASMEND
	s_waitcnt vmcnt(2)
	;;#ASMSTART
	v_dot2c_f32_f16 v50, v4, v12
	;;#ASMEND
	s_waitcnt vmcnt(1)
	;; [unrolled: 4-line block ×3, first 2 shown]
	;;#ASMSTART
	v_dot2c_f32_f16 v37, v4, v0
	;;#ASMEND
	;;#ASMSTART
	v_dot2c_f32_f16 v50, v5, v13
	;;#ASMEND
	;;#ASMSTART
	v_dot2c_f32_f16 v49, v5, v9
	;;#ASMEND
	s_nop 0
	;;#ASMSTART
	v_dot2c_f32_f16 v37, v5, v1
	;;#ASMEND
	;;#ASMSTART
	v_dot2c_f32_f16 v50, v6, v14
	;;#ASMEND
	;;#ASMSTART
	v_dot2c_f32_f16 v49, v6, v10
	;;#ASMEND
	s_nop 0
	;;#ASMSTART
	v_dot2c_f32_f16 v37, v6, v2
	;;#ASMEND
	;;#ASMSTART
	v_dot2c_f32_f16 v50, v7, v15
	;;#ASMEND
	;;#ASMSTART
	v_dot2c_f32_f16 v49, v7, v11
	;;#ASMEND
	s_nop 0
	;;#ASMSTART
	v_dot2c_f32_f16 v37, v7, v3
	;;#ASMEND
.LBB16_16:                              ;   in Loop: Header=BB16_17 Depth=2
	s_or_b64 exec, exec, s[10:11]
	s_addk_i32 s35, 0x200
	s_cmp_ge_u32 s35, s20
	s_cbranch_scc1 .LBB16_29
.LBB16_17:                              ;   Parent Loop BB16_12 Depth=1
                                        ; =>  This Loop Header: Depth=2
                                        ;       Child Loop BB16_22 Depth 3
	s_cmp_eq_u32 s35, 0
	s_cselect_b64 s[10:11], -1, 0
	s_add_i32 s28, s34, s39
	s_cmp_eq_u32 s35, s28
	s_cselect_b64 s[30:31], -1, 0
	s_or_b64 s[30:31], s[10:11], s[30:31]
	s_andn2_b64 vcc, exec, s[30:31]
	s_cbranch_vccz .LBB16_19
; %bb.18:                               ;   in Loop: Header=BB16_17 Depth=2
	s_and_saveexec_b64 s[10:11], s[8:9]
	s_cbranch_execz .LBB16_16
	s_branch .LBB16_26
.LBB16_19:                              ;   in Loop: Header=BB16_17 Depth=2
	s_and_b64 s[10:11], s[10:11], exec
	s_cselect_b32 s34, s34, s28
	s_and_b64 vcc, exec, s[4:5]
	s_barrier
	s_cbranch_vccnz .LBB16_25
; %bb.20:                               ;   in Loop: Header=BB16_17 Depth=2
	v_add_u32_e32 v0, s34, v48
	s_mov_b32 s36, 0
	s_mov_b64 s[28:29], 0
	v_mov_b32_e32 v1, v47
                                        ; implicit-def: $sgpr30_sgpr31
	s_branch .LBB16_22
.LBB16_21:                              ;   in Loop: Header=BB16_22 Depth=3
	s_or_b64 exec, exec, s[10:11]
	s_and_b64 s[10:11], exec, s[30:31]
	s_or_b64 s[28:29], s[10:11], s[28:29]
	s_andn2_b64 exec, exec, s[28:29]
	s_cbranch_execz .LBB16_24
.LBB16_22:                              ;   Parent Loop BB16_12 Depth=1
                                        ;     Parent Loop BB16_17 Depth=2
                                        ; =>    This Inner Loop Header: Depth=3
	v_add_u32_e32 v2, s36, v48
	v_add_u32_e32 v38, s36, v0
	v_cmp_gt_u32_e32 vcc, s22, v38
	v_cmp_gt_u32_e64 s[10:11], s39, v2
	s_and_b64 s[46:47], s[10:11], vcc
	s_or_b64 s[30:31], s[30:31], exec
	s_and_saveexec_b64 s[10:11], s[46:47]
	s_cbranch_execz .LBB16_21
; %bb.23:                               ;   in Loop: Header=BB16_22 Depth=3
	v_lshl_add_u64 v[2:3], v[38:39], 1, s[14:15]
	global_load_dwordx4 v[2:5], v[2:3], off
	s_add_i32 s36, s36, s40
	s_cmp_ge_u32 s36, s39
	s_cselect_b64 s[46:47], -1, 0
	s_andn2_b64 s[30:31], s[30:31], exec
	s_and_b64 s[46:47], s[46:47], exec
	s_or_b64 s[30:31], s[30:31], s[46:47]
	s_waitcnt vmcnt(0)
	ds_write_b128 v1, v[2:5]
	v_add_u32_e32 v1, s45, v1
	s_branch .LBB16_21
.LBB16_24:                              ;   in Loop: Header=BB16_17 Depth=2
	s_or_b64 exec, exec, s[28:29]
.LBB16_25:                              ;   in Loop: Header=BB16_17 Depth=2
	s_waitcnt lgkmcnt(0)
	s_barrier
	s_and_saveexec_b64 s[10:11], s[8:9]
	s_cbranch_execz .LBB16_16
.LBB16_26:                              ;   in Loop: Header=BB16_17 Depth=2
	v_add_u32_e32 v51, s35, v35
	v_min_u32_e32 v38, s41, v51
	v_lshl_add_u64 v[0:1], v[38:39], 1, s[12:13]
	v_add_u32_e32 v52, 0x100, v51
	v_lshl_add_u64 v[2:3], v[0:1], 0, v[40:41]
	v_min_u32_e32 v38, s41, v52
	v_lshl_add_u64 v[4:5], v[0:1], 0, v[42:43]
	global_load_dwordx4 v[28:31], v[2:3], off nt
	global_load_dwordx4 v[20:23], v[4:5], off nt
	v_lshl_add_u64 v[2:3], v[38:39], 1, s[12:13]
	v_lshl_add_u64 v[0:1], v[0:1], 0, v[44:45]
	;; [unrolled: 1-line block ×3, first 2 shown]
	global_load_dwordx4 v[16:19], v[0:1], off nt
	global_load_dwordx4 v[12:15], v[4:5], off nt
	v_lshl_add_u64 v[4:5], v[2:3], 0, v[42:43]
	s_waitcnt vmcnt(4)
	v_lshl_add_u64 v[6:7], v[2:3], 0, v[44:45]
	global_load_dwordx4 v[8:11], v[4:5], off nt
	global_load_dwordx4 v[0:3], v[6:7], off nt
	v_cmp_gt_u32_e32 vcc, s20, v51
	v_mov_b32_e32 v26, 0
	v_mov_b32_e32 v27, 0
	;; [unrolled: 1-line block ×8, first 2 shown]
	s_and_saveexec_b64 s[28:29], vcc
	s_cbranch_execz .LBB16_15
; %bb.27:                               ;   in Loop: Header=BB16_17 Depth=2
	v_subrev_u32_e32 v4, s34, v51
	v_lshlrev_b32_e32 v38, 1, v4
	ds_read_b128 v[24:27], v38
	v_cmp_gt_u32_e32 vcc, s20, v52
	v_mov_b32_e32 v7, 0
	v_mov_b32_e32 v6, 0
	;; [unrolled: 1-line block ×4, first 2 shown]
	s_and_saveexec_b64 s[30:31], vcc
	s_cbranch_execz .LBB16_14
; %bb.28:                               ;   in Loop: Header=BB16_17 Depth=2
	ds_read_b128 v[4:7], v38 offset:512
	s_branch .LBB16_14
.LBB16_29:                              ;   in Loop: Header=BB16_12 Depth=1
	v_cmp_le_u32_e32 vcc, s23, v36
	s_and_saveexec_b64 s[8:9], vcc
	s_xor_b64 s[8:9], exec, s[8:9]
; %bb.30:                               ;   in Loop: Header=BB16_12 Depth=1
	v_add_u32_e32 v36, s43, v36
                                        ; implicit-def: $vgpr50
                                        ; implicit-def: $vgpr49
                                        ; implicit-def: $vgpr37
; %bb.31:                               ;   in Loop: Header=BB16_12 Depth=1
	s_andn2_saveexec_b64 s[10:11], s[8:9]
	s_cbranch_execz .LBB16_11
; %bb.32:                               ;   in Loop: Header=BB16_12 Depth=1
	v_cvt_i32_f32_e32 v0, v50
	v_cvt_i32_f32_e32 v1, v49
	v_cvt_i32_f32_e32 v2, v37
	v_cvt_f32_i32_dpp v0, v0 row_shr:8 row_mask:0xf bank_mask:0xf bound_ctrl:1
	v_cvt_f32_i32_dpp v1, v1 row_shr:8 row_mask:0xf bank_mask:0xf bound_ctrl:1
	v_cvt_f32_i32_dpp v2, v2 row_shr:8 row_mask:0xf bank_mask:0xf bound_ctrl:1
	v_add_f32_e32 v0, v50, v0
	v_add_f32_e32 v1, v49, v1
	v_add_f32_e32 v2, v37, v2
	v_cvt_i32_f32_e32 v3, v0
	v_cvt_i32_f32_e32 v4, v1
	v_cvt_i32_f32_e32 v5, v2
	v_cvt_f32_i32_dpp v3, v3 row_shr:4 row_mask:0xf bank_mask:0xf bound_ctrl:1
	v_cvt_f32_i32_dpp v4, v4 row_shr:4 row_mask:0xf bank_mask:0xf bound_ctrl:1
	v_cvt_f32_i32_dpp v5, v5 row_shr:4 row_mask:0xf bank_mask:0xf bound_ctrl:1
	v_add_f32_e32 v0, v0, v3
	v_add_f32_e32 v1, v1, v4
	v_add_f32_e32 v2, v2, v5
	v_cvt_i32_f32_e32 v3, v0
	v_cvt_i32_f32_e32 v4, v1
	v_cvt_i32_f32_e32 v5, v2
	v_cvt_f32_i32_dpp v3, v3 row_shr:2 row_mask:0xf bank_mask:0xf bound_ctrl:1
	v_cvt_f32_i32_dpp v4, v4 row_shr:2 row_mask:0xf bank_mask:0xf bound_ctrl:1
	v_cvt_f32_i32_dpp v5, v5 row_shr:2 row_mask:0xf bank_mask:0xf bound_ctrl:1
	v_add_f32_e32 v0, v0, v3
	v_add_f32_e32 v1, v1, v4
	v_add_f32_e32 v2, v2, v5
	v_cvt_i32_f32_e32 v3, v0
	v_cvt_i32_f32_e32 v4, v1
	v_cvt_i32_f32_e32 v5, v2
	v_cvt_f32_i32_dpp v3, v3 row_shr:1 row_mask:0xf bank_mask:0xf bound_ctrl:1
	v_cvt_f32_i32_dpp v4, v4 row_shr:1 row_mask:0xf bank_mask:0xf bound_ctrl:1
	v_cvt_f32_i32_dpp v5, v5 row_shr:1 row_mask:0xf bank_mask:0xf bound_ctrl:1
	v_add_f32_e32 v0, v0, v3
	v_add_f32_e32 v1, v1, v4
	v_add_f32_e32 v2, v2, v5
	v_cvt_i32_f32_e32 v3, v0
	v_cvt_i32_f32_e32 v4, v1
	;; [unrolled: 1-line block ×3, first 2 shown]
	v_cvt_f32_i32_dpp v3, v3 row_bcast:15 row_mask:0xf bank_mask:0xf bound_ctrl:1
	v_cvt_f32_i32_dpp v4, v4 row_bcast:15 row_mask:0xf bank_mask:0xf bound_ctrl:1
	;; [unrolled: 1-line block ×3, first 2 shown]
	v_add_f32_e32 v5, v0, v3
	v_add_f32_e32 v3, v1, v4
	;; [unrolled: 1-line block ×3, first 2 shown]
	v_cvt_i32_f32_e32 v0, v5
	v_cvt_i32_f32_e32 v2, v3
	s_waitcnt vmcnt(0)
	v_cvt_i32_f32_e32 v7, v1
	v_mov_b32_dpp v6, v0 row_bcast:31 row_mask:0xf bank_mask:0xf bound_ctrl:1
	v_mov_b32_dpp v4, v2 row_bcast:31 row_mask:0xf bank_mask:0xf bound_ctrl:1
	;; [unrolled: 1-line block ×3, first 2 shown]
	s_and_saveexec_b64 s[8:9], s[0:1]
	s_cbranch_execz .LBB16_39
; %bb.33:                               ;   in Loop: Header=BB16_12 Depth=1
	s_and_b64 vcc, exec, s[6:7]
	v_mov_b32_e32 v9, 0
	v_add_u32_e32 v0, 2, v36
	v_mov_b32_e32 v8, 0
	v_mov_b32_e32 v7, 0
	s_cbranch_vccnz .LBB16_35
; %bb.34:                               ;   in Loop: Header=BB16_12 Depth=1
	v_mul_hi_u32 v7, v36, v46
	v_mul_lo_u32 v7, v7, s38
	v_sub_u32_e32 v7, v36, v7
	v_subrev_u32_e32 v8, s38, v7
	v_cmp_le_u32_e32 vcc, s38, v7
	s_nop 1
	v_cndmask_b32_e32 v7, v7, v8, vcc
	v_subrev_u32_e32 v8, s38, v7
	v_cmp_le_u32_e32 vcc, s38, v7
	s_nop 1
	v_cndmask_b32_e32 v38, v7, v8, vcc
	v_add_u32_e32 v7, 1, v36
	v_mul_hi_u32 v8, v7, v46
	v_mul_lo_u32 v8, v8, s38
	v_sub_u32_e32 v7, v7, v8
	v_subrev_u32_e32 v8, s38, v7
	v_cmp_le_u32_e32 vcc, s38, v7
	v_lshl_add_u64 v[10:11], v[38:39], 1, s[16:17]
	s_nop 0
	v_cndmask_b32_e32 v7, v7, v8, vcc
	v_subrev_u32_e32 v8, s38, v7
	v_cmp_le_u32_e32 vcc, s38, v7
	s_nop 1
	v_cndmask_b32_e32 v38, v7, v8, vcc
	v_mul_hi_u32 v7, v0, v46
	v_mul_lo_u32 v7, v7, s38
	v_sub_u32_e32 v7, v0, v7
	v_subrev_u32_e32 v8, s38, v7
	v_cmp_le_u32_e32 vcc, s38, v7
	v_lshl_add_u64 v[12:13], v[38:39], 1, s[16:17]
	s_nop 0
	v_cndmask_b32_e32 v7, v7, v8, vcc
	v_subrev_u32_e32 v8, s38, v7
	v_cmp_le_u32_e32 vcc, s38, v7
	s_nop 1
	v_cndmask_b32_e32 v38, v7, v8, vcc
	v_lshl_add_u64 v[14:15], v[38:39], 1, s[16:17]
	global_load_ushort v9, v[10:11], off
	global_load_ushort v8, v[12:13], off
	;; [unrolled: 1-line block ×3, first 2 shown]
.LBB16_35:                              ;   in Loop: Header=BB16_12 Depth=1
	v_cmp_ne_u32_e32 vcc, 0, v32
	s_and_saveexec_b64 s[28:29], vcc
	s_cbranch_execnz .LBB16_44
; %bb.36:                               ;   in Loop: Header=BB16_12 Depth=1
	s_or_b64 exec, exec, s[28:29]
	v_cmp_ne_u32_e32 vcc, 0, v33
	s_and_saveexec_b64 s[28:29], vcc
	s_cbranch_execnz .LBB16_45
.LBB16_37:                              ;   in Loop: Header=BB16_12 Depth=1
	s_or_b64 exec, exec, s[28:29]
	v_cmp_ne_u32_e32 vcc, 0, v34
	s_and_b64 exec, exec, vcc
	s_cbranch_execz .LBB16_39
.LBB16_38:                              ;   in Loop: Header=BB16_12 Depth=1
	v_cvt_f32_i32_e32 v2, v2
	s_waitcnt vmcnt(0)
	v_cvt_f32_f16_e32 v3, v7
	v_add_f32_e32 v1, v1, v2
	v_add_f32_e32 v1, v1, v3
	v_cvt_f16_f32_e32 v2, v1
	v_mov_b32_e32 v1, v39
	v_lshl_add_u64 v[0:1], v[0:1], 1, s[18:19]
	global_store_short v[0:1], v2, off
.LBB16_39:                              ;   in Loop: Header=BB16_12 Depth=1
	s_or_b64 exec, exec, s[8:9]
	v_add_u32_e32 v36, s43, v36
	v_add_u32_e32 v0, 3, v36
	v_cmp_gt_u32_e32 vcc, s23, v36
	v_cmp_le_u32_e64 s[8:9], s23, v0
	s_and_b64 s[8:9], vcc, s[8:9]
	s_and_saveexec_b64 s[28:29], s[8:9]
	s_cbranch_execz .LBB16_10
; %bb.40:                               ;   in Loop: Header=BB16_12 Depth=1
	v_cmp_ne_u32_e32 vcc, s44, v36
	s_and_saveexec_b64 s[30:31], vcc
	s_cbranch_execz .LBB16_9
; %bb.41:                               ;   in Loop: Header=BB16_12 Depth=1
	v_subrev_u32_e32 v0, s44, v36
	v_cmp_lt_u32_e32 vcc, 1, v0
	s_mov_b64 s[34:35], 0
	s_mov_b64 s[36:37], 0
	v_cndmask_b32_e32 v0, 1, v0, vcc
.LBB16_42:                              ;   Parent Loop BB16_12 Depth=1
                                        ; =>  This Inner Loop Header: Depth=2
	s_cmp_lg_u32 s36, 2
	s_cselect_b64 vcc, -1, 0
	s_cmp_lg_u32 s36, 1
	v_cndmask_b32_e32 v34, 0, v34, vcc
	s_cselect_b64 vcc, -1, 0
	s_cmp_lg_u32 s36, 0
	v_cndmask_b32_e32 v33, 0, v33, vcc
	s_cselect_b64 vcc, -1, 0
	s_add_u32 s36, s36, 1
	s_addc_u32 s37, s37, 0
	v_cmp_eq_u32_e64 s[8:9], s36, v0
	s_or_b64 s[34:35], s[8:9], s[34:35]
	v_cndmask_b32_e32 v32, 0, v32, vcc
	s_andn2_b64 exec, exec, s[34:35]
	s_cbranch_execnz .LBB16_42
; %bb.43:                               ;   in Loop: Header=BB16_12 Depth=1
	s_or_b64 exec, exec, s[34:35]
	s_branch .LBB16_9
.LBB16_44:                              ;   in Loop: Header=BB16_12 Depth=1
	v_cvt_f32_i32_e32 v6, v6
	s_waitcnt vmcnt(2)
	v_cvt_f32_f16_e32 v9, v9
	v_mov_b32_e32 v37, v39
	v_lshl_add_u64 v[10:11], v[36:37], 1, s[18:19]
	v_add_f32_e32 v5, v5, v6
	v_add_f32_e32 v5, v5, v9
	v_cvt_f16_f32_e32 v5, v5
	global_store_short v[10:11], v5, off
	s_or_b64 exec, exec, s[28:29]
	v_cmp_ne_u32_e32 vcc, 0, v33
	s_and_saveexec_b64 s[28:29], vcc
	s_cbranch_execz .LBB16_37
.LBB16_45:                              ;   in Loop: Header=BB16_12 Depth=1
	v_cvt_f32_i32_e32 v4, v4
	s_waitcnt vmcnt(1)
	v_cvt_f32_f16_e32 v5, v8
	v_mov_b32_e32 v37, v39
	v_add_f32_e32 v3, v3, v4
	v_add_f32_e32 v3, v3, v5
	v_cvt_f16_f32_e32 v3, v3
	v_lshl_add_u64 v[4:5], v[36:37], 1, s[26:27]
	global_store_short v[4:5], v3, off
	s_or_b64 exec, exec, s[28:29]
	v_cmp_ne_u32_e32 vcc, 0, v34
	s_and_b64 exec, exec, vcc
	s_cbranch_execnz .LBB16_38
	s_branch .LBB16_39
.LBB16_46:
	s_endpgm
	.section	.rodata,"a",@progbits
	.p2align	6, 0x0
	.amdhsa_kernel _Z16wvSplitK_hf_big_I6__halfLi32ELi3ELi16ELi8ELi2ELi1EEviiiiiiPKT_S3_S3_PS1_ii
		.amdhsa_group_segment_fixed_size 65536
		.amdhsa_private_segment_fixed_size 0
		.amdhsa_kernarg_size 64
		.amdhsa_user_sgpr_count 2
		.amdhsa_user_sgpr_dispatch_ptr 0
		.amdhsa_user_sgpr_queue_ptr 0
		.amdhsa_user_sgpr_kernarg_segment_ptr 1
		.amdhsa_user_sgpr_dispatch_id 0
		.amdhsa_user_sgpr_kernarg_preload_length 0
		.amdhsa_user_sgpr_kernarg_preload_offset 0
		.amdhsa_user_sgpr_private_segment_size 0
		.amdhsa_uses_dynamic_stack 0
		.amdhsa_enable_private_segment 0
		.amdhsa_system_sgpr_workgroup_id_x 1
		.amdhsa_system_sgpr_workgroup_id_y 0
		.amdhsa_system_sgpr_workgroup_id_z 0
		.amdhsa_system_sgpr_workgroup_info 0
		.amdhsa_system_vgpr_workitem_id 1
		.amdhsa_next_free_vgpr 53
		.amdhsa_next_free_sgpr 48
		.amdhsa_accum_offset 56
		.amdhsa_reserve_vcc 1
		.amdhsa_float_round_mode_32 0
		.amdhsa_float_round_mode_16_64 0
		.amdhsa_float_denorm_mode_32 3
		.amdhsa_float_denorm_mode_16_64 3
		.amdhsa_dx10_clamp 1
		.amdhsa_ieee_mode 1
		.amdhsa_fp16_overflow 0
		.amdhsa_tg_split 0
		.amdhsa_exception_fp_ieee_invalid_op 0
		.amdhsa_exception_fp_denorm_src 0
		.amdhsa_exception_fp_ieee_div_zero 0
		.amdhsa_exception_fp_ieee_overflow 0
		.amdhsa_exception_fp_ieee_underflow 0
		.amdhsa_exception_fp_ieee_inexact 0
		.amdhsa_exception_int_div_zero 0
	.end_amdhsa_kernel
	.section	.text._Z16wvSplitK_hf_big_I6__halfLi32ELi3ELi16ELi8ELi2ELi1EEviiiiiiPKT_S3_S3_PS1_ii,"axG",@progbits,_Z16wvSplitK_hf_big_I6__halfLi32ELi3ELi16ELi8ELi2ELi1EEviiiiiiPKT_S3_S3_PS1_ii,comdat
.Lfunc_end16:
	.size	_Z16wvSplitK_hf_big_I6__halfLi32ELi3ELi16ELi8ELi2ELi1EEviiiiiiPKT_S3_S3_PS1_ii, .Lfunc_end16-_Z16wvSplitK_hf_big_I6__halfLi32ELi3ELi16ELi8ELi2ELi1EEviiiiiiPKT_S3_S3_PS1_ii
                                        ; -- End function
	.section	.AMDGPU.csdata,"",@progbits
; Kernel info:
; codeLenInByte = 2388
; NumSgprs: 54
; NumVgprs: 53
; NumAgprs: 0
; TotalNumVgprs: 53
; ScratchSize: 0
; MemoryBound: 0
; FloatMode: 240
; IeeeMode: 1
; LDSByteSize: 65536 bytes/workgroup (compile time only)
; SGPRBlocks: 6
; VGPRBlocks: 6
; NumSGPRsForWavesPerEU: 54
; NumVGPRsForWavesPerEU: 53
; AccumOffset: 56
; Occupancy: 2
; WaveLimiterHint : 0
; COMPUTE_PGM_RSRC2:SCRATCH_EN: 0
; COMPUTE_PGM_RSRC2:USER_SGPR: 2
; COMPUTE_PGM_RSRC2:TRAP_HANDLER: 0
; COMPUTE_PGM_RSRC2:TGID_X_EN: 1
; COMPUTE_PGM_RSRC2:TGID_Y_EN: 0
; COMPUTE_PGM_RSRC2:TGID_Z_EN: 0
; COMPUTE_PGM_RSRC2:TIDIG_COMP_CNT: 1
; COMPUTE_PGM_RSRC3_GFX90A:ACCUM_OFFSET: 13
; COMPUTE_PGM_RSRC3_GFX90A:TG_SPLIT: 0
	.section	.text._Z16wvSplitK_hf_sml_I6__halfLi32ELi4ELi16ELi8ELi1ELi1EEviiiiiiPKT_S3_S3_PS1_ii,"axG",@progbits,_Z16wvSplitK_hf_sml_I6__halfLi32ELi4ELi16ELi8ELi1ELi1EEviiiiiiPKT_S3_S3_PS1_ii,comdat
	.protected	_Z16wvSplitK_hf_sml_I6__halfLi32ELi4ELi16ELi8ELi1ELi1EEviiiiiiPKT_S3_S3_PS1_ii ; -- Begin function _Z16wvSplitK_hf_sml_I6__halfLi32ELi4ELi16ELi8ELi1ELi1EEviiiiiiPKT_S3_S3_PS1_ii
	.globl	_Z16wvSplitK_hf_sml_I6__halfLi32ELi4ELi16ELi8ELi1ELi1EEviiiiiiPKT_S3_S3_PS1_ii
	.p2align	8
	.type	_Z16wvSplitK_hf_sml_I6__halfLi32ELi4ELi16ELi8ELi1ELi1EEviiiiiiPKT_S3_S3_PS1_ii,@function
_Z16wvSplitK_hf_sml_I6__halfLi32ELi4ELi16ELi8ELi1ELi1EEviiiiiiPKT_S3_S3_PS1_ii: ; @_Z16wvSplitK_hf_sml_I6__halfLi32ELi4ELi16ELi8ELi1ELi1EEviiiiiiPKT_S3_S3_PS1_ii
; %bb.0:
	s_load_dwordx4 s[4:7], s[0:1], 0x0
	v_and_b32_e32 v4, 0x3ff, v0
	v_bfe_u32 v5, v0, 10, 10
	v_lshlrev_b32_e32 v38, 3, v4
	v_lshl_add_u32 v6, v5, 8, v38
	s_waitcnt lgkmcnt(0)
	s_min_u32 s3, s6, 0x8000
	v_cmp_gt_u32_e32 vcc, s3, v6
	s_and_saveexec_b64 s[8:9], vcc
	s_cbranch_execz .LBB17_9
; %bb.1:
	s_load_dwordx2 s[10:11], s[0:1], 0x20
	v_lshlrev_b32_e32 v0, 1, v6
	v_add_u32_e32 v1, 0x1000, v6
	v_cmp_gt_u32_e32 vcc, s3, v1
	s_waitcnt lgkmcnt(0)
	global_load_dwordx4 v[8:11], v0, s[10:11]
	s_waitcnt vmcnt(0)
	ds_write_b128 v0, v[8:11]
	s_and_saveexec_b64 s[12:13], vcc
	s_xor_b64 s[12:13], exec, s[12:13]
	s_cbranch_execz .LBB17_9
; %bb.2:
	v_mov_b32_e32 v1, 0
	v_lshl_add_u64 v[2:3], s[10:11], 0, v[0:1]
	v_add_co_u32_e32 v8, vcc, 0x2000, v2
	v_add_u32_e32 v1, 0x2000, v6
	s_nop 0
	v_addc_co_u32_e32 v9, vcc, 0, v3, vcc
	global_load_dwordx4 v[8:11], v[8:9], off
	v_cmp_gt_u32_e32 vcc, s3, v1
	s_waitcnt vmcnt(0)
	ds_write_b128 v0, v[8:11] offset:8192
	s_and_saveexec_b64 s[10:11], vcc
	s_xor_b64 s[10:11], exec, s[10:11]
	s_cbranch_execz .LBB17_9
; %bb.3:
	v_add_co_u32_e32 v8, vcc, 0x4000, v2
	v_add_u32_e32 v1, 0x3000, v6
	s_nop 0
	v_addc_co_u32_e32 v9, vcc, 0, v3, vcc
	global_load_dwordx4 v[8:11], v[8:9], off
	v_cmp_gt_u32_e32 vcc, s3, v1
	s_waitcnt vmcnt(0)
	ds_write_b128 v0, v[8:11] offset:16384
	s_and_saveexec_b64 s[10:11], vcc
	s_xor_b64 s[10:11], exec, s[10:11]
	s_cbranch_execz .LBB17_9
; %bb.4:
	v_add_co_u32_e32 v8, vcc, 0x6000, v2
	v_add_u32_e32 v1, 0x4000, v6
	s_nop 0
	v_addc_co_u32_e32 v9, vcc, 0, v3, vcc
	global_load_dwordx4 v[8:11], v[8:9], off
	v_cmp_gt_u32_e32 vcc, s3, v1
	s_waitcnt vmcnt(0)
	ds_write_b128 v0, v[8:11] offset:24576
	s_and_saveexec_b64 s[10:11], vcc
	s_xor_b64 s[10:11], exec, s[10:11]
	s_cbranch_execz .LBB17_9
; %bb.5:
	v_add_co_u32_e32 v8, vcc, 0x8000, v2
	v_add_u32_e32 v1, 0x5000, v6
	s_nop 0
	v_addc_co_u32_e32 v9, vcc, 0, v3, vcc
	global_load_dwordx4 v[8:11], v[8:9], off
	v_cmp_gt_u32_e32 vcc, s3, v1
	s_waitcnt vmcnt(0)
	ds_write_b128 v0, v[8:11] offset:32768
	s_and_saveexec_b64 s[10:11], vcc
	s_xor_b64 s[10:11], exec, s[10:11]
	s_cbranch_execz .LBB17_9
; %bb.6:
	v_add_co_u32_e32 v8, vcc, 0xa000, v2
	v_add_u32_e32 v1, 0x6000, v6
	s_nop 0
	v_addc_co_u32_e32 v9, vcc, 0, v3, vcc
	global_load_dwordx4 v[8:11], v[8:9], off
	v_cmp_gt_u32_e32 vcc, s3, v1
	s_waitcnt vmcnt(0)
	ds_write_b128 v0, v[8:11] offset:40960
	s_and_saveexec_b64 s[10:11], vcc
	s_xor_b64 s[10:11], exec, s[10:11]
	s_cbranch_execz .LBB17_9
; %bb.7:
	v_add_co_u32_e32 v8, vcc, 0xc000, v2
	v_add_u32_e32 v1, 0x7000, v6
	s_nop 0
	v_addc_co_u32_e32 v9, vcc, 0, v3, vcc
	global_load_dwordx4 v[8:11], v[8:9], off
	v_cmp_gt_u32_e32 vcc, s3, v1
	s_waitcnt vmcnt(0)
	ds_write_b128 v0, v[8:11] offset:49152
	s_and_saveexec_b64 s[10:11], vcc
	s_xor_b64 s[10:11], exec, s[10:11]
	s_cbranch_execz .LBB17_9
; %bb.8:
	v_add_co_u32_e32 v2, vcc, 0xe000, v2
	s_nop 1
	v_addc_co_u32_e32 v3, vcc, 0, v3, vcc
	global_load_dwordx4 v[6:9], v[2:3], off
	s_waitcnt vmcnt(0)
	ds_write_b128 v0, v[6:9] offset:57344
.LBB17_9:
	s_or_b64 exec, exec, s[8:9]
	s_load_dwordx2 s[14:15], s[0:1], 0x38
	s_waitcnt lgkmcnt(0)
	s_barrier
	v_cmp_gt_u32_e32 vcc, s14, v5
	s_and_saveexec_b64 s[8:9], vcc
	s_cbranch_execz .LBB17_24
; %bb.10:
	s_load_dword s6, s[0:1], 0x10
	s_mul_i32 s2, s2, s14
	v_add_lshl_u32 v20, s2, v5, 2
	v_cmp_gt_u32_e32 vcc, s7, v20
	s_and_b64 exec, exec, vcc
	s_cbranch_execz .LBB17_24
; %bb.11:
	s_waitcnt lgkmcnt(0)
	v_cvt_f32_u32_e32 v0, s6
	s_load_dwordx4 s[8:11], s[0:1], 0x28
	s_load_dwordx2 s[12:13], s[0:1], 0x18
	s_cmp_lg_u32 s4, 0
	s_cselect_b64 s[2:3], -1, 0
	v_rcp_iflag_f32_e32 v0, v0
	s_add_i32 s22, s4, -8
	s_add_i32 s23, s7, -1
	s_mul_i32 s18, s14, s15
	v_mul_f32_e32 v0, 0x4f7ffffe, v0
	v_cvt_u32_f32_e32 v0, v0
	s_waitcnt lgkmcnt(0)
	s_cmp_lg_u64 s[8:9], 0
	s_cselect_b64 s[16:17], -1, 0
	s_lshl_b32 s24, s18, 2
	s_sub_i32 s18, 0, s6
	v_mul_lo_u32 v1, s18, v0
	v_mul_hi_u32 v1, v0, v1
	v_add_u32_e32 v39, v0, v1
	v_cndmask_b32_e64 v0, 0, 1, s[2:3]
	v_cmp_eq_u32_e64 s[0:1], 31, v4
	s_mov_b64 s[14:15], 0
	v_mov_b32_e32 v23, 0
	v_lshlrev_b32_e32 v40, 4, v4
	v_cmp_ne_u32_e64 s[2:3], 1, v0
	s_branch .LBB17_14
.LBB17_12:                              ;   in Loop: Header=BB17_14 Depth=1
	v_cvt_f32_i32_e32 v7, v7
	s_waitcnt vmcnt(3)
	v_cvt_f32_f16_e32 v11, v11
	v_cvt_f32_i32_e32 v6, v6
	v_cvt_f32_i32_e32 v5, v5
	v_add_f32_e32 v0, v0, v7
	v_cvt_f32_i32_e32 v4, v4
	v_add_f32_e32 v0, v0, v11
	v_add_f32_e32 v2, v2, v6
	;; [unrolled: 1-line block ×3, first 2 shown]
	v_cvt_f16_f32_e32 v5, v0
	s_waitcnt vmcnt(2)
	v_cvt_f32_f16_e32 v6, v10
	v_add_f32_e32 v4, v1, v4
	v_lshl_add_u64 v[0:1], v[20:21], 1, s[10:11]
	global_store_short v[0:1], v5, off
	v_add_f32_e32 v0, v2, v6
	v_cvt_f16_f32_e32 v2, v0
	s_waitcnt vmcnt(2)
	v_cvt_f32_f16_e32 v5, v9
	s_waitcnt vmcnt(1)
	v_cvt_f32_f16_e32 v6, v8
	v_lshl_add_u64 v[0:1], v[28:29], 1, s[10:11]
	global_store_short v[0:1], v2, off
	v_add_f32_e32 v0, v3, v5
	v_cvt_f16_f32_e32 v2, v0
	v_add_f32_e32 v0, v4, v6
	v_cvt_f16_f32_e32 v3, v0
	v_lshl_add_u64 v[0:1], v[26:27], 1, s[10:11]
	global_store_short v[0:1], v2, off
	v_lshl_add_u64 v[0:1], v[24:25], 1, s[10:11]
	global_store_short v[0:1], v3, off
.LBB17_13:                              ;   in Loop: Header=BB17_14 Depth=1
	s_or_b64 exec, exec, s[18:19]
	v_add_u32_e32 v20, s24, v20
	v_cmp_le_u32_e32 vcc, s7, v20
	s_or_b64 s[14:15], vcc, s[14:15]
	s_andn2_b64 exec, exec, s[14:15]
	s_cbranch_execz .LBB17_24
.LBB17_14:                              ; =>This Loop Header: Depth=1
                                        ;     Child Loop BB17_17 Depth 2
	s_mov_b32 s20, 0
	s_and_b64 vcc, exec, s[2:3]
	v_or_b32_e32 v28, 1, v20
	v_or_b32_e32 v26, 2, v20
	;; [unrolled: 1-line block ×3, first 2 shown]
	v_mov_b32_e32 v29, v23
	v_mov_b32_e32 v27, v23
	;; [unrolled: 1-line block ×4, first 2 shown]
	s_cbranch_vccnz .LBB17_19
; %bb.15:                               ;   in Loop: Header=BB17_14 Depth=1
	v_min_u32_e32 v0, s23, v20
	v_mul_lo_u32 v30, v0, s5
	v_min_u32_e32 v0, s23, v28
	v_mul_lo_u32 v32, v0, s5
	;; [unrolled: 2-line block ×3, first 2 shown]
	v_min_u32_e32 v0, s23, v24
	v_mov_b32_e32 v31, v23
	v_mov_b32_e32 v33, v23
	;; [unrolled: 1-line block ×3, first 2 shown]
	v_mul_lo_u32 v36, v0, s5
	v_mov_b32_e32 v37, v23
	v_mov_b32_e32 v21, 0
	;; [unrolled: 1-line block ×6, first 2 shown]
	s_branch .LBB17_17
.LBB17_16:                              ;   in Loop: Header=BB17_17 Depth=2
	s_or_b64 exec, exec, s[18:19]
	s_waitcnt vmcnt(3) lgkmcnt(0)
	;;#ASMSTART
	v_dot2c_f32_f16 v29, v4, v16
	;;#ASMEND
	s_waitcnt vmcnt(2)
	;;#ASMSTART
	v_dot2c_f32_f16 v27, v4, v12
	;;#ASMEND
	s_waitcnt vmcnt(1)
	;; [unrolled: 4-line block ×3, first 2 shown]
	;;#ASMSTART
	v_dot2c_f32_f16 v21, v4, v0
	;;#ASMEND
	s_addk_i32 s20, 0x100
	;;#ASMSTART
	v_dot2c_f32_f16 v29, v5, v17
	;;#ASMEND
	;;#ASMSTART
	v_dot2c_f32_f16 v27, v5, v13
	;;#ASMEND
	;; [unrolled: 3-line block ×4, first 2 shown]
	s_cmp_ge_u32 s20, s4
	;;#ASMSTART
	v_dot2c_f32_f16 v29, v6, v18
	;;#ASMEND
	;;#ASMSTART
	v_dot2c_f32_f16 v27, v6, v14
	;;#ASMEND
	;; [unrolled: 3-line block ×4, first 2 shown]
	v_add_u32_e32 v41, 0x200, v41
	;;#ASMSTART
	v_dot2c_f32_f16 v29, v7, v19
	;;#ASMEND
	;;#ASMSTART
	v_dot2c_f32_f16 v27, v7, v15
	;;#ASMEND
	;; [unrolled: 3-line block ×4, first 2 shown]
	s_cbranch_scc1 .LBB17_19
.LBB17_17:                              ;   Parent Loop BB17_14 Depth=1
                                        ; =>  This Inner Loop Header: Depth=2
	v_add_u32_e32 v42, s20, v38
	v_min_u32_e32 v22, s22, v42
	v_lshl_add_u64 v[0:1], v[22:23], 1, s[12:13]
	v_lshl_add_u64 v[2:3], v[30:31], 1, v[0:1]
	;; [unrolled: 1-line block ×3, first 2 shown]
	global_load_dwordx4 v[16:19], v[2:3], off nt
	global_load_dwordx4 v[12:15], v[4:5], off nt
	v_lshl_add_u64 v[4:5], v[34:35], 1, v[0:1]
	v_lshl_add_u64 v[6:7], v[36:37], 1, v[0:1]
	global_load_dwordx4 v[8:11], v[4:5], off nt
	global_load_dwordx4 v[0:3], v[6:7], off nt
	v_cmp_gt_u32_e32 vcc, s4, v42
	v_mov_b32_e32 v4, 0
	v_mov_b32_e32 v5, 0
	;; [unrolled: 1-line block ×4, first 2 shown]
	s_and_saveexec_b64 s[18:19], vcc
	s_cbranch_execz .LBB17_16
; %bb.18:                               ;   in Loop: Header=BB17_17 Depth=2
	ds_read_b128 v[4:7], v41
	s_branch .LBB17_16
.LBB17_19:                              ;   in Loop: Header=BB17_14 Depth=1
	; sched_barrier mask(0x00000000)
	v_cvt_i32_f32_e32 v0, v29
	v_cvt_i32_f32_e32 v1, v27
	;; [unrolled: 1-line block ×4, first 2 shown]
	v_cvt_f32_i32_dpp v0, v0 row_shr:8 row_mask:0xf bank_mask:0xf bound_ctrl:1
	v_cvt_f32_i32_dpp v1, v1 row_shr:8 row_mask:0xf bank_mask:0xf bound_ctrl:1
	;; [unrolled: 1-line block ×4, first 2 shown]
	v_add_f32_e32 v0, v29, v0
	v_cvt_i32_f32_e32 v4, v0
	v_add_f32_e32 v1, v27, v1
	v_cvt_i32_f32_e32 v5, v1
	v_add_f32_e32 v2, v25, v2
	v_cvt_f32_i32_dpp v4, v4 row_shr:4 row_mask:0xf bank_mask:0xf bound_ctrl:1
	v_add_f32_e32 v3, v21, v3
	v_cvt_f32_i32_dpp v5, v5 row_shr:4 row_mask:0xf bank_mask:0xf bound_ctrl:1
	v_cvt_i32_f32_e32 v6, v2
	v_add_f32_e32 v0, v0, v4
	v_cvt_i32_f32_e32 v4, v0
	v_cvt_i32_f32_e32 v7, v3
	v_add_f32_e32 v1, v1, v5
	v_cvt_i32_f32_e32 v5, v1
	v_cvt_f32_i32_dpp v4, v4 row_shr:2 row_mask:0xf bank_mask:0xf bound_ctrl:1
	v_cvt_f32_i32_dpp v6, v6 row_shr:4 row_mask:0xf bank_mask:0xf bound_ctrl:1
	v_cvt_f32_i32_dpp v7, v7 row_shr:4 row_mask:0xf bank_mask:0xf bound_ctrl:1
	v_cvt_f32_i32_dpp v5, v5 row_shr:2 row_mask:0xf bank_mask:0xf bound_ctrl:1
	v_add_f32_e32 v0, v0, v4
	v_cvt_i32_f32_e32 v4, v0
	v_add_f32_e32 v2, v2, v6
	v_add_f32_e32 v3, v3, v7
	v_cvt_i32_f32_e32 v6, v2
	v_cvt_f32_i32_dpp v4, v4 row_shr:1 row_mask:0xf bank_mask:0xf bound_ctrl:1
	v_add_f32_e32 v1, v1, v5
	v_cvt_i32_f32_e32 v7, v3
	v_cvt_i32_f32_e32 v5, v1
	v_add_f32_e32 v0, v0, v4
	v_cvt_f32_i32_dpp v6, v6 row_shr:2 row_mask:0xf bank_mask:0xf bound_ctrl:1
	v_cvt_f32_i32_dpp v7, v7 row_shr:2 row_mask:0xf bank_mask:0xf bound_ctrl:1
	v_cvt_i32_f32_e32 v4, v0
	v_cvt_f32_i32_dpp v5, v5 row_shr:1 row_mask:0xf bank_mask:0xf bound_ctrl:1
	v_add_f32_e32 v2, v2, v6
	v_add_f32_e32 v3, v3, v7
	v_cvt_f32_i32_dpp v4, v4 row_bcast:15 row_mask:0xf bank_mask:0xf bound_ctrl:1
	v_add_f32_e32 v1, v1, v5
	v_cvt_i32_f32_e32 v5, v2
	v_cvt_i32_f32_e32 v6, v3
	v_add_f32_e32 v0, v0, v4
	v_cvt_i32_f32_e32 v7, v1
	v_cvt_f32_i32_dpp v5, v5 row_shr:1 row_mask:0xf bank_mask:0xf bound_ctrl:1
	v_cvt_f32_i32_dpp v4, v6 row_shr:1 row_mask:0xf bank_mask:0xf bound_ctrl:1
	v_cvt_f32_i32_dpp v6, v7 row_bcast:15 row_mask:0xf bank_mask:0xf bound_ctrl:1
	v_add_f32_e32 v5, v2, v5
	v_add_f32_e32 v4, v3, v4
	v_cvt_i32_f32_e32 v2, v5
	v_cvt_i32_f32_e32 v3, v4
	;; [unrolled: 1-line block ×3, first 2 shown]
	v_cvt_f32_i32_dpp v8, v2 row_bcast:15 row_mask:0xf bank_mask:0xf bound_ctrl:1
	v_add_f32_e32 v2, v1, v6
	v_cvt_f32_i32_dpp v1, v3 row_bcast:15 row_mask:0xf bank_mask:0xf bound_ctrl:1
	v_cvt_i32_f32_e32 v6, v2
	v_add_f32_e32 v3, v5, v8
	v_cvt_i32_f32_e32 v5, v3
	v_add_f32_e32 v1, v4, v1
	v_cvt_i32_f32_e32 v4, v1
	v_mov_b32_dpp v7, v7 row_bcast:31 row_mask:0xf bank_mask:0xf bound_ctrl:1
	v_mov_b32_dpp v6, v6 row_bcast:31 row_mask:0xf bank_mask:0xf bound_ctrl:1
	;; [unrolled: 1-line block ×4, first 2 shown]
	s_and_saveexec_b64 s[18:19], s[0:1]
	s_cbranch_execz .LBB17_13
; %bb.20:                               ;   in Loop: Header=BB17_14 Depth=1
	s_and_b64 vcc, exec, s[16:17]
	s_cbranch_vccz .LBB17_22
; %bb.21:                               ;   in Loop: Header=BB17_14 Depth=1
	v_mul_hi_u32 v8, v20, v39
	v_mul_lo_u32 v8, v8, s6
	v_sub_u32_e32 v8, v20, v8
	v_subrev_u32_e32 v9, s6, v8
	v_cmp_le_u32_e32 vcc, s6, v8
	v_mov_b32_e32 v21, v23
	v_mov_b32_e32 v29, v23
	v_cndmask_b32_e32 v8, v8, v9, vcc
	v_subrev_u32_e32 v9, s6, v8
	v_cmp_le_u32_e32 vcc, s6, v8
	v_mov_b32_e32 v27, v23
	v_mov_b32_e32 v25, v23
	v_cndmask_b32_e32 v22, v8, v9, vcc
	v_mul_hi_u32 v8, v28, v39
	v_mul_lo_u32 v8, v8, s6
	v_sub_u32_e32 v8, v28, v8
	v_subrev_u32_e32 v9, s6, v8
	v_cmp_le_u32_e32 vcc, s6, v8
	v_lshl_add_u64 v[12:13], v[22:23], 1, s[8:9]
	s_nop 0
	v_cndmask_b32_e32 v8, v8, v9, vcc
	v_subrev_u32_e32 v9, s6, v8
	v_cmp_le_u32_e32 vcc, s6, v8
	s_nop 1
	v_cndmask_b32_e32 v22, v8, v9, vcc
	v_mul_hi_u32 v8, v26, v39
	v_mul_lo_u32 v8, v8, s6
	v_sub_u32_e32 v8, v26, v8
	v_subrev_u32_e32 v9, s6, v8
	v_cmp_le_u32_e32 vcc, s6, v8
	v_lshl_add_u64 v[14:15], v[22:23], 1, s[8:9]
	s_nop 0
	v_cndmask_b32_e32 v8, v8, v9, vcc
	v_subrev_u32_e32 v9, s6, v8
	v_cmp_le_u32_e32 vcc, s6, v8
	s_nop 1
	;; [unrolled: 12-line block ×3, first 2 shown]
	v_cndmask_b32_e32 v22, v8, v9, vcc
	v_lshl_add_u64 v[18:19], v[22:23], 1, s[8:9]
	global_load_ushort v11, v[12:13], off
	global_load_ushort v10, v[14:15], off
	;; [unrolled: 1-line block ×4, first 2 shown]
	s_cbranch_execnz .LBB17_12
	s_branch .LBB17_23
.LBB17_22:                              ;   in Loop: Header=BB17_14 Depth=1
                                        ; implicit-def: $vgpr11
                                        ; implicit-def: $vgpr10
                                        ; implicit-def: $vgpr9
                                        ; implicit-def: $vgpr8
.LBB17_23:                              ;   in Loop: Header=BB17_14 Depth=1
	v_mov_b32_e32 v21, v23
	v_mov_b32_e32 v29, v23
	;; [unrolled: 1-line block ×4, first 2 shown]
	s_waitcnt vmcnt(0)
	v_mov_b32_e32 v8, 0
	v_mov_b32_e32 v9, 0
	;; [unrolled: 1-line block ×4, first 2 shown]
	s_branch .LBB17_12
.LBB17_24:
	s_endpgm
	.section	.rodata,"a",@progbits
	.p2align	6, 0x0
	.amdhsa_kernel _Z16wvSplitK_hf_sml_I6__halfLi32ELi4ELi16ELi8ELi1ELi1EEviiiiiiPKT_S3_S3_PS1_ii
		.amdhsa_group_segment_fixed_size 65536
		.amdhsa_private_segment_fixed_size 0
		.amdhsa_kernarg_size 64
		.amdhsa_user_sgpr_count 2
		.amdhsa_user_sgpr_dispatch_ptr 0
		.amdhsa_user_sgpr_queue_ptr 0
		.amdhsa_user_sgpr_kernarg_segment_ptr 1
		.amdhsa_user_sgpr_dispatch_id 0
		.amdhsa_user_sgpr_kernarg_preload_length 0
		.amdhsa_user_sgpr_kernarg_preload_offset 0
		.amdhsa_user_sgpr_private_segment_size 0
		.amdhsa_uses_dynamic_stack 0
		.amdhsa_enable_private_segment 0
		.amdhsa_system_sgpr_workgroup_id_x 1
		.amdhsa_system_sgpr_workgroup_id_y 0
		.amdhsa_system_sgpr_workgroup_id_z 0
		.amdhsa_system_sgpr_workgroup_info 0
		.amdhsa_system_vgpr_workitem_id 1
		.amdhsa_next_free_vgpr 43
		.amdhsa_next_free_sgpr 25
		.amdhsa_accum_offset 44
		.amdhsa_reserve_vcc 1
		.amdhsa_float_round_mode_32 0
		.amdhsa_float_round_mode_16_64 0
		.amdhsa_float_denorm_mode_32 3
		.amdhsa_float_denorm_mode_16_64 3
		.amdhsa_dx10_clamp 1
		.amdhsa_ieee_mode 1
		.amdhsa_fp16_overflow 0
		.amdhsa_tg_split 0
		.amdhsa_exception_fp_ieee_invalid_op 0
		.amdhsa_exception_fp_denorm_src 0
		.amdhsa_exception_fp_ieee_div_zero 0
		.amdhsa_exception_fp_ieee_overflow 0
		.amdhsa_exception_fp_ieee_underflow 0
		.amdhsa_exception_fp_ieee_inexact 0
		.amdhsa_exception_int_div_zero 0
	.end_amdhsa_kernel
	.section	.text._Z16wvSplitK_hf_sml_I6__halfLi32ELi4ELi16ELi8ELi1ELi1EEviiiiiiPKT_S3_S3_PS1_ii,"axG",@progbits,_Z16wvSplitK_hf_sml_I6__halfLi32ELi4ELi16ELi8ELi1ELi1EEviiiiiiPKT_S3_S3_PS1_ii,comdat
.Lfunc_end17:
	.size	_Z16wvSplitK_hf_sml_I6__halfLi32ELi4ELi16ELi8ELi1ELi1EEviiiiiiPKT_S3_S3_PS1_ii, .Lfunc_end17-_Z16wvSplitK_hf_sml_I6__halfLi32ELi4ELi16ELi8ELi1ELi1EEviiiiiiPKT_S3_S3_PS1_ii
                                        ; -- End function
	.section	.AMDGPU.csdata,"",@progbits
; Kernel info:
; codeLenInByte = 2048
; NumSgprs: 31
; NumVgprs: 43
; NumAgprs: 0
; TotalNumVgprs: 43
; ScratchSize: 0
; MemoryBound: 0
; FloatMode: 240
; IeeeMode: 1
; LDSByteSize: 65536 bytes/workgroup (compile time only)
; SGPRBlocks: 3
; VGPRBlocks: 5
; NumSGPRsForWavesPerEU: 31
; NumVGPRsForWavesPerEU: 43
; AccumOffset: 44
; Occupancy: 2
; WaveLimiterHint : 0
; COMPUTE_PGM_RSRC2:SCRATCH_EN: 0
; COMPUTE_PGM_RSRC2:USER_SGPR: 2
; COMPUTE_PGM_RSRC2:TRAP_HANDLER: 0
; COMPUTE_PGM_RSRC2:TGID_X_EN: 1
; COMPUTE_PGM_RSRC2:TGID_Y_EN: 0
; COMPUTE_PGM_RSRC2:TGID_Z_EN: 0
; COMPUTE_PGM_RSRC2:TIDIG_COMP_CNT: 1
; COMPUTE_PGM_RSRC3_GFX90A:ACCUM_OFFSET: 10
; COMPUTE_PGM_RSRC3_GFX90A:TG_SPLIT: 0
	.section	.text._Z12wvSplitK_hf_I6__halfLi32ELi4ELi16ELi8ELi1ELi1EEviiiiiiPKT_S3_S3_PS1_ii,"axG",@progbits,_Z12wvSplitK_hf_I6__halfLi32ELi4ELi16ELi8ELi1ELi1EEviiiiiiPKT_S3_S3_PS1_ii,comdat
	.protected	_Z12wvSplitK_hf_I6__halfLi32ELi4ELi16ELi8ELi1ELi1EEviiiiiiPKT_S3_S3_PS1_ii ; -- Begin function _Z12wvSplitK_hf_I6__halfLi32ELi4ELi16ELi8ELi1ELi1EEviiiiiiPKT_S3_S3_PS1_ii
	.globl	_Z12wvSplitK_hf_I6__halfLi32ELi4ELi16ELi8ELi1ELi1EEviiiiiiPKT_S3_S3_PS1_ii
	.p2align	8
	.type	_Z12wvSplitK_hf_I6__halfLi32ELi4ELi16ELi8ELi1ELi1EEviiiiiiPKT_S3_S3_PS1_ii,@function
_Z12wvSplitK_hf_I6__halfLi32ELi4ELi16ELi8ELi1ELi1EEviiiiiiPKT_S3_S3_PS1_ii: ; @_Z12wvSplitK_hf_I6__halfLi32ELi4ELi16ELi8ELi1ELi1EEviiiiiiPKT_S3_S3_PS1_ii
; %bb.0:
	s_load_dwordx2 s[20:21], s[0:1], 0x38
	s_load_dwordx2 s[16:17], s[0:1], 0x20
	s_load_dwordx4 s[8:11], s[0:1], 0x0
	s_load_dword s30, s[0:1], 0x10
	v_bfe_u32 v8, v0, 10, 10
	s_waitcnt lgkmcnt(0)
	s_mul_i32 s2, s2, s20
	v_add_lshl_u32 v26, s2, v8, 2
	s_mov_b32 s4, 1
	v_add_u32_e32 v1, 4, v26
	s_mov_b32 s5, s4
	v_cmp_gt_u32_e32 vcc, s11, v26
	v_cmp_le_u32_e64 s[2:3], s11, v1
	s_mov_b32 s6, s4
	s_mov_b32 s7, s4
	v_mov_b64_e32 v[2:3], s[4:5]
	s_and_b64 s[12:13], vcc, s[2:3]
	v_mov_b64_e32 v[4:5], s[6:7]
	s_and_saveexec_b64 s[2:3], s[12:13]
	s_cbranch_execz .LBB18_6
; %bb.1:
	s_add_i32 s22, s11, -4
	v_mov_b64_e32 v[2:3], s[4:5]
	v_cmp_ne_u32_e32 vcc, s22, v26
	v_mov_b64_e32 v[4:5], s[6:7]
	s_and_saveexec_b64 s[12:13], vcc
	s_cbranch_execz .LBB18_5
; %bb.2:
	v_subrev_u32_e32 v1, s22, v26
	v_cmp_lt_u32_e32 vcc, 1, v1
	s_mov_b64 s[14:15], 0
	s_mov_b64 s[18:19], 0
	v_cndmask_b32_e32 v6, 1, v1, vcc
	s_mov_b32 s5, s4
	s_mov_b32 s6, s4
	;; [unrolled: 1-line block ×3, first 2 shown]
.LBB18_3:                               ; =>This Inner Loop Header: Depth=1
	s_cmp_lg_u32 s18, 3
	s_cselect_b32 s7, s7, 0
	s_cmp_lg_u32 s18, 2
	s_cselect_b32 s6, s6, 0
	;; [unrolled: 2-line block ×4, first 2 shown]
	s_add_u32 s18, s18, 1
	s_addc_u32 s19, s19, 0
	v_cmp_eq_u32_e32 vcc, s18, v6
	v_mov_b64_e32 v[2:3], s[4:5]
	s_or_b64 s[14:15], vcc, s[14:15]
	v_mov_b64_e32 v[4:5], s[6:7]
	s_andn2_b64 exec, exec, s[14:15]
	s_cbranch_execnz .LBB18_3
; %bb.4:
	s_or_b64 exec, exec, s[14:15]
	v_mov_b32_e32 v26, s22
.LBB18_5:
	s_or_b64 exec, exec, s[12:13]
.LBB18_6:
	s_or_b64 exec, exec, s[2:3]
	v_and_b32_e32 v9, 0x3ff, v0
	v_lshlrev_b32_e32 v44, 3, v9
	v_lshl_add_u32 v10, v8, 8, v44
	s_min_u32 s4, s10, 0x8000
	v_cmp_gt_u32_e32 vcc, s4, v10
	s_and_saveexec_b64 s[2:3], vcc
	s_cbranch_execz .LBB18_15
; %bb.7:
	v_lshlrev_b32_e32 v0, 1, v10
	global_load_dwordx4 v[12:15], v0, s[16:17]
	v_add_u32_e32 v1, 0x1000, v10
	v_cmp_gt_u32_e32 vcc, s4, v1
	s_waitcnt vmcnt(0)
	ds_write_b128 v0, v[12:15]
	s_and_saveexec_b64 s[6:7], vcc
	s_xor_b64 s[6:7], exec, s[6:7]
	s_cbranch_execz .LBB18_15
; %bb.8:
	v_mov_b32_e32 v1, 0
	v_lshl_add_u64 v[6:7], s[16:17], 0, v[0:1]
	v_add_co_u32_e32 v12, vcc, 0x2000, v6
	v_add_u32_e32 v1, 0x2000, v10
	s_nop 0
	v_addc_co_u32_e32 v13, vcc, 0, v7, vcc
	global_load_dwordx4 v[12:15], v[12:13], off
	v_cmp_gt_u32_e32 vcc, s4, v1
	s_waitcnt vmcnt(0)
	ds_write_b128 v0, v[12:15] offset:8192
	s_and_saveexec_b64 s[6:7], vcc
	s_xor_b64 s[6:7], exec, s[6:7]
	s_cbranch_execz .LBB18_15
; %bb.9:
	v_add_co_u32_e32 v12, vcc, 0x4000, v6
	v_add_u32_e32 v1, 0x3000, v10
	s_nop 0
	v_addc_co_u32_e32 v13, vcc, 0, v7, vcc
	global_load_dwordx4 v[12:15], v[12:13], off
	v_cmp_gt_u32_e32 vcc, s4, v1
	s_waitcnt vmcnt(0)
	ds_write_b128 v0, v[12:15] offset:16384
	s_and_saveexec_b64 s[6:7], vcc
	s_xor_b64 s[6:7], exec, s[6:7]
	s_cbranch_execz .LBB18_15
; %bb.10:
	;; [unrolled: 12-line block ×6, first 2 shown]
	v_add_co_u32_e32 v6, vcc, 0xe000, v6
	s_nop 1
	v_addc_co_u32_e32 v7, vcc, 0, v7, vcc
	global_load_dwordx4 v[10:13], v[6:7], off
	s_waitcnt vmcnt(0)
	ds_write_b128 v0, v[10:13] offset:57344
.LBB18_15:
	s_or_b64 exec, exec, s[2:3]
	v_cmp_gt_u32_e32 vcc, s20, v8
	v_cmp_gt_u32_e64 s[2:3], s11, v26
	s_and_b64 s[2:3], vcc, s[2:3]
	s_waitcnt lgkmcnt(0)
	s_barrier
	s_and_saveexec_b64 s[4:5], s[2:3]
	s_cbranch_execz .LBB18_44
; %bb.16:
	v_cvt_f32_u32_e32 v0, s30
	s_load_dwordx4 s[12:15], s[0:1], 0x28
	s_load_dwordx2 s[18:19], s[0:1], 0x18
	s_cmp_lg_u32 s8, 0
	s_cselect_b64 s[2:3], -1, 0
	v_rcp_iflag_f32_e32 v0, v0
	s_add_i32 s10, s8, -8
	s_add_i32 s31, s11, -1
	s_mul_i32 s6, s20, s21
	v_mul_f32_e32 v0, 0x4f7ffffe, v0
	v_cvt_u32_f32_e32 v0, v0
	s_waitcnt lgkmcnt(0)
	s_cmp_lg_u64 s[12:13], 0
	s_cselect_b64 s[4:5], -1, 0
	s_lshl_b32 s33, s6, 2
	s_sub_i32 s6, 0, s30
	v_mul_lo_u32 v1, s6, v0
	v_mul_hi_u32 v1, v0, v1
	v_add_u32_e32 v45, v0, v1
	v_cndmask_b32_e64 v0, 0, 1, s[2:3]
	v_cmp_ne_u32_e64 s[2:3], 1, v0
	v_cndmask_b32_e64 v0, 0, 1, s[4:5]
	v_cmp_eq_u32_e64 s[0:1], 31, v9
	s_mov_b64 s[20:21], 0
	s_add_i32 s34, s11, -4
	v_mov_b32_e32 v1, 0
	v_lshlrev_b32_e32 v46, 4, v9
	s_movk_i32 s35, 0x7fff
	v_cmp_ne_u32_e64 s[4:5], 1, v0
	s_branch .LBB18_19
.LBB18_17:                              ;   in Loop: Header=BB18_19 Depth=1
	s_or_b64 exec, exec, s[24:25]
	v_mov_b32_e32 v26, s34
.LBB18_18:                              ;   in Loop: Header=BB18_19 Depth=1
	s_or_b64 exec, exec, s[22:23]
	v_cmp_le_u32_e32 vcc, s11, v26
	s_or_b64 s[20:21], vcc, s[20:21]
	s_andn2_b64 exec, exec, s[20:21]
	s_cbranch_execz .LBB18_44
.LBB18_19:                              ; =>This Loop Header: Depth=1
                                        ;     Child Loop BB18_23 Depth 2
                                        ;     Child Loop BB18_39 Depth 2
	s_mov_b32 s24, 0
	s_and_b64 vcc, exec, s[2:3]
	v_add_u32_e32 v32, 1, v26
	v_add_u32_e32 v30, 2, v26
	;; [unrolled: 1-line block ×3, first 2 shown]
	v_mov_b32_e32 v33, v1
	v_mov_b32_e32 v31, v1
	;; [unrolled: 1-line block ×4, first 2 shown]
	s_cbranch_vccnz .LBB18_28
; %bb.20:                               ;   in Loop: Header=BB18_19 Depth=1
	v_min_u32_e32 v0, s31, v26
	v_mul_lo_u32 v34, v0, s9
	v_min_u32_e32 v0, s31, v32
	v_mul_lo_u32 v36, v0, s9
	;; [unrolled: 2-line block ×3, first 2 shown]
	v_min_u32_e32 v0, s31, v28
	v_mov_b32_e32 v35, v1
	v_mov_b32_e32 v37, v1
	;; [unrolled: 1-line block ×3, first 2 shown]
	v_mul_lo_u32 v40, v0, s9
	v_mov_b32_e32 v41, v1
	v_mov_b32_e32 v27, 0
	;; [unrolled: 1-line block ×6, first 2 shown]
	s_branch .LBB18_23
.LBB18_21:                              ;   in Loop: Header=BB18_23 Depth=2
	s_or_b64 exec, exec, s[22:23]
.LBB18_22:                              ;   in Loop: Header=BB18_23 Depth=2
	s_or_b64 exec, exec, s[6:7]
	s_waitcnt vmcnt(0) lgkmcnt(0)
	;;#ASMSTART
	v_dot2c_f32_f16 v33, v10, v22
	;;#ASMEND
	;;#ASMSTART
	v_dot2c_f32_f16 v31, v10, v18
	;;#ASMEND
	;; [unrolled: 3-line block ×4, first 2 shown]
	s_addk_i32 s24, 0x100
	;;#ASMSTART
	v_dot2c_f32_f16 v33, v11, v23
	;;#ASMEND
	;;#ASMSTART
	v_dot2c_f32_f16 v31, v11, v19
	;;#ASMEND
	;; [unrolled: 3-line block ×4, first 2 shown]
	s_cmp_ge_u32 s24, s8
	;;#ASMSTART
	v_dot2c_f32_f16 v33, v12, v24
	;;#ASMEND
	;;#ASMSTART
	v_dot2c_f32_f16 v31, v12, v20
	;;#ASMEND
	;; [unrolled: 3-line block ×4, first 2 shown]
	v_add_u32_e32 v47, 0x200, v47
	;;#ASMSTART
	v_dot2c_f32_f16 v33, v13, v25
	;;#ASMEND
	;;#ASMSTART
	v_dot2c_f32_f16 v31, v13, v21
	;;#ASMEND
	;; [unrolled: 3-line block ×4, first 2 shown]
	s_cbranch_scc1 .LBB18_28
.LBB18_23:                              ;   Parent Loop BB18_19 Depth=1
                                        ; =>  This Inner Loop Header: Depth=2
	v_add_u32_e32 v42, s24, v44
	v_min_u32_e32 v0, s10, v42
	v_lshl_add_u64 v[6:7], v[0:1], 1, s[18:19]
	v_lshl_add_u64 v[8:9], v[34:35], 1, v[6:7]
	;; [unrolled: 1-line block ×3, first 2 shown]
	global_load_dwordx4 v[22:25], v[8:9], off nt
	global_load_dwordx4 v[18:21], v[10:11], off nt
	v_lshl_add_u64 v[10:11], v[38:39], 1, v[6:7]
	v_lshl_add_u64 v[12:13], v[40:41], 1, v[6:7]
	global_load_dwordx4 v[14:17], v[10:11], off nt
	global_load_dwordx4 v[6:9], v[12:13], off nt
	v_cmp_gt_u32_e32 vcc, s8, v42
	v_mov_b32_e32 v10, 0
	v_mov_b32_e32 v11, 0
	;; [unrolled: 1-line block ×4, first 2 shown]
	s_and_saveexec_b64 s[6:7], vcc
	s_cbranch_execz .LBB18_22
; %bb.24:                               ;   in Loop: Header=BB18_23 Depth=2
	v_cmp_lt_u32_e32 vcc, s35, v42
                                        ; implicit-def: $vgpr13
	s_and_saveexec_b64 s[22:23], vcc
	s_xor_b64 s[22:23], exec, s[22:23]
	s_cbranch_execz .LBB18_26
; %bb.25:                               ;   in Loop: Header=BB18_23 Depth=2
	v_mov_b32_e32 v43, v1
	v_lshl_add_u64 v[10:11], v[42:43], 1, s[16:17]
	global_load_dwordx4 v[10:13], v[10:11], off
.LBB18_26:                              ;   in Loop: Header=BB18_23 Depth=2
	s_andn2_saveexec_b64 s[22:23], s[22:23]
	s_cbranch_execz .LBB18_21
; %bb.27:                               ;   in Loop: Header=BB18_23 Depth=2
	s_waitcnt vmcnt(0)
	ds_read_b128 v[10:13], v47
	s_branch .LBB18_21
.LBB18_28:                              ;   in Loop: Header=BB18_19 Depth=1
	v_cvt_i32_f32_e32 v0, v33
	v_cvt_i32_f32_e32 v6, v31
	;; [unrolled: 1-line block ×4, first 2 shown]
	v_cvt_f32_i32_dpp v0, v0 row_shr:8 row_mask:0xf bank_mask:0xf bound_ctrl:1
	v_cvt_f32_i32_dpp v6, v6 row_shr:8 row_mask:0xf bank_mask:0xf bound_ctrl:1
	;; [unrolled: 1-line block ×4, first 2 shown]
	v_add_f32_e32 v0, v33, v0
	v_cvt_i32_f32_e32 v9, v0
	v_add_f32_e32 v6, v31, v6
	v_cvt_i32_f32_e32 v10, v6
	v_add_f32_e32 v7, v29, v7
	v_cvt_f32_i32_dpp v9, v9 row_shr:4 row_mask:0xf bank_mask:0xf bound_ctrl:1
	v_add_f32_e32 v8, v27, v8
	v_cvt_f32_i32_dpp v10, v10 row_shr:4 row_mask:0xf bank_mask:0xf bound_ctrl:1
	v_cvt_i32_f32_e32 v11, v7
	v_add_f32_e32 v0, v0, v9
	v_cvt_i32_f32_e32 v9, v0
	v_cvt_i32_f32_e32 v12, v8
	v_add_f32_e32 v6, v6, v10
	v_cvt_i32_f32_e32 v10, v6
	v_cvt_f32_i32_dpp v9, v9 row_shr:2 row_mask:0xf bank_mask:0xf bound_ctrl:1
	v_cvt_f32_i32_dpp v11, v11 row_shr:4 row_mask:0xf bank_mask:0xf bound_ctrl:1
	;; [unrolled: 1-line block ×4, first 2 shown]
	v_add_f32_e32 v0, v0, v9
	v_cvt_i32_f32_e32 v9, v0
	v_add_f32_e32 v7, v7, v11
	v_add_f32_e32 v8, v8, v12
	v_cvt_i32_f32_e32 v11, v7
	v_cvt_f32_i32_dpp v9, v9 row_shr:1 row_mask:0xf bank_mask:0xf bound_ctrl:1
	v_add_f32_e32 v6, v6, v10
	v_cvt_i32_f32_e32 v12, v8
	v_cvt_i32_f32_e32 v10, v6
	v_add_f32_e32 v0, v0, v9
	v_cvt_f32_i32_dpp v11, v11 row_shr:2 row_mask:0xf bank_mask:0xf bound_ctrl:1
	v_cvt_f32_i32_dpp v12, v12 row_shr:2 row_mask:0xf bank_mask:0xf bound_ctrl:1
	v_cvt_i32_f32_e32 v9, v0
	v_cvt_f32_i32_dpp v10, v10 row_shr:1 row_mask:0xf bank_mask:0xf bound_ctrl:1
	v_add_f32_e32 v7, v7, v11
	v_add_f32_e32 v8, v8, v12
	v_cvt_f32_i32_dpp v9, v9 row_bcast:15 row_mask:0xf bank_mask:0xf bound_ctrl:1
	v_add_f32_e32 v6, v6, v10
	v_cvt_i32_f32_e32 v10, v7
	v_cvt_i32_f32_e32 v12, v8
	v_add_f32_e32 v11, v0, v9
	v_cvt_i32_f32_e32 v13, v6
	v_cvt_f32_i32_dpp v10, v10 row_shr:1 row_mask:0xf bank_mask:0xf bound_ctrl:1
	v_cvt_f32_i32_dpp v0, v12 row_shr:1 row_mask:0xf bank_mask:0xf bound_ctrl:1
	v_cvt_i32_f32_e32 v12, v11
	v_cvt_f32_i32_dpp v9, v13 row_bcast:15 row_mask:0xf bank_mask:0xf bound_ctrl:1
	v_add_f32_e32 v7, v7, v10
	v_add_f32_e32 v0, v8, v0
	v_cvt_i32_f32_e32 v10, v7
	v_cvt_i32_f32_e32 v8, v0
	s_nop 0
	v_cvt_f32_i32_dpp v13, v10 row_bcast:15 row_mask:0xf bank_mask:0xf bound_ctrl:1
	v_add_f32_e32 v10, v6, v9
	v_cvt_f32_i32_dpp v6, v8 row_bcast:15 row_mask:0xf bank_mask:0xf bound_ctrl:1
	v_cvt_i32_f32_e32 v9, v10
	v_add_f32_e32 v8, v7, v13
	v_cvt_i32_f32_e32 v7, v8
	v_add_f32_e32 v6, v0, v6
	v_cvt_i32_f32_e32 v0, v6
	v_mov_b32_dpp v13, v12 row_bcast:31 row_mask:0xf bank_mask:0xf bound_ctrl:1
	v_mov_b32_dpp v12, v9 row_bcast:31 row_mask:0xf bank_mask:0xf bound_ctrl:1
	v_mov_b32_dpp v9, v7 row_bcast:31 row_mask:0xf bank_mask:0xf bound_ctrl:1
	v_mov_b32_dpp v7, v0 row_bcast:31 row_mask:0xf bank_mask:0xf bound_ctrl:1
	s_and_saveexec_b64 s[6:7], s[0:1]
	s_cbranch_execz .LBB18_36
; %bb.29:                               ;   in Loop: Header=BB18_19 Depth=1
	s_and_b64 vcc, exec, s[4:5]
	v_mov_b32_e32 v0, 0
	v_mov_b32_e32 v14, 0
	;; [unrolled: 1-line block ×4, first 2 shown]
	s_cbranch_vccnz .LBB18_31
; %bb.30:                               ;   in Loop: Header=BB18_19 Depth=1
	v_mul_hi_u32 v0, v26, v45
	v_mul_lo_u32 v0, v0, s30
	v_sub_u32_e32 v0, v26, v0
	v_subrev_u32_e32 v14, s30, v0
	v_cmp_le_u32_e32 vcc, s30, v0
	s_nop 1
	v_cndmask_b32_e32 v0, v0, v14, vcc
	v_subrev_u32_e32 v14, s30, v0
	v_cmp_le_u32_e32 vcc, s30, v0
	s_nop 1
	v_cndmask_b32_e32 v0, v0, v14, vcc
	v_lshl_add_u64 v[18:19], v[0:1], 1, s[12:13]
	v_mul_hi_u32 v0, v32, v45
	v_mul_lo_u32 v0, v0, s30
	v_sub_u32_e32 v0, v32, v0
	v_subrev_u32_e32 v14, s30, v0
	v_cmp_le_u32_e32 vcc, s30, v0
	s_nop 1
	v_cndmask_b32_e32 v0, v0, v14, vcc
	v_subrev_u32_e32 v14, s30, v0
	v_cmp_le_u32_e32 vcc, s30, v0
	s_nop 1
	v_cndmask_b32_e32 v0, v0, v14, vcc
	v_lshl_add_u64 v[20:21], v[0:1], 1, s[12:13]
	;; [unrolled: 12-line block ×4, first 2 shown]
	global_load_ushort v16, v[18:19], off
	global_load_ushort v15, v[20:21], off
	;; [unrolled: 1-line block ×4, first 2 shown]
.LBB18_31:                              ;   in Loop: Header=BB18_19 Depth=1
	v_cmp_ne_u32_e32 vcc, 0, v2
	s_and_saveexec_b64 s[22:23], vcc
	s_cbranch_execnz .LBB18_41
; %bb.32:                               ;   in Loop: Header=BB18_19 Depth=1
	s_or_b64 exec, exec, s[22:23]
	v_cmp_ne_u32_e32 vcc, 0, v3
	s_and_saveexec_b64 s[22:23], vcc
	s_cbranch_execnz .LBB18_42
.LBB18_33:                              ;   in Loop: Header=BB18_19 Depth=1
	s_or_b64 exec, exec, s[22:23]
	v_cmp_ne_u32_e32 vcc, 0, v4
	s_and_saveexec_b64 s[22:23], vcc
	s_cbranch_execnz .LBB18_43
.LBB18_34:                              ;   in Loop: Header=BB18_19 Depth=1
	s_or_b64 exec, exec, s[22:23]
	v_cmp_ne_u32_e32 vcc, 0, v5
	s_and_b64 exec, exec, vcc
	s_cbranch_execz .LBB18_36
.LBB18_35:                              ;   in Loop: Header=BB18_19 Depth=1
	v_cvt_f32_i32_e32 v7, v7
	s_waitcnt vmcnt(0)
	v_cvt_f32_f16_e32 v0, v0
	v_mov_b32_e32 v29, v1
	v_add_f32_e32 v6, v6, v7
	v_add_f32_e32 v0, v6, v0
	v_cvt_f16_f32_e32 v0, v0
	v_lshl_add_u64 v[6:7], v[28:29], 1, s[14:15]
	global_store_short v[6:7], v0, off
.LBB18_36:                              ;   in Loop: Header=BB18_19 Depth=1
	s_or_b64 exec, exec, s[6:7]
	v_add_u32_e32 v26, s33, v26
	s_waitcnt vmcnt(0)
	v_add_u32_e32 v0, 4, v26
	v_cmp_gt_u32_e32 vcc, s11, v26
	v_cmp_le_u32_e64 s[6:7], s11, v0
	s_and_b64 s[6:7], vcc, s[6:7]
	s_and_saveexec_b64 s[22:23], s[6:7]
	s_cbranch_execz .LBB18_18
; %bb.37:                               ;   in Loop: Header=BB18_19 Depth=1
	v_cmp_ne_u32_e32 vcc, s34, v26
	s_and_saveexec_b64 s[24:25], vcc
	s_cbranch_execz .LBB18_17
; %bb.38:                               ;   in Loop: Header=BB18_19 Depth=1
	v_subrev_u32_e32 v0, s34, v26
	v_cmp_lt_u32_e32 vcc, 1, v0
	s_mov_b64 s[26:27], 0
	s_mov_b64 s[28:29], 0
	v_cndmask_b32_e32 v0, 1, v0, vcc
.LBB18_39:                              ;   Parent Loop BB18_19 Depth=1
                                        ; =>  This Inner Loop Header: Depth=2
	s_cmp_lg_u32 s28, 3
	s_cselect_b64 vcc, -1, 0
	s_cmp_lg_u32 s28, 2
	v_cndmask_b32_e32 v5, 0, v5, vcc
	s_cselect_b64 vcc, -1, 0
	s_cmp_lg_u32 s28, 1
	v_cndmask_b32_e32 v4, 0, v4, vcc
	;; [unrolled: 3-line block ×3, first 2 shown]
	s_cselect_b64 vcc, -1, 0
	s_add_u32 s28, s28, 1
	s_addc_u32 s29, s29, 0
	v_cmp_eq_u32_e64 s[6:7], s28, v0
	s_or_b64 s[26:27], s[6:7], s[26:27]
	v_cndmask_b32_e32 v2, 0, v2, vcc
	s_andn2_b64 exec, exec, s[26:27]
	s_cbranch_execnz .LBB18_39
; %bb.40:                               ;   in Loop: Header=BB18_19 Depth=1
	s_or_b64 exec, exec, s[26:27]
	s_branch .LBB18_17
.LBB18_41:                              ;   in Loop: Header=BB18_19 Depth=1
	v_cvt_f32_i32_e32 v13, v13
	s_waitcnt vmcnt(3)
	v_cvt_f32_f16_e32 v16, v16
	v_mov_b32_e32 v27, v1
	v_add_f32_e32 v11, v11, v13
	v_add_f32_e32 v11, v11, v16
	v_cvt_f16_f32_e32 v11, v11
	v_lshl_add_u64 v[16:17], v[26:27], 1, s[14:15]
	global_store_short v[16:17], v11, off
	s_or_b64 exec, exec, s[22:23]
	v_cmp_ne_u32_e32 vcc, 0, v3
	s_and_saveexec_b64 s[22:23], vcc
	s_cbranch_execz .LBB18_33
.LBB18_42:                              ;   in Loop: Header=BB18_19 Depth=1
	v_cvt_f32_i32_e32 v11, v12
	s_waitcnt vmcnt(2)
	v_cvt_f32_f16_e32 v12, v15
	v_mov_b32_e32 v33, v1
	v_add_f32_e32 v10, v10, v11
	v_add_f32_e32 v10, v10, v12
	v_cvt_f16_f32_e32 v12, v10
	v_lshl_add_u64 v[10:11], v[32:33], 1, s[14:15]
	global_store_short v[10:11], v12, off
	s_or_b64 exec, exec, s[22:23]
	v_cmp_ne_u32_e32 vcc, 0, v4
	s_and_saveexec_b64 s[22:23], vcc
	s_cbranch_execz .LBB18_34
.LBB18_43:                              ;   in Loop: Header=BB18_19 Depth=1
	v_cvt_f32_i32_e32 v9, v9
	s_waitcnt vmcnt(1)
	v_cvt_f32_f16_e32 v10, v14
	v_mov_b32_e32 v31, v1
	v_add_f32_e32 v8, v8, v9
	v_add_f32_e32 v8, v8, v10
	v_cvt_f16_f32_e32 v10, v8
	v_lshl_add_u64 v[8:9], v[30:31], 1, s[14:15]
	global_store_short v[8:9], v10, off
	s_or_b64 exec, exec, s[22:23]
	v_cmp_ne_u32_e32 vcc, 0, v5
	s_and_b64 exec, exec, vcc
	s_cbranch_execnz .LBB18_35
	s_branch .LBB18_36
.LBB18_44:
	s_endpgm
	.section	.rodata,"a",@progbits
	.p2align	6, 0x0
	.amdhsa_kernel _Z12wvSplitK_hf_I6__halfLi32ELi4ELi16ELi8ELi1ELi1EEviiiiiiPKT_S3_S3_PS1_ii
		.amdhsa_group_segment_fixed_size 65536
		.amdhsa_private_segment_fixed_size 0
		.amdhsa_kernarg_size 64
		.amdhsa_user_sgpr_count 2
		.amdhsa_user_sgpr_dispatch_ptr 0
		.amdhsa_user_sgpr_queue_ptr 0
		.amdhsa_user_sgpr_kernarg_segment_ptr 1
		.amdhsa_user_sgpr_dispatch_id 0
		.amdhsa_user_sgpr_kernarg_preload_length 0
		.amdhsa_user_sgpr_kernarg_preload_offset 0
		.amdhsa_user_sgpr_private_segment_size 0
		.amdhsa_uses_dynamic_stack 0
		.amdhsa_enable_private_segment 0
		.amdhsa_system_sgpr_workgroup_id_x 1
		.amdhsa_system_sgpr_workgroup_id_y 0
		.amdhsa_system_sgpr_workgroup_id_z 0
		.amdhsa_system_sgpr_workgroup_info 0
		.amdhsa_system_vgpr_workitem_id 1
		.amdhsa_next_free_vgpr 48
		.amdhsa_next_free_sgpr 36
		.amdhsa_accum_offset 48
		.amdhsa_reserve_vcc 1
		.amdhsa_float_round_mode_32 0
		.amdhsa_float_round_mode_16_64 0
		.amdhsa_float_denorm_mode_32 3
		.amdhsa_float_denorm_mode_16_64 3
		.amdhsa_dx10_clamp 1
		.amdhsa_ieee_mode 1
		.amdhsa_fp16_overflow 0
		.amdhsa_tg_split 0
		.amdhsa_exception_fp_ieee_invalid_op 0
		.amdhsa_exception_fp_denorm_src 0
		.amdhsa_exception_fp_ieee_div_zero 0
		.amdhsa_exception_fp_ieee_overflow 0
		.amdhsa_exception_fp_ieee_underflow 0
		.amdhsa_exception_fp_ieee_inexact 0
		.amdhsa_exception_int_div_zero 0
	.end_amdhsa_kernel
	.section	.text._Z12wvSplitK_hf_I6__halfLi32ELi4ELi16ELi8ELi1ELi1EEviiiiiiPKT_S3_S3_PS1_ii,"axG",@progbits,_Z12wvSplitK_hf_I6__halfLi32ELi4ELi16ELi8ELi1ELi1EEviiiiiiPKT_S3_S3_PS1_ii,comdat
.Lfunc_end18:
	.size	_Z12wvSplitK_hf_I6__halfLi32ELi4ELi16ELi8ELi1ELi1EEviiiiiiPKT_S3_S3_PS1_ii, .Lfunc_end18-_Z12wvSplitK_hf_I6__halfLi32ELi4ELi16ELi8ELi1ELi1EEviiiiiiPKT_S3_S3_PS1_ii
                                        ; -- End function
	.section	.AMDGPU.csdata,"",@progbits
; Kernel info:
; codeLenInByte = 2544
; NumSgprs: 42
; NumVgprs: 48
; NumAgprs: 0
; TotalNumVgprs: 48
; ScratchSize: 0
; MemoryBound: 0
; FloatMode: 240
; IeeeMode: 1
; LDSByteSize: 65536 bytes/workgroup (compile time only)
; SGPRBlocks: 5
; VGPRBlocks: 5
; NumSGPRsForWavesPerEU: 42
; NumVGPRsForWavesPerEU: 48
; AccumOffset: 48
; Occupancy: 2
; WaveLimiterHint : 0
; COMPUTE_PGM_RSRC2:SCRATCH_EN: 0
; COMPUTE_PGM_RSRC2:USER_SGPR: 2
; COMPUTE_PGM_RSRC2:TRAP_HANDLER: 0
; COMPUTE_PGM_RSRC2:TGID_X_EN: 1
; COMPUTE_PGM_RSRC2:TGID_Y_EN: 0
; COMPUTE_PGM_RSRC2:TGID_Z_EN: 0
; COMPUTE_PGM_RSRC2:TIDIG_COMP_CNT: 1
; COMPUTE_PGM_RSRC3_GFX90A:ACCUM_OFFSET: 11
; COMPUTE_PGM_RSRC3_GFX90A:TG_SPLIT: 0
	.section	.text._Z16wvSplitK_hf_big_I6__halfLi32ELi4ELi16ELi8ELi1ELi1EEviiiiiiPKT_S3_S3_PS1_ii,"axG",@progbits,_Z16wvSplitK_hf_big_I6__halfLi32ELi4ELi16ELi8ELi1ELi1EEviiiiiiPKT_S3_S3_PS1_ii,comdat
	.protected	_Z16wvSplitK_hf_big_I6__halfLi32ELi4ELi16ELi8ELi1ELi1EEviiiiiiPKT_S3_S3_PS1_ii ; -- Begin function _Z16wvSplitK_hf_big_I6__halfLi32ELi4ELi16ELi8ELi1ELi1EEviiiiiiPKT_S3_S3_PS1_ii
	.globl	_Z16wvSplitK_hf_big_I6__halfLi32ELi4ELi16ELi8ELi1ELi1EEviiiiiiPKT_S3_S3_PS1_ii
	.p2align	8
	.type	_Z16wvSplitK_hf_big_I6__halfLi32ELi4ELi16ELi8ELi1ELi1EEviiiiiiPKT_S3_S3_PS1_ii,@function
_Z16wvSplitK_hf_big_I6__halfLi32ELi4ELi16ELi8ELi1ELi1EEviiiiiiPKT_S3_S3_PS1_ii: ; @_Z16wvSplitK_hf_big_I6__halfLi32ELi4ELi16ELi8ELi1ELi1EEviiiiiiPKT_S3_S3_PS1_ii
; %bb.0:
	s_load_dwordx2 s[8:9], s[0:1], 0x38
	v_bfe_u32 v7, v0, 10, 10
	s_waitcnt lgkmcnt(0)
	v_cmp_gt_u32_e32 vcc, s8, v7
	s_and_saveexec_b64 s[4:5], vcc
	s_cbranch_execz .LBB19_46
; %bb.1:
	s_load_dwordx4 s[20:23], s[0:1], 0x0
	s_mul_i32 s2, s2, s8
	v_add_lshl_u32 v26, s2, v7, 2
	s_mov_b32 s4, 1
	v_add_u32_e32 v1, 4, v26
	s_mov_b32 s5, s4
	s_waitcnt lgkmcnt(0)
	v_cmp_gt_u32_e32 vcc, s23, v26
	v_cmp_le_u32_e64 s[2:3], s23, v1
	s_mov_b32 s6, s4
	s_mov_b32 s7, s4
	v_mov_b64_e32 v[2:3], s[4:5]
	s_and_b64 s[10:11], vcc, s[2:3]
	v_mov_b64_e32 v[4:5], s[6:7]
	s_and_saveexec_b64 s[2:3], s[10:11]
	s_cbranch_execz .LBB19_7
; %bb.2:
	s_add_i32 s16, s23, -4
	v_mov_b64_e32 v[2:3], s[4:5]
	v_cmp_ne_u32_e32 vcc, s16, v26
	v_mov_b64_e32 v[4:5], s[6:7]
	s_and_saveexec_b64 s[10:11], vcc
	s_cbranch_execz .LBB19_6
; %bb.3:
	v_subrev_u32_e32 v1, s16, v26
	v_cmp_lt_u32_e32 vcc, 1, v1
	s_mov_b64 s[12:13], 0
	s_mov_b64 s[14:15], 0
	v_cndmask_b32_e32 v6, 1, v1, vcc
	s_mov_b32 s5, s4
	s_mov_b32 s6, s4
	;; [unrolled: 1-line block ×3, first 2 shown]
.LBB19_4:                               ; =>This Inner Loop Header: Depth=1
	s_cmp_lg_u32 s14, 3
	s_cselect_b32 s7, s7, 0
	s_cmp_lg_u32 s14, 2
	s_cselect_b32 s6, s6, 0
	;; [unrolled: 2-line block ×4, first 2 shown]
	s_add_u32 s14, s14, 1
	s_addc_u32 s15, s15, 0
	v_cmp_eq_u32_e32 vcc, s14, v6
	v_mov_b64_e32 v[2:3], s[4:5]
	s_or_b64 s[12:13], vcc, s[12:13]
	v_mov_b64_e32 v[4:5], s[6:7]
	s_andn2_b64 exec, exec, s[12:13]
	s_cbranch_execnz .LBB19_4
; %bb.5:
	s_or_b64 exec, exec, s[12:13]
	v_mov_b32_e32 v26, s16
.LBB19_6:
	s_or_b64 exec, exec, s[10:11]
.LBB19_7:
	s_or_b64 exec, exec, s[2:3]
	s_lshl_b32 s2, s8, 2
	s_abs_i32 s3, s2
	v_cvt_f32_u32_e32 v1, s3
	s_sub_i32 s6, 0, s3
	s_abs_i32 s5, s23
	s_ashr_i32 s4, s23, 31
	v_rcp_iflag_f32_e32 v1, v1
	s_nop 0
	v_mul_f32_e32 v1, 0x4f7ffffe, v1
	v_cvt_u32_f32_e32 v1, v1
	s_nop 0
	v_readfirstlane_b32 s7, v1
	s_mul_i32 s6, s6, s7
	s_mul_hi_u32 s6, s7, s6
	s_add_i32 s7, s7, s6
	s_mul_hi_u32 s6, s5, s7
	s_mul_i32 s6, s6, s3
	s_sub_i32 s5, s5, s6
	s_sub_i32 s6, s5, s3
	s_cmp_ge_u32 s5, s3
	s_cselect_b32 s5, s6, s5
	s_sub_i32 s6, s5, s3
	s_cmp_ge_u32 s5, s3
	s_cselect_b32 s3, s6, s5
	s_xor_b32 s3, s3, s4
	s_sub_i32 s3, s3, s4
	s_add_i32 s2, s2, s23
	s_sub_i32 s2, s2, s3
	s_cmp_eq_u32 s3, 0
	s_cselect_b32 s33, s23, s2
	v_cmp_gt_u32_e32 vcc, s33, v26
	s_and_b64 exec, exec, vcc
	s_cbranch_execz .LBB19_46
; %bb.8:
	s_load_dwordx8 s[12:19], s[0:1], 0x18
	s_load_dword s38, s[0:1], 0x10
	s_min_u32 s39, s22, 0x8000
	s_cmp_lg_u32 s20, 0
	s_cselect_b64 s[2:3], -1, 0
	s_cmp_lg_u32 s22, 0
	s_waitcnt lgkmcnt(0)
	v_cvt_f32_u32_e32 v1, s38
	s_mul_i32 s0, s9, s8
	s_cselect_b64 s[4:5], -1, 0
	v_and_b32_e32 v0, 0x3ff, v0
	v_rcp_iflag_f32_e32 v1, v1
	s_lshl_b32 s40, s8, 8
	s_add_i32 s41, s20, -8
	s_add_i32 s42, s23, -1
	v_mul_f32_e32 v1, 0x4f7ffffe, v1
	v_cvt_u32_f32_e32 v1, v1
	s_lshl_b32 s43, s0, 2
	v_lshlrev_b32_e32 v36, 3, v0
	v_cmp_eq_u32_e64 s[0:1], 31, v0
	s_cmp_lg_u64 s[16:17], 0
	v_lshlrev_b32_e32 v0, 4, v0
	s_cselect_b64 s[6:7], -1, 0
	s_sub_i32 s9, 0, s38
	v_lshl_add_u32 v38, v7, 9, v0
	v_cndmask_b32_e64 v0, 0, 1, s[2:3]
	s_add_i32 s44, s23, -4
	v_mul_lo_u32 v6, s9, v1
	v_cmp_ne_u32_e64 s[2:3], 1, v0
	v_cndmask_b32_e64 v0, 0, 1, s[4:5]
	v_mul_hi_u32 v6, v1, v6
	s_add_u32 s26, s18, 2
	v_cmp_ne_u32_e64 s[4:5], 1, v0
	v_cndmask_b32_e64 v0, 0, 1, s[6:7]
	s_mov_b64 s[24:25], 0
	v_add_u32_e32 v37, v1, v6
	v_mov_b32_e32 v1, 0
	s_addc_u32 s27, s19, 0
	s_lshl_b32 s45, s8, 9
	v_lshl_add_u32 v39, v7, 8, v36
	v_cmp_ne_u32_e64 s[6:7], 1, v0
	s_branch .LBB19_12
.LBB19_9:                               ;   in Loop: Header=BB19_12 Depth=1
	s_or_b64 exec, exec, s[30:31]
	v_mov_b32_e32 v26, s44
.LBB19_10:                              ;   in Loop: Header=BB19_12 Depth=1
	s_or_b64 exec, exec, s[28:29]
.LBB19_11:                              ;   in Loop: Header=BB19_12 Depth=1
	s_or_b64 exec, exec, s[10:11]
	v_cmp_le_u32_e32 vcc, s33, v26
	s_or_b64 s[24:25], vcc, s[24:25]
	s_andn2_b64 exec, exec, s[24:25]
	s_cbranch_execz .LBB19_46
.LBB19_12:                              ; =>This Loop Header: Depth=1
                                        ;     Child Loop BB19_16 Depth 2
                                        ;       Child Loop BB19_21 Depth 3
                                        ;     Child Loop BB19_41 Depth 2
	s_mov_b32 s34, 0
	s_and_b64 vcc, exec, s[2:3]
	v_mov_b32_e32 v42, v1
	v_mov_b32_e32 v41, v1
	;; [unrolled: 1-line block ×4, first 2 shown]
	s_cbranch_vccnz .LBB19_27
; %bb.13:                               ;   in Loop: Header=BB19_12 Depth=1
	v_min_u32_e32 v0, s42, v26
	v_mul_lo_u32 v28, v0, s21
	v_add_u32_e32 v0, 1, v26
	v_min_u32_e32 v0, s42, v0
	v_mul_lo_u32 v30, v0, s21
	v_add_u32_e32 v0, 2, v26
	;; [unrolled: 3-line block ×3, first 2 shown]
	v_min_u32_e32 v0, s42, v0
	v_cmp_gt_u32_e64 s[8:9], s23, v26
	v_mov_b32_e32 v29, v1
	v_mov_b32_e32 v31, v1
	;; [unrolled: 1-line block ×3, first 2 shown]
	v_mul_lo_u32 v34, v0, s21
	v_mov_b32_e32 v35, v1
	v_mov_b32_e32 v27, 0
	;; [unrolled: 1-line block ×5, first 2 shown]
	s_mov_b32 s35, 0
	s_branch .LBB19_16
.LBB19_14:                              ;   in Loop: Header=BB19_16 Depth=2
	s_or_b64 exec, exec, s[28:29]
	s_waitcnt vmcnt(3) lgkmcnt(0)
	;;#ASMSTART
	v_dot2c_f32_f16 v42, v10, v22
	;;#ASMEND
	s_waitcnt vmcnt(2)
	;;#ASMSTART
	v_dot2c_f32_f16 v41, v10, v18
	;;#ASMEND
	s_waitcnt vmcnt(1)
	;; [unrolled: 4-line block ×3, first 2 shown]
	;;#ASMSTART
	v_dot2c_f32_f16 v27, v10, v6
	;;#ASMEND
	;;#ASMSTART
	v_dot2c_f32_f16 v42, v11, v23
	;;#ASMEND
	;;#ASMSTART
	v_dot2c_f32_f16 v41, v11, v19
	;;#ASMEND
	;;#ASMSTART
	v_dot2c_f32_f16 v40, v11, v15
	;;#ASMEND
	s_nop 0
	;;#ASMSTART
	v_dot2c_f32_f16 v27, v11, v7
	;;#ASMEND
	;;#ASMSTART
	v_dot2c_f32_f16 v42, v12, v24
	;;#ASMEND
	;;#ASMSTART
	v_dot2c_f32_f16 v41, v12, v20
	;;#ASMEND
	;;#ASMSTART
	v_dot2c_f32_f16 v40, v12, v16
	;;#ASMEND
	s_nop 0
	;; [unrolled: 13-line block ×3, first 2 shown]
	;;#ASMSTART
	v_dot2c_f32_f16 v27, v13, v9
	;;#ASMEND
.LBB19_15:                              ;   in Loop: Header=BB19_16 Depth=2
	s_or_b64 exec, exec, s[10:11]
	s_addk_i32 s35, 0x100
	s_cmp_ge_u32 s35, s20
	s_cbranch_scc1 .LBB19_27
.LBB19_16:                              ;   Parent Loop BB19_12 Depth=1
                                        ; =>  This Loop Header: Depth=2
                                        ;       Child Loop BB19_21 Depth 3
	s_cmp_eq_u32 s35, 0
	s_cselect_b64 s[10:11], -1, 0
	s_add_i32 s28, s34, s39
	s_cmp_eq_u32 s35, s28
	s_cselect_b64 s[30:31], -1, 0
	s_or_b64 s[30:31], s[10:11], s[30:31]
	s_andn2_b64 vcc, exec, s[30:31]
	s_cbranch_vccz .LBB19_18
; %bb.17:                               ;   in Loop: Header=BB19_16 Depth=2
	s_and_saveexec_b64 s[10:11], s[8:9]
	s_cbranch_execz .LBB19_15
	s_branch .LBB19_25
.LBB19_18:                              ;   in Loop: Header=BB19_16 Depth=2
	s_and_b64 s[10:11], s[10:11], exec
	s_cselect_b32 s34, s34, s28
	s_and_b64 vcc, exec, s[4:5]
	s_barrier
	s_cbranch_vccnz .LBB19_24
; %bb.19:                               ;   in Loop: Header=BB19_16 Depth=2
	v_add_u32_e32 v6, s34, v39
	s_mov_b32 s36, 0
	s_mov_b64 s[28:29], 0
	v_mov_b32_e32 v7, v38
                                        ; implicit-def: $sgpr30_sgpr31
	s_branch .LBB19_21
.LBB19_20:                              ;   in Loop: Header=BB19_21 Depth=3
	s_or_b64 exec, exec, s[10:11]
	s_and_b64 s[10:11], exec, s[30:31]
	s_or_b64 s[28:29], s[10:11], s[28:29]
	s_andn2_b64 exec, exec, s[28:29]
	s_cbranch_execz .LBB19_23
.LBB19_21:                              ;   Parent Loop BB19_12 Depth=1
                                        ;     Parent Loop BB19_16 Depth=2
                                        ; =>    This Inner Loop Header: Depth=3
	v_add_u32_e32 v8, s36, v39
	v_add_u32_e32 v0, s36, v6
	v_cmp_gt_u32_e32 vcc, s22, v0
	v_cmp_gt_u32_e64 s[10:11], s39, v8
	s_and_b64 s[46:47], s[10:11], vcc
	s_or_b64 s[30:31], s[30:31], exec
	s_and_saveexec_b64 s[10:11], s[46:47]
	s_cbranch_execz .LBB19_20
; %bb.22:                               ;   in Loop: Header=BB19_21 Depth=3
	v_lshl_add_u64 v[8:9], v[0:1], 1, s[14:15]
	global_load_dwordx4 v[8:11], v[8:9], off
	s_add_i32 s36, s36, s40
	s_cmp_ge_u32 s36, s39
	s_cselect_b64 s[46:47], -1, 0
	s_andn2_b64 s[30:31], s[30:31], exec
	s_and_b64 s[46:47], s[46:47], exec
	s_or_b64 s[30:31], s[30:31], s[46:47]
	s_waitcnt vmcnt(0)
	ds_write_b128 v7, v[8:11]
	v_add_u32_e32 v7, s45, v7
	s_branch .LBB19_20
.LBB19_23:                              ;   in Loop: Header=BB19_16 Depth=2
	s_or_b64 exec, exec, s[28:29]
.LBB19_24:                              ;   in Loop: Header=BB19_16 Depth=2
	s_waitcnt lgkmcnt(0)
	s_barrier
	s_and_saveexec_b64 s[10:11], s[8:9]
	s_cbranch_execz .LBB19_15
.LBB19_25:                              ;   in Loop: Header=BB19_16 Depth=2
	v_add_u32_e32 v43, s35, v36
	v_min_u32_e32 v0, s41, v43
	v_lshl_add_u64 v[6:7], v[0:1], 1, s[12:13]
	v_lshl_add_u64 v[8:9], v[28:29], 1, v[6:7]
	;; [unrolled: 1-line block ×3, first 2 shown]
	global_load_dwordx4 v[22:25], v[8:9], off nt
	global_load_dwordx4 v[18:21], v[10:11], off nt
	v_lshl_add_u64 v[10:11], v[32:33], 1, v[6:7]
	v_lshl_add_u64 v[12:13], v[34:35], 1, v[6:7]
	global_load_dwordx4 v[14:17], v[10:11], off nt
	global_load_dwordx4 v[6:9], v[12:13], off nt
	v_cmp_gt_u32_e32 vcc, s20, v43
	v_mov_b32_e32 v10, 0
	v_mov_b32_e32 v11, 0
	v_mov_b32_e32 v12, 0
	v_mov_b32_e32 v13, 0
	s_and_saveexec_b64 s[28:29], vcc
	s_cbranch_execz .LBB19_14
; %bb.26:                               ;   in Loop: Header=BB19_16 Depth=2
	v_subrev_u32_e32 v0, s34, v43
	v_lshlrev_b32_e32 v0, 1, v0
	ds_read_b128 v[10:13], v0
	s_branch .LBB19_14
.LBB19_27:                              ;   in Loop: Header=BB19_12 Depth=1
	v_cmp_le_u32_e32 vcc, s23, v26
	s_and_saveexec_b64 s[8:9], vcc
	s_xor_b64 s[8:9], exec, s[8:9]
; %bb.28:                               ;   in Loop: Header=BB19_12 Depth=1
	v_add_u32_e32 v26, s43, v26
                                        ; implicit-def: $vgpr42
                                        ; implicit-def: $vgpr41
                                        ; implicit-def: $vgpr40
                                        ; implicit-def: $vgpr27
; %bb.29:                               ;   in Loop: Header=BB19_12 Depth=1
	s_andn2_saveexec_b64 s[10:11], s[8:9]
	s_cbranch_execz .LBB19_11
; %bb.30:                               ;   in Loop: Header=BB19_12 Depth=1
	v_cvt_i32_f32_e32 v0, v42
	v_cvt_i32_f32_e32 v6, v41
	;; [unrolled: 1-line block ×4, first 2 shown]
	v_cvt_f32_i32_dpp v0, v0 row_shr:8 row_mask:0xf bank_mask:0xf bound_ctrl:1
	v_cvt_f32_i32_dpp v6, v6 row_shr:8 row_mask:0xf bank_mask:0xf bound_ctrl:1
	;; [unrolled: 1-line block ×4, first 2 shown]
	v_add_f32_e32 v0, v42, v0
	v_cvt_i32_f32_e32 v9, v0
	v_add_f32_e32 v6, v41, v6
	v_cvt_i32_f32_e32 v10, v6
	v_add_f32_e32 v7, v40, v7
	v_cvt_f32_i32_dpp v9, v9 row_shr:4 row_mask:0xf bank_mask:0xf bound_ctrl:1
	v_add_f32_e32 v8, v27, v8
	v_cvt_f32_i32_dpp v10, v10 row_shr:4 row_mask:0xf bank_mask:0xf bound_ctrl:1
	v_cvt_i32_f32_e32 v11, v7
	v_add_f32_e32 v0, v0, v9
	v_cvt_i32_f32_e32 v9, v0
	v_cvt_i32_f32_e32 v12, v8
	v_add_f32_e32 v6, v6, v10
	v_cvt_i32_f32_e32 v10, v6
	v_cvt_f32_i32_dpp v9, v9 row_shr:2 row_mask:0xf bank_mask:0xf bound_ctrl:1
	v_cvt_f32_i32_dpp v11, v11 row_shr:4 row_mask:0xf bank_mask:0xf bound_ctrl:1
	;; [unrolled: 1-line block ×4, first 2 shown]
	v_add_f32_e32 v0, v0, v9
	v_cvt_i32_f32_e32 v9, v0
	v_add_f32_e32 v7, v7, v11
	v_add_f32_e32 v8, v8, v12
	v_cvt_i32_f32_e32 v11, v7
	v_cvt_f32_i32_dpp v9, v9 row_shr:1 row_mask:0xf bank_mask:0xf bound_ctrl:1
	v_add_f32_e32 v6, v6, v10
	v_cvt_i32_f32_e32 v12, v8
	v_cvt_i32_f32_e32 v10, v6
	v_add_f32_e32 v0, v0, v9
	v_cvt_f32_i32_dpp v11, v11 row_shr:2 row_mask:0xf bank_mask:0xf bound_ctrl:1
	v_cvt_f32_i32_dpp v12, v12 row_shr:2 row_mask:0xf bank_mask:0xf bound_ctrl:1
	v_cvt_i32_f32_e32 v9, v0
	v_cvt_f32_i32_dpp v10, v10 row_shr:1 row_mask:0xf bank_mask:0xf bound_ctrl:1
	v_add_f32_e32 v7, v7, v11
	v_add_f32_e32 v8, v8, v12
	v_cvt_f32_i32_dpp v9, v9 row_bcast:15 row_mask:0xf bank_mask:0xf bound_ctrl:1
	v_add_f32_e32 v6, v6, v10
	v_cvt_i32_f32_e32 v10, v7
	v_cvt_i32_f32_e32 v11, v8
	v_add_f32_e32 v13, v0, v9
	v_cvt_i32_f32_e32 v12, v6
	v_cvt_f32_i32_dpp v10, v10 row_shr:1 row_mask:0xf bank_mask:0xf bound_ctrl:1
	v_cvt_f32_i32_dpp v0, v11 row_shr:1 row_mask:0xf bank_mask:0xf bound_ctrl:1
	v_cvt_i32_f32_e32 v11, v13
	v_cvt_f32_i32_dpp v9, v12 row_bcast:15 row_mask:0xf bank_mask:0xf bound_ctrl:1
	v_add_f32_e32 v7, v7, v10
	v_add_f32_e32 v0, v8, v0
	v_cvt_i32_f32_e32 v10, v7
	v_cvt_i32_f32_e32 v8, v0
	v_add_f32_e32 v12, v6, v9
	v_mov_b32_dpp v15, v11 row_bcast:31 row_mask:0xf bank_mask:0xf bound_ctrl:1
	v_cvt_f32_i32_dpp v10, v10 row_bcast:15 row_mask:0xf bank_mask:0xf bound_ctrl:1
	v_cvt_f32_i32_dpp v6, v8 row_bcast:15 row_mask:0xf bank_mask:0xf bound_ctrl:1
	v_cvt_i32_f32_e32 v8, v12
	v_add_f32_e32 v9, v7, v10
	v_add_f32_e32 v7, v0, v6
	v_cvt_i32_f32_e32 v10, v9
	v_cvt_i32_f32_e32 v0, v7
	v_mov_b32_dpp v14, v8 row_bcast:31 row_mask:0xf bank_mask:0xf bound_ctrl:1
	v_mov_b32_dpp v11, v10 row_bcast:31 row_mask:0xf bank_mask:0xf bound_ctrl:1
	v_mov_b32_dpp v10, v0 row_bcast:31 row_mask:0xf bank_mask:0xf bound_ctrl:1
	s_and_saveexec_b64 s[8:9], s[0:1]
	s_cbranch_execz .LBB19_38
; %bb.31:                               ;   in Loop: Header=BB19_12 Depth=1
	s_and_b64 vcc, exec, s[6:7]
	v_mov_b32_e32 v0, 0
	v_add_u32_e32 v8, 2, v26
	v_add_u32_e32 v6, 3, v26
	v_mov_b32_e32 v16, 0
	v_mov_b32_e32 v17, 0
	;; [unrolled: 1-line block ×3, first 2 shown]
	s_cbranch_vccnz .LBB19_33
; %bb.32:                               ;   in Loop: Header=BB19_12 Depth=1
	v_mul_hi_u32 v0, v26, v37
	v_mul_lo_u32 v0, v0, s38
	v_sub_u32_e32 v0, v26, v0
	v_subrev_u32_e32 v16, s38, v0
	v_cmp_le_u32_e32 vcc, s38, v0
	s_nop 1
	v_cndmask_b32_e32 v0, v0, v16, vcc
	v_subrev_u32_e32 v16, s38, v0
	v_cmp_le_u32_e32 vcc, s38, v0
	s_nop 1
	v_cndmask_b32_e32 v0, v0, v16, vcc
	v_lshl_add_u64 v[20:21], v[0:1], 1, s[16:17]
	v_add_u32_e32 v0, 1, v26
	v_mul_hi_u32 v16, v0, v37
	v_mul_lo_u32 v16, v16, s38
	v_sub_u32_e32 v0, v0, v16
	v_subrev_u32_e32 v16, s38, v0
	v_cmp_le_u32_e32 vcc, s38, v0
	s_nop 1
	v_cndmask_b32_e32 v0, v0, v16, vcc
	v_subrev_u32_e32 v16, s38, v0
	v_cmp_le_u32_e32 vcc, s38, v0
	s_nop 1
	v_cndmask_b32_e32 v0, v0, v16, vcc
	v_lshl_add_u64 v[22:23], v[0:1], 1, s[16:17]
	v_mul_hi_u32 v0, v8, v37
	v_mul_lo_u32 v0, v0, s38
	v_sub_u32_e32 v0, v8, v0
	v_subrev_u32_e32 v16, s38, v0
	v_cmp_le_u32_e32 vcc, s38, v0
	s_nop 1
	v_cndmask_b32_e32 v0, v0, v16, vcc
	v_subrev_u32_e32 v16, s38, v0
	v_cmp_le_u32_e32 vcc, s38, v0
	s_nop 1
	v_cndmask_b32_e32 v0, v0, v16, vcc
	v_lshl_add_u64 v[24:25], v[0:1], 1, s[16:17]
	;; [unrolled: 12-line block ×3, first 2 shown]
	global_load_ushort v18, v[20:21], off
	global_load_ushort v17, v[22:23], off
	;; [unrolled: 1-line block ×4, first 2 shown]
.LBB19_33:                              ;   in Loop: Header=BB19_12 Depth=1
	v_cmp_ne_u32_e32 vcc, 0, v2
	s_and_saveexec_b64 s[28:29], vcc
	s_cbranch_execnz .LBB19_43
; %bb.34:                               ;   in Loop: Header=BB19_12 Depth=1
	s_or_b64 exec, exec, s[28:29]
	v_cmp_ne_u32_e32 vcc, 0, v3
	s_and_saveexec_b64 s[28:29], vcc
	s_cbranch_execnz .LBB19_44
.LBB19_35:                              ;   in Loop: Header=BB19_12 Depth=1
	s_or_b64 exec, exec, s[28:29]
	v_cmp_ne_u32_e32 vcc, 0, v4
	s_and_saveexec_b64 s[28:29], vcc
	s_cbranch_execnz .LBB19_45
.LBB19_36:                              ;   in Loop: Header=BB19_12 Depth=1
	s_or_b64 exec, exec, s[28:29]
	v_cmp_ne_u32_e32 vcc, 0, v5
	s_and_b64 exec, exec, vcc
	s_cbranch_execz .LBB19_38
.LBB19_37:                              ;   in Loop: Header=BB19_12 Depth=1
	v_cvt_f32_i32_e32 v8, v10
	s_waitcnt vmcnt(0)
	v_cvt_f32_f16_e32 v0, v0
	v_add_f32_e32 v7, v7, v8
	v_add_f32_e32 v0, v7, v0
	v_cvt_f16_f32_e32 v0, v0
	v_mov_b32_e32 v7, v1
	v_lshl_add_u64 v[6:7], v[6:7], 1, s[18:19]
	global_store_short v[6:7], v0, off
.LBB19_38:                              ;   in Loop: Header=BB19_12 Depth=1
	s_or_b64 exec, exec, s[8:9]
	v_add_u32_e32 v26, s43, v26
	s_waitcnt vmcnt(0)
	v_add_u32_e32 v0, 4, v26
	v_cmp_gt_u32_e32 vcc, s23, v26
	v_cmp_le_u32_e64 s[8:9], s23, v0
	s_and_b64 s[8:9], vcc, s[8:9]
	s_and_saveexec_b64 s[28:29], s[8:9]
	s_cbranch_execz .LBB19_10
; %bb.39:                               ;   in Loop: Header=BB19_12 Depth=1
	v_cmp_ne_u32_e32 vcc, s44, v26
	s_and_saveexec_b64 s[30:31], vcc
	s_cbranch_execz .LBB19_9
; %bb.40:                               ;   in Loop: Header=BB19_12 Depth=1
	v_subrev_u32_e32 v0, s44, v26
	v_cmp_lt_u32_e32 vcc, 1, v0
	s_mov_b64 s[34:35], 0
	s_mov_b64 s[36:37], 0
	v_cndmask_b32_e32 v0, 1, v0, vcc
.LBB19_41:                              ;   Parent Loop BB19_12 Depth=1
                                        ; =>  This Inner Loop Header: Depth=2
	s_cmp_lg_u32 s36, 3
	s_cselect_b64 vcc, -1, 0
	s_cmp_lg_u32 s36, 2
	v_cndmask_b32_e32 v5, 0, v5, vcc
	s_cselect_b64 vcc, -1, 0
	s_cmp_lg_u32 s36, 1
	v_cndmask_b32_e32 v4, 0, v4, vcc
	;; [unrolled: 3-line block ×3, first 2 shown]
	s_cselect_b64 vcc, -1, 0
	s_add_u32 s36, s36, 1
	s_addc_u32 s37, s37, 0
	v_cmp_eq_u32_e64 s[8:9], s36, v0
	s_or_b64 s[34:35], s[8:9], s[34:35]
	v_cndmask_b32_e32 v2, 0, v2, vcc
	s_andn2_b64 exec, exec, s[34:35]
	s_cbranch_execnz .LBB19_41
; %bb.42:                               ;   in Loop: Header=BB19_12 Depth=1
	s_or_b64 exec, exec, s[34:35]
	s_branch .LBB19_9
.LBB19_43:                              ;   in Loop: Header=BB19_12 Depth=1
	v_cvt_f32_i32_e32 v15, v15
	s_waitcnt vmcnt(3)
	v_cvt_f32_f16_e32 v18, v18
	v_mov_b32_e32 v27, v1
	v_add_f32_e32 v13, v13, v15
	v_add_f32_e32 v13, v13, v18
	v_cvt_f16_f32_e32 v13, v13
	v_lshl_add_u64 v[18:19], v[26:27], 1, s[18:19]
	global_store_short v[18:19], v13, off
	s_or_b64 exec, exec, s[28:29]
	v_cmp_ne_u32_e32 vcc, 0, v3
	s_and_saveexec_b64 s[28:29], vcc
	s_cbranch_execz .LBB19_35
.LBB19_44:                              ;   in Loop: Header=BB19_12 Depth=1
	v_cvt_f32_i32_e32 v13, v14
	s_waitcnt vmcnt(2)
	v_cvt_f32_f16_e32 v14, v17
	v_mov_b32_e32 v27, v1
	v_add_f32_e32 v12, v12, v13
	v_add_f32_e32 v12, v12, v14
	v_cvt_f16_f32_e32 v14, v12
	v_lshl_add_u64 v[12:13], v[26:27], 1, s[26:27]
	global_store_short v[12:13], v14, off
	s_or_b64 exec, exec, s[28:29]
	v_cmp_ne_u32_e32 vcc, 0, v4
	s_and_saveexec_b64 s[28:29], vcc
	s_cbranch_execz .LBB19_36
.LBB19_45:                              ;   in Loop: Header=BB19_12 Depth=1
	v_cvt_f32_i32_e32 v11, v11
	s_waitcnt vmcnt(1)
	v_cvt_f32_f16_e32 v12, v16
	v_add_f32_e32 v9, v9, v11
	v_add_f32_e32 v9, v9, v12
	v_cvt_f16_f32_e32 v11, v9
	v_mov_b32_e32 v9, v1
	v_lshl_add_u64 v[8:9], v[8:9], 1, s[18:19]
	global_store_short v[8:9], v11, off
	s_or_b64 exec, exec, s[28:29]
	v_cmp_ne_u32_e32 vcc, 0, v5
	s_and_b64 exec, exec, vcc
	s_cbranch_execnz .LBB19_37
	s_branch .LBB19_38
.LBB19_46:
	s_endpgm
	.section	.rodata,"a",@progbits
	.p2align	6, 0x0
	.amdhsa_kernel _Z16wvSplitK_hf_big_I6__halfLi32ELi4ELi16ELi8ELi1ELi1EEviiiiiiPKT_S3_S3_PS1_ii
		.amdhsa_group_segment_fixed_size 65536
		.amdhsa_private_segment_fixed_size 0
		.amdhsa_kernarg_size 64
		.amdhsa_user_sgpr_count 2
		.amdhsa_user_sgpr_dispatch_ptr 0
		.amdhsa_user_sgpr_queue_ptr 0
		.amdhsa_user_sgpr_kernarg_segment_ptr 1
		.amdhsa_user_sgpr_dispatch_id 0
		.amdhsa_user_sgpr_kernarg_preload_length 0
		.amdhsa_user_sgpr_kernarg_preload_offset 0
		.amdhsa_user_sgpr_private_segment_size 0
		.amdhsa_uses_dynamic_stack 0
		.amdhsa_enable_private_segment 0
		.amdhsa_system_sgpr_workgroup_id_x 1
		.amdhsa_system_sgpr_workgroup_id_y 0
		.amdhsa_system_sgpr_workgroup_id_z 0
		.amdhsa_system_sgpr_workgroup_info 0
		.amdhsa_system_vgpr_workitem_id 1
		.amdhsa_next_free_vgpr 44
		.amdhsa_next_free_sgpr 48
		.amdhsa_accum_offset 44
		.amdhsa_reserve_vcc 1
		.amdhsa_float_round_mode_32 0
		.amdhsa_float_round_mode_16_64 0
		.amdhsa_float_denorm_mode_32 3
		.amdhsa_float_denorm_mode_16_64 3
		.amdhsa_dx10_clamp 1
		.amdhsa_ieee_mode 1
		.amdhsa_fp16_overflow 0
		.amdhsa_tg_split 0
		.amdhsa_exception_fp_ieee_invalid_op 0
		.amdhsa_exception_fp_denorm_src 0
		.amdhsa_exception_fp_ieee_div_zero 0
		.amdhsa_exception_fp_ieee_overflow 0
		.amdhsa_exception_fp_ieee_underflow 0
		.amdhsa_exception_fp_ieee_inexact 0
		.amdhsa_exception_int_div_zero 0
	.end_amdhsa_kernel
	.section	.text._Z16wvSplitK_hf_big_I6__halfLi32ELi4ELi16ELi8ELi1ELi1EEviiiiiiPKT_S3_S3_PS1_ii,"axG",@progbits,_Z16wvSplitK_hf_big_I6__halfLi32ELi4ELi16ELi8ELi1ELi1EEviiiiiiPKT_S3_S3_PS1_ii,comdat
.Lfunc_end19:
	.size	_Z16wvSplitK_hf_big_I6__halfLi32ELi4ELi16ELi8ELi1ELi1EEviiiiiiPKT_S3_S3_PS1_ii, .Lfunc_end19-_Z16wvSplitK_hf_big_I6__halfLi32ELi4ELi16ELi8ELi1ELi1EEviiiiiiPKT_S3_S3_PS1_ii
                                        ; -- End function
	.section	.AMDGPU.csdata,"",@progbits
; Kernel info:
; codeLenInByte = 2460
; NumSgprs: 54
; NumVgprs: 44
; NumAgprs: 0
; TotalNumVgprs: 44
; ScratchSize: 0
; MemoryBound: 0
; FloatMode: 240
; IeeeMode: 1
; LDSByteSize: 65536 bytes/workgroup (compile time only)
; SGPRBlocks: 6
; VGPRBlocks: 5
; NumSGPRsForWavesPerEU: 54
; NumVGPRsForWavesPerEU: 44
; AccumOffset: 44
; Occupancy: 2
; WaveLimiterHint : 0
; COMPUTE_PGM_RSRC2:SCRATCH_EN: 0
; COMPUTE_PGM_RSRC2:USER_SGPR: 2
; COMPUTE_PGM_RSRC2:TRAP_HANDLER: 0
; COMPUTE_PGM_RSRC2:TGID_X_EN: 1
; COMPUTE_PGM_RSRC2:TGID_Y_EN: 0
; COMPUTE_PGM_RSRC2:TGID_Z_EN: 0
; COMPUTE_PGM_RSRC2:TIDIG_COMP_CNT: 1
; COMPUTE_PGM_RSRC3_GFX90A:ACCUM_OFFSET: 10
; COMPUTE_PGM_RSRC3_GFX90A:TG_SPLIT: 0
	.section	.text._Z16wvSplitK_hf_sml_I6__halfLi32ELi4ELi16ELi8ELi2ELi1EEviiiiiiPKT_S3_S3_PS1_ii,"axG",@progbits,_Z16wvSplitK_hf_sml_I6__halfLi32ELi4ELi16ELi8ELi2ELi1EEviiiiiiPKT_S3_S3_PS1_ii,comdat
	.protected	_Z16wvSplitK_hf_sml_I6__halfLi32ELi4ELi16ELi8ELi2ELi1EEviiiiiiPKT_S3_S3_PS1_ii ; -- Begin function _Z16wvSplitK_hf_sml_I6__halfLi32ELi4ELi16ELi8ELi2ELi1EEviiiiiiPKT_S3_S3_PS1_ii
	.globl	_Z16wvSplitK_hf_sml_I6__halfLi32ELi4ELi16ELi8ELi2ELi1EEviiiiiiPKT_S3_S3_PS1_ii
	.p2align	8
	.type	_Z16wvSplitK_hf_sml_I6__halfLi32ELi4ELi16ELi8ELi2ELi1EEviiiiiiPKT_S3_S3_PS1_ii,@function
_Z16wvSplitK_hf_sml_I6__halfLi32ELi4ELi16ELi8ELi2ELi1EEviiiiiiPKT_S3_S3_PS1_ii: ; @_Z16wvSplitK_hf_sml_I6__halfLi32ELi4ELi16ELi8ELi2ELi1EEviiiiiiPKT_S3_S3_PS1_ii
; %bb.0:
	s_load_dwordx4 s[4:7], s[0:1], 0x0
	v_and_b32_e32 v4, 0x3ff, v0
	v_bfe_u32 v5, v0, 10, 10
	v_lshlrev_b32_e32 v58, 3, v4
	v_lshl_add_u32 v6, v5, 8, v58
	s_waitcnt lgkmcnt(0)
	s_min_u32 s3, s6, 0x8000
	v_cmp_gt_u32_e32 vcc, s3, v6
	s_and_saveexec_b64 s[8:9], vcc
	s_cbranch_execz .LBB20_9
; %bb.1:
	s_load_dwordx2 s[10:11], s[0:1], 0x20
	v_lshlrev_b32_e32 v0, 1, v6
	v_add_u32_e32 v1, 0x1000, v6
	v_cmp_gt_u32_e32 vcc, s3, v1
	s_waitcnt lgkmcnt(0)
	global_load_dwordx4 v[8:11], v0, s[10:11]
	s_waitcnt vmcnt(0)
	ds_write_b128 v0, v[8:11]
	s_and_saveexec_b64 s[12:13], vcc
	s_xor_b64 s[12:13], exec, s[12:13]
	s_cbranch_execz .LBB20_9
; %bb.2:
	v_mov_b32_e32 v1, 0
	v_lshl_add_u64 v[2:3], s[10:11], 0, v[0:1]
	v_add_co_u32_e32 v8, vcc, 0x2000, v2
	v_add_u32_e32 v1, 0x2000, v6
	s_nop 0
	v_addc_co_u32_e32 v9, vcc, 0, v3, vcc
	global_load_dwordx4 v[8:11], v[8:9], off
	v_cmp_gt_u32_e32 vcc, s3, v1
	s_waitcnt vmcnt(0)
	ds_write_b128 v0, v[8:11] offset:8192
	s_and_saveexec_b64 s[10:11], vcc
	s_xor_b64 s[10:11], exec, s[10:11]
	s_cbranch_execz .LBB20_9
; %bb.3:
	v_add_co_u32_e32 v8, vcc, 0x4000, v2
	v_add_u32_e32 v1, 0x3000, v6
	s_nop 0
	v_addc_co_u32_e32 v9, vcc, 0, v3, vcc
	global_load_dwordx4 v[8:11], v[8:9], off
	v_cmp_gt_u32_e32 vcc, s3, v1
	s_waitcnt vmcnt(0)
	ds_write_b128 v0, v[8:11] offset:16384
	s_and_saveexec_b64 s[10:11], vcc
	s_xor_b64 s[10:11], exec, s[10:11]
	s_cbranch_execz .LBB20_9
; %bb.4:
	v_add_co_u32_e32 v8, vcc, 0x6000, v2
	v_add_u32_e32 v1, 0x4000, v6
	s_nop 0
	v_addc_co_u32_e32 v9, vcc, 0, v3, vcc
	global_load_dwordx4 v[8:11], v[8:9], off
	v_cmp_gt_u32_e32 vcc, s3, v1
	s_waitcnt vmcnt(0)
	ds_write_b128 v0, v[8:11] offset:24576
	s_and_saveexec_b64 s[10:11], vcc
	s_xor_b64 s[10:11], exec, s[10:11]
	s_cbranch_execz .LBB20_9
; %bb.5:
	v_add_co_u32_e32 v8, vcc, 0x8000, v2
	v_add_u32_e32 v1, 0x5000, v6
	s_nop 0
	v_addc_co_u32_e32 v9, vcc, 0, v3, vcc
	global_load_dwordx4 v[8:11], v[8:9], off
	v_cmp_gt_u32_e32 vcc, s3, v1
	s_waitcnt vmcnt(0)
	ds_write_b128 v0, v[8:11] offset:32768
	s_and_saveexec_b64 s[10:11], vcc
	s_xor_b64 s[10:11], exec, s[10:11]
	s_cbranch_execz .LBB20_9
; %bb.6:
	v_add_co_u32_e32 v8, vcc, 0xa000, v2
	v_add_u32_e32 v1, 0x6000, v6
	s_nop 0
	v_addc_co_u32_e32 v9, vcc, 0, v3, vcc
	global_load_dwordx4 v[8:11], v[8:9], off
	v_cmp_gt_u32_e32 vcc, s3, v1
	s_waitcnt vmcnt(0)
	ds_write_b128 v0, v[8:11] offset:40960
	s_and_saveexec_b64 s[10:11], vcc
	s_xor_b64 s[10:11], exec, s[10:11]
	s_cbranch_execz .LBB20_9
; %bb.7:
	v_add_co_u32_e32 v8, vcc, 0xc000, v2
	v_add_u32_e32 v1, 0x7000, v6
	s_nop 0
	v_addc_co_u32_e32 v9, vcc, 0, v3, vcc
	global_load_dwordx4 v[8:11], v[8:9], off
	v_cmp_gt_u32_e32 vcc, s3, v1
	s_waitcnt vmcnt(0)
	ds_write_b128 v0, v[8:11] offset:49152
	s_and_saveexec_b64 s[10:11], vcc
	s_xor_b64 s[10:11], exec, s[10:11]
	s_cbranch_execz .LBB20_9
; %bb.8:
	v_add_co_u32_e32 v2, vcc, 0xe000, v2
	s_nop 1
	v_addc_co_u32_e32 v3, vcc, 0, v3, vcc
	global_load_dwordx4 v[6:9], v[2:3], off
	s_waitcnt vmcnt(0)
	ds_write_b128 v0, v[6:9] offset:57344
.LBB20_9:
	s_or_b64 exec, exec, s[8:9]
	s_load_dwordx2 s[14:15], s[0:1], 0x38
	s_waitcnt lgkmcnt(0)
	s_barrier
	v_cmp_gt_u32_e32 vcc, s14, v5
	s_and_saveexec_b64 s[8:9], vcc
	s_cbranch_execz .LBB20_26
; %bb.10:
	s_load_dword s6, s[0:1], 0x10
	s_mul_i32 s2, s2, s14
	v_add_lshl_u32 v40, s2, v5, 2
	v_cmp_gt_u32_e32 vcc, s7, v40
	s_and_b64 exec, exec, vcc
	s_cbranch_execz .LBB20_26
; %bb.11:
	s_waitcnt lgkmcnt(0)
	v_cvt_f32_u32_e32 v0, s6
	s_load_dwordx4 s[8:11], s[0:1], 0x28
	s_load_dwordx2 s[12:13], s[0:1], 0x18
	s_cmp_lg_u32 s4, 0
	s_cselect_b64 s[2:3], -1, 0
	v_rcp_iflag_f32_e32 v0, v0
	s_add_i32 s22, s4, -8
	s_add_i32 s23, s7, -1
	s_mul_i32 s18, s14, s15
	v_mul_f32_e32 v0, 0x4f7ffffe, v0
	v_cvt_u32_f32_e32 v0, v0
	s_waitcnt lgkmcnt(0)
	s_cmp_lg_u64 s[8:9], 0
	s_cselect_b64 s[16:17], -1, 0
	s_lshl_b32 s24, s18, 2
	s_sub_i32 s18, 0, s6
	v_mul_lo_u32 v1, s18, v0
	v_mul_hi_u32 v1, v0, v1
	v_add_u32_e32 v59, v0, v1
	v_cndmask_b32_e64 v0, 0, 1, s[2:3]
	v_cmp_eq_u32_e64 s[0:1], 31, v4
	s_mov_b64 s[14:15], 0
	v_lshlrev_b32_e32 v60, 4, v4
	v_cmp_ne_u32_e64 s[2:3], 1, v0
	v_mov_b32_e32 v43, 0
	s_branch .LBB20_14
.LBB20_12:                              ;   in Loop: Header=BB20_14 Depth=1
	v_cvt_f32_i32_e32 v7, v7
	s_waitcnt vmcnt(3)
	v_cvt_f32_f16_e32 v11, v11
	v_cvt_f32_i32_e32 v6, v6
	v_cvt_f32_i32_e32 v5, v5
	v_add_f32_e32 v0, v0, v7
	v_cvt_f32_i32_e32 v4, v4
	v_add_f32_e32 v0, v0, v11
	v_add_f32_e32 v2, v2, v6
	v_add_f32_e32 v3, v3, v5
	v_cvt_f16_f32_e32 v5, v0
	s_waitcnt vmcnt(2)
	v_cvt_f32_f16_e32 v6, v10
	v_add_f32_e32 v4, v1, v4
	v_lshl_add_u64 v[0:1], v[40:41], 1, s[10:11]
	global_store_short v[0:1], v5, off
	v_add_f32_e32 v0, v2, v6
	v_cvt_f16_f32_e32 v2, v0
	s_waitcnt vmcnt(2)
	v_cvt_f32_f16_e32 v5, v9
	s_waitcnt vmcnt(1)
	v_cvt_f32_f16_e32 v6, v8
	v_lshl_add_u64 v[0:1], v[48:49], 1, s[10:11]
	global_store_short v[0:1], v2, off
	v_add_f32_e32 v0, v3, v5
	v_cvt_f16_f32_e32 v2, v0
	v_add_f32_e32 v0, v4, v6
	v_cvt_f16_f32_e32 v3, v0
	v_lshl_add_u64 v[0:1], v[46:47], 1, s[10:11]
	global_store_short v[0:1], v2, off
	v_lshl_add_u64 v[0:1], v[44:45], 1, s[10:11]
	global_store_short v[0:1], v3, off
.LBB20_13:                              ;   in Loop: Header=BB20_14 Depth=1
	s_or_b64 exec, exec, s[18:19]
	v_add_u32_e32 v40, s24, v40
	v_cmp_le_u32_e32 vcc, s7, v40
	s_or_b64 s[14:15], vcc, s[14:15]
	s_andn2_b64 exec, exec, s[14:15]
	s_cbranch_execz .LBB20_26
.LBB20_14:                              ; =>This Loop Header: Depth=1
                                        ;     Child Loop BB20_18 Depth 2
	s_mov_b32 s25, 0
	s_and_b64 vcc, exec, s[2:3]
	v_or_b32_e32 v48, 1, v40
	v_or_b32_e32 v46, 2, v40
	;; [unrolled: 1-line block ×3, first 2 shown]
	v_mov_b32_e32 v49, v43
	v_mov_b32_e32 v47, v43
	;; [unrolled: 1-line block ×4, first 2 shown]
	s_cbranch_vccnz .LBB20_21
; %bb.15:                               ;   in Loop: Header=BB20_14 Depth=1
	v_min_u32_e32 v0, s23, v40
	v_mul_lo_u32 v42, v0, s5
	v_min_u32_e32 v0, s23, v48
	v_min_u32_e32 v2, s23, v46
	;; [unrolled: 1-line block ×3, first 2 shown]
	v_mul_lo_u32 v0, v0, s5
	v_mov_b32_e32 v1, v43
	v_mul_lo_u32 v2, v2, s5
	v_mov_b32_e32 v3, v43
	;; [unrolled: 2-line block ×3, first 2 shown]
	v_mov_b32_e32 v41, 0
	v_lshlrev_b64 v[50:51], 1, v[42:43]
	v_lshlrev_b64 v[52:53], 1, v[0:1]
	;; [unrolled: 1-line block ×4, first 2 shown]
	v_mov_b32_e32 v61, v60
	v_mov_b32_e32 v45, 0
	;; [unrolled: 1-line block ×4, first 2 shown]
	s_branch .LBB20_18
.LBB20_16:                              ;   in Loop: Header=BB20_18 Depth=2
	s_or_b64 exec, exec, s[20:21]
.LBB20_17:                              ;   in Loop: Header=BB20_18 Depth=2
	s_or_b64 exec, exec, s[18:19]
	s_waitcnt vmcnt(7) lgkmcnt(0)
	;;#ASMSTART
	v_dot2c_f32_f16 v49, v32, v36
	;;#ASMEND
	s_waitcnt vmcnt(6)
	;;#ASMSTART
	v_dot2c_f32_f16 v47, v32, v28
	;;#ASMEND
	s_waitcnt vmcnt(5)
	;; [unrolled: 4-line block ×3, first 2 shown]
	;;#ASMSTART
	v_dot2c_f32_f16 v41, v32, v20
	;;#ASMEND
	s_addk_i32 s25, 0x200
	;;#ASMSTART
	v_dot2c_f32_f16 v49, v33, v37
	;;#ASMEND
	;;#ASMSTART
	v_dot2c_f32_f16 v47, v33, v29
	;;#ASMEND
	;; [unrolled: 3-line block ×4, first 2 shown]
	s_cmp_ge_u32 s25, s4
	;;#ASMSTART
	v_dot2c_f32_f16 v49, v34, v38
	;;#ASMEND
	;;#ASMSTART
	v_dot2c_f32_f16 v47, v34, v30
	;;#ASMEND
	;; [unrolled: 3-line block ×4, first 2 shown]
	v_add_u32_e32 v61, 0x400, v61
	;;#ASMSTART
	v_dot2c_f32_f16 v49, v35, v39
	;;#ASMEND
	;;#ASMSTART
	v_dot2c_f32_f16 v47, v35, v31
	;;#ASMEND
	;; [unrolled: 3-line block ×4, first 2 shown]
	s_waitcnt vmcnt(3)
	;;#ASMSTART
	v_dot2c_f32_f16 v49, v8, v16
	;;#ASMEND
	s_waitcnt vmcnt(2)
	;;#ASMSTART
	v_dot2c_f32_f16 v47, v8, v12
	;;#ASMEND
	;; [unrolled: 4-line block ×4, first 2 shown]
	;;#ASMSTART
	v_dot2c_f32_f16 v49, v9, v17
	;;#ASMEND
	;;#ASMSTART
	v_dot2c_f32_f16 v47, v9, v13
	;;#ASMEND
	;;#ASMSTART
	v_dot2c_f32_f16 v45, v9, v5
	;;#ASMEND
	s_nop 0
	;;#ASMSTART
	v_dot2c_f32_f16 v41, v9, v1
	;;#ASMEND
	;;#ASMSTART
	v_dot2c_f32_f16 v49, v10, v18
	;;#ASMEND
	;;#ASMSTART
	v_dot2c_f32_f16 v47, v10, v14
	;;#ASMEND
	;;#ASMSTART
	v_dot2c_f32_f16 v45, v10, v6
	;;#ASMEND
	s_nop 0
	;;#ASMSTART
	v_dot2c_f32_f16 v41, v10, v2
	;;#ASMEND
	;; [unrolled: 13-line block ×3, first 2 shown]
	s_cbranch_scc1 .LBB20_21
.LBB20_18:                              ;   Parent Loop BB20_14 Depth=1
                                        ; =>  This Inner Loop Header: Depth=2
	v_add_u32_e32 v32, s25, v58
	v_min_u32_e32 v42, s22, v32
	v_lshl_add_u64 v[0:1], v[42:43], 1, s[12:13]
	v_lshl_add_u64 v[2:3], v[0:1], 0, v[50:51]
	v_add_u32_e32 v62, 0x100, v32
	v_lshl_add_u64 v[4:5], v[0:1], 0, v[52:53]
	global_load_dwordx4 v[36:39], v[2:3], off nt
	global_load_dwordx4 v[28:31], v[4:5], off nt
	v_lshl_add_u64 v[2:3], v[0:1], 0, v[54:55]
	v_lshl_add_u64 v[0:1], v[0:1], 0, v[56:57]
	v_min_u32_e32 v42, s22, v62
	global_load_dwordx4 v[24:27], v[2:3], off nt
	global_load_dwordx4 v[20:23], v[0:1], off nt
	v_lshl_add_u64 v[0:1], v[42:43], 1, s[12:13]
	v_lshl_add_u64 v[2:3], v[0:1], 0, v[50:51]
	v_lshl_add_u64 v[4:5], v[0:1], 0, v[52:53]
	v_lshl_add_u64 v[8:9], v[0:1], 0, v[54:55]
	global_load_dwordx4 v[16:19], v[2:3], off nt
	global_load_dwordx4 v[12:15], v[4:5], off nt
	v_lshl_add_u64 v[10:11], v[0:1], 0, v[56:57]
	global_load_dwordx4 v[4:7], v[8:9], off nt
	global_load_dwordx4 v[0:3], v[10:11], off nt
	v_cmp_gt_u32_e32 vcc, s4, v32
	v_mov_b32_e32 v34, 0
	v_mov_b32_e32 v35, 0
	;; [unrolled: 1-line block ×8, first 2 shown]
	s_and_saveexec_b64 s[18:19], vcc
	s_cbranch_execz .LBB20_17
; %bb.19:                               ;   in Loop: Header=BB20_18 Depth=2
	ds_read_b128 v[32:35], v61
	v_cmp_gt_u32_e32 vcc, s4, v62
	v_mov_b32_e32 v11, 0
	v_mov_b32_e32 v10, 0
	;; [unrolled: 1-line block ×4, first 2 shown]
	s_and_saveexec_b64 s[20:21], vcc
	s_cbranch_execz .LBB20_16
; %bb.20:                               ;   in Loop: Header=BB20_18 Depth=2
	ds_read_b128 v[8:11], v61 offset:512
	s_branch .LBB20_16
.LBB20_21:                              ;   in Loop: Header=BB20_14 Depth=1
	; sched_barrier mask(0x00000000)
	v_cvt_i32_f32_e32 v0, v49
	v_cvt_i32_f32_e32 v1, v47
	;; [unrolled: 1-line block ×4, first 2 shown]
	v_cvt_f32_i32_dpp v0, v0 row_shr:8 row_mask:0xf bank_mask:0xf bound_ctrl:1
	v_cvt_f32_i32_dpp v1, v1 row_shr:8 row_mask:0xf bank_mask:0xf bound_ctrl:1
	;; [unrolled: 1-line block ×4, first 2 shown]
	v_add_f32_e32 v0, v49, v0
	v_cvt_i32_f32_e32 v4, v0
	v_add_f32_e32 v1, v47, v1
	v_cvt_i32_f32_e32 v5, v1
	v_add_f32_e32 v2, v45, v2
	v_cvt_f32_i32_dpp v4, v4 row_shr:4 row_mask:0xf bank_mask:0xf bound_ctrl:1
	v_add_f32_e32 v3, v41, v3
	v_cvt_f32_i32_dpp v5, v5 row_shr:4 row_mask:0xf bank_mask:0xf bound_ctrl:1
	v_cvt_i32_f32_e32 v6, v2
	v_add_f32_e32 v0, v0, v4
	v_cvt_i32_f32_e32 v4, v0
	v_cvt_i32_f32_e32 v7, v3
	v_add_f32_e32 v1, v1, v5
	v_cvt_i32_f32_e32 v5, v1
	v_cvt_f32_i32_dpp v4, v4 row_shr:2 row_mask:0xf bank_mask:0xf bound_ctrl:1
	v_cvt_f32_i32_dpp v6, v6 row_shr:4 row_mask:0xf bank_mask:0xf bound_ctrl:1
	;; [unrolled: 1-line block ×4, first 2 shown]
	v_add_f32_e32 v0, v0, v4
	v_cvt_i32_f32_e32 v4, v0
	v_add_f32_e32 v2, v2, v6
	v_add_f32_e32 v3, v3, v7
	v_cvt_i32_f32_e32 v6, v2
	v_cvt_f32_i32_dpp v4, v4 row_shr:1 row_mask:0xf bank_mask:0xf bound_ctrl:1
	v_add_f32_e32 v1, v1, v5
	v_cvt_i32_f32_e32 v7, v3
	v_cvt_i32_f32_e32 v5, v1
	v_add_f32_e32 v0, v0, v4
	v_cvt_f32_i32_dpp v6, v6 row_shr:2 row_mask:0xf bank_mask:0xf bound_ctrl:1
	v_cvt_f32_i32_dpp v7, v7 row_shr:2 row_mask:0xf bank_mask:0xf bound_ctrl:1
	v_cvt_i32_f32_e32 v4, v0
	v_cvt_f32_i32_dpp v5, v5 row_shr:1 row_mask:0xf bank_mask:0xf bound_ctrl:1
	v_add_f32_e32 v2, v2, v6
	v_add_f32_e32 v3, v3, v7
	v_cvt_f32_i32_dpp v4, v4 row_bcast:15 row_mask:0xf bank_mask:0xf bound_ctrl:1
	v_add_f32_e32 v1, v1, v5
	v_cvt_i32_f32_e32 v5, v2
	v_cvt_i32_f32_e32 v6, v3
	v_add_f32_e32 v0, v0, v4
	v_cvt_i32_f32_e32 v7, v1
	v_cvt_f32_i32_dpp v5, v5 row_shr:1 row_mask:0xf bank_mask:0xf bound_ctrl:1
	v_cvt_f32_i32_dpp v4, v6 row_shr:1 row_mask:0xf bank_mask:0xf bound_ctrl:1
	v_cvt_f32_i32_dpp v6, v7 row_bcast:15 row_mask:0xf bank_mask:0xf bound_ctrl:1
	v_add_f32_e32 v5, v2, v5
	v_add_f32_e32 v4, v3, v4
	v_cvt_i32_f32_e32 v2, v5
	v_cvt_i32_f32_e32 v3, v4
	;; [unrolled: 1-line block ×3, first 2 shown]
	v_cvt_f32_i32_dpp v8, v2 row_bcast:15 row_mask:0xf bank_mask:0xf bound_ctrl:1
	v_add_f32_e32 v2, v1, v6
	v_cvt_f32_i32_dpp v1, v3 row_bcast:15 row_mask:0xf bank_mask:0xf bound_ctrl:1
	v_cvt_i32_f32_e32 v6, v2
	v_add_f32_e32 v3, v5, v8
	v_cvt_i32_f32_e32 v5, v3
	v_add_f32_e32 v1, v4, v1
	v_cvt_i32_f32_e32 v4, v1
	v_mov_b32_dpp v7, v7 row_bcast:31 row_mask:0xf bank_mask:0xf bound_ctrl:1
	v_mov_b32_dpp v6, v6 row_bcast:31 row_mask:0xf bank_mask:0xf bound_ctrl:1
	;; [unrolled: 1-line block ×4, first 2 shown]
	s_and_saveexec_b64 s[18:19], s[0:1]
	s_cbranch_execz .LBB20_13
; %bb.22:                               ;   in Loop: Header=BB20_14 Depth=1
	s_and_b64 vcc, exec, s[16:17]
	s_cbranch_vccz .LBB20_24
; %bb.23:                               ;   in Loop: Header=BB20_14 Depth=1
	v_mul_hi_u32 v8, v40, v59
	v_mul_lo_u32 v8, v8, s6
	v_sub_u32_e32 v8, v40, v8
	v_subrev_u32_e32 v9, s6, v8
	v_cmp_le_u32_e32 vcc, s6, v8
	v_mov_b32_e32 v41, v43
	v_mov_b32_e32 v49, v43
	v_cndmask_b32_e32 v8, v8, v9, vcc
	v_subrev_u32_e32 v9, s6, v8
	v_cmp_le_u32_e32 vcc, s6, v8
	v_mov_b32_e32 v47, v43
	v_mov_b32_e32 v45, v43
	v_cndmask_b32_e32 v42, v8, v9, vcc
	v_mul_hi_u32 v8, v48, v59
	v_mul_lo_u32 v8, v8, s6
	v_sub_u32_e32 v8, v48, v8
	v_subrev_u32_e32 v9, s6, v8
	v_cmp_le_u32_e32 vcc, s6, v8
	v_lshl_add_u64 v[12:13], v[42:43], 1, s[8:9]
	s_nop 0
	v_cndmask_b32_e32 v8, v8, v9, vcc
	v_subrev_u32_e32 v9, s6, v8
	v_cmp_le_u32_e32 vcc, s6, v8
	s_nop 1
	v_cndmask_b32_e32 v42, v8, v9, vcc
	v_mul_hi_u32 v8, v46, v59
	v_mul_lo_u32 v8, v8, s6
	v_sub_u32_e32 v8, v46, v8
	v_subrev_u32_e32 v9, s6, v8
	v_cmp_le_u32_e32 vcc, s6, v8
	v_lshl_add_u64 v[14:15], v[42:43], 1, s[8:9]
	s_nop 0
	v_cndmask_b32_e32 v8, v8, v9, vcc
	v_subrev_u32_e32 v9, s6, v8
	v_cmp_le_u32_e32 vcc, s6, v8
	s_nop 1
	;; [unrolled: 12-line block ×3, first 2 shown]
	v_cndmask_b32_e32 v42, v8, v9, vcc
	v_lshl_add_u64 v[18:19], v[42:43], 1, s[8:9]
	global_load_ushort v11, v[12:13], off
	global_load_ushort v10, v[14:15], off
	;; [unrolled: 1-line block ×4, first 2 shown]
	s_cbranch_execnz .LBB20_12
	s_branch .LBB20_25
.LBB20_24:                              ;   in Loop: Header=BB20_14 Depth=1
                                        ; implicit-def: $vgpr11
                                        ; implicit-def: $vgpr10
                                        ; implicit-def: $vgpr9
                                        ; implicit-def: $vgpr8
.LBB20_25:                              ;   in Loop: Header=BB20_14 Depth=1
	v_mov_b32_e32 v41, v43
	v_mov_b32_e32 v49, v43
	;; [unrolled: 1-line block ×4, first 2 shown]
	s_waitcnt vmcnt(0)
	v_mov_b32_e32 v8, 0
	v_mov_b32_e32 v9, 0
	;; [unrolled: 1-line block ×4, first 2 shown]
	s_branch .LBB20_12
.LBB20_26:
	s_endpgm
	.section	.rodata,"a",@progbits
	.p2align	6, 0x0
	.amdhsa_kernel _Z16wvSplitK_hf_sml_I6__halfLi32ELi4ELi16ELi8ELi2ELi1EEviiiiiiPKT_S3_S3_PS1_ii
		.amdhsa_group_segment_fixed_size 65536
		.amdhsa_private_segment_fixed_size 0
		.amdhsa_kernarg_size 64
		.amdhsa_user_sgpr_count 2
		.amdhsa_user_sgpr_dispatch_ptr 0
		.amdhsa_user_sgpr_queue_ptr 0
		.amdhsa_user_sgpr_kernarg_segment_ptr 1
		.amdhsa_user_sgpr_dispatch_id 0
		.amdhsa_user_sgpr_kernarg_preload_length 0
		.amdhsa_user_sgpr_kernarg_preload_offset 0
		.amdhsa_user_sgpr_private_segment_size 0
		.amdhsa_uses_dynamic_stack 0
		.amdhsa_enable_private_segment 0
		.amdhsa_system_sgpr_workgroup_id_x 1
		.amdhsa_system_sgpr_workgroup_id_y 0
		.amdhsa_system_sgpr_workgroup_id_z 0
		.amdhsa_system_sgpr_workgroup_info 0
		.amdhsa_system_vgpr_workitem_id 1
		.amdhsa_next_free_vgpr 63
		.amdhsa_next_free_sgpr 26
		.amdhsa_accum_offset 64
		.amdhsa_reserve_vcc 1
		.amdhsa_float_round_mode_32 0
		.amdhsa_float_round_mode_16_64 0
		.amdhsa_float_denorm_mode_32 3
		.amdhsa_float_denorm_mode_16_64 3
		.amdhsa_dx10_clamp 1
		.amdhsa_ieee_mode 1
		.amdhsa_fp16_overflow 0
		.amdhsa_tg_split 0
		.amdhsa_exception_fp_ieee_invalid_op 0
		.amdhsa_exception_fp_denorm_src 0
		.amdhsa_exception_fp_ieee_div_zero 0
		.amdhsa_exception_fp_ieee_overflow 0
		.amdhsa_exception_fp_ieee_underflow 0
		.amdhsa_exception_fp_ieee_inexact 0
		.amdhsa_exception_int_div_zero 0
	.end_amdhsa_kernel
	.section	.text._Z16wvSplitK_hf_sml_I6__halfLi32ELi4ELi16ELi8ELi2ELi1EEviiiiiiPKT_S3_S3_PS1_ii,"axG",@progbits,_Z16wvSplitK_hf_sml_I6__halfLi32ELi4ELi16ELi8ELi2ELi1EEviiiiiiPKT_S3_S3_PS1_ii,comdat
.Lfunc_end20:
	.size	_Z16wvSplitK_hf_sml_I6__halfLi32ELi4ELi16ELi8ELi2ELi1EEviiiiiiPKT_S3_S3_PS1_ii, .Lfunc_end20-_Z16wvSplitK_hf_sml_I6__halfLi32ELi4ELi16ELi8ELi2ELi1EEviiiiiiPKT_S3_S3_PS1_ii
                                        ; -- End function
	.section	.AMDGPU.csdata,"",@progbits
; Kernel info:
; codeLenInByte = 2372
; NumSgprs: 32
; NumVgprs: 63
; NumAgprs: 0
; TotalNumVgprs: 63
; ScratchSize: 0
; MemoryBound: 0
; FloatMode: 240
; IeeeMode: 1
; LDSByteSize: 65536 bytes/workgroup (compile time only)
; SGPRBlocks: 3
; VGPRBlocks: 7
; NumSGPRsForWavesPerEU: 32
; NumVGPRsForWavesPerEU: 63
; AccumOffset: 64
; Occupancy: 2
; WaveLimiterHint : 0
; COMPUTE_PGM_RSRC2:SCRATCH_EN: 0
; COMPUTE_PGM_RSRC2:USER_SGPR: 2
; COMPUTE_PGM_RSRC2:TRAP_HANDLER: 0
; COMPUTE_PGM_RSRC2:TGID_X_EN: 1
; COMPUTE_PGM_RSRC2:TGID_Y_EN: 0
; COMPUTE_PGM_RSRC2:TGID_Z_EN: 0
; COMPUTE_PGM_RSRC2:TIDIG_COMP_CNT: 1
; COMPUTE_PGM_RSRC3_GFX90A:ACCUM_OFFSET: 15
; COMPUTE_PGM_RSRC3_GFX90A:TG_SPLIT: 0
	.section	.text._Z12wvSplitK_hf_I6__halfLi32ELi4ELi16ELi8ELi2ELi1EEviiiiiiPKT_S3_S3_PS1_ii,"axG",@progbits,_Z12wvSplitK_hf_I6__halfLi32ELi4ELi16ELi8ELi2ELi1EEviiiiiiPKT_S3_S3_PS1_ii,comdat
	.protected	_Z12wvSplitK_hf_I6__halfLi32ELi4ELi16ELi8ELi2ELi1EEviiiiiiPKT_S3_S3_PS1_ii ; -- Begin function _Z12wvSplitK_hf_I6__halfLi32ELi4ELi16ELi8ELi2ELi1EEviiiiiiPKT_S3_S3_PS1_ii
	.globl	_Z12wvSplitK_hf_I6__halfLi32ELi4ELi16ELi8ELi2ELi1EEviiiiiiPKT_S3_S3_PS1_ii
	.p2align	8
	.type	_Z12wvSplitK_hf_I6__halfLi32ELi4ELi16ELi8ELi2ELi1EEviiiiiiPKT_S3_S3_PS1_ii,@function
_Z12wvSplitK_hf_I6__halfLi32ELi4ELi16ELi8ELi2ELi1EEviiiiiiPKT_S3_S3_PS1_ii: ; @_Z12wvSplitK_hf_I6__halfLi32ELi4ELi16ELi8ELi2ELi1EEviiiiiiPKT_S3_S3_PS1_ii
; %bb.0:
	s_load_dwordx2 s[20:21], s[0:1], 0x38
	s_load_dwordx2 s[16:17], s[0:1], 0x20
	s_load_dwordx4 s[8:11], s[0:1], 0x0
	s_load_dword s33, s[0:1], 0x10
	v_bfe_u32 v8, v0, 10, 10
	s_waitcnt lgkmcnt(0)
	s_mul_i32 s2, s2, s20
	v_add_lshl_u32 v46, s2, v8, 2
	s_mov_b32 s4, 1
	v_add_u32_e32 v1, 4, v46
	s_mov_b32 s5, s4
	v_cmp_gt_u32_e32 vcc, s11, v46
	v_cmp_le_u32_e64 s[2:3], s11, v1
	s_mov_b32 s6, s4
	s_mov_b32 s7, s4
	v_mov_b64_e32 v[2:3], s[4:5]
	s_and_b64 s[12:13], vcc, s[2:3]
	v_mov_b64_e32 v[4:5], s[6:7]
	s_and_saveexec_b64 s[2:3], s[12:13]
	s_cbranch_execz .LBB21_6
; %bb.1:
	s_add_i32 s22, s11, -4
	v_mov_b64_e32 v[2:3], s[4:5]
	v_cmp_ne_u32_e32 vcc, s22, v46
	v_mov_b64_e32 v[4:5], s[6:7]
	s_and_saveexec_b64 s[12:13], vcc
	s_cbranch_execz .LBB21_5
; %bb.2:
	v_subrev_u32_e32 v1, s22, v46
	v_cmp_lt_u32_e32 vcc, 1, v1
	s_mov_b64 s[14:15], 0
	s_mov_b64 s[18:19], 0
	v_cndmask_b32_e32 v6, 1, v1, vcc
	s_mov_b32 s5, s4
	s_mov_b32 s6, s4
	;; [unrolled: 1-line block ×3, first 2 shown]
.LBB21_3:                               ; =>This Inner Loop Header: Depth=1
	s_cmp_lg_u32 s18, 3
	s_cselect_b32 s7, s7, 0
	s_cmp_lg_u32 s18, 2
	s_cselect_b32 s6, s6, 0
	;; [unrolled: 2-line block ×4, first 2 shown]
	s_add_u32 s18, s18, 1
	s_addc_u32 s19, s19, 0
	v_cmp_eq_u32_e32 vcc, s18, v6
	v_mov_b64_e32 v[2:3], s[4:5]
	s_or_b64 s[14:15], vcc, s[14:15]
	v_mov_b64_e32 v[4:5], s[6:7]
	s_andn2_b64 exec, exec, s[14:15]
	s_cbranch_execnz .LBB21_3
; %bb.4:
	s_or_b64 exec, exec, s[14:15]
	v_mov_b32_e32 v46, s22
.LBB21_5:
	s_or_b64 exec, exec, s[12:13]
.LBB21_6:
	s_or_b64 exec, exec, s[2:3]
	v_and_b32_e32 v9, 0x3ff, v0
	v_lshlrev_b32_e32 v66, 3, v9
	v_lshl_add_u32 v10, v8, 8, v66
	s_min_u32 s4, s10, 0x8000
	v_cmp_gt_u32_e32 vcc, s4, v10
	s_and_saveexec_b64 s[2:3], vcc
	s_cbranch_execz .LBB21_15
; %bb.7:
	v_lshlrev_b32_e32 v0, 1, v10
	global_load_dwordx4 v[12:15], v0, s[16:17]
	v_add_u32_e32 v1, 0x1000, v10
	v_cmp_gt_u32_e32 vcc, s4, v1
	s_waitcnt vmcnt(0)
	ds_write_b128 v0, v[12:15]
	s_and_saveexec_b64 s[6:7], vcc
	s_xor_b64 s[6:7], exec, s[6:7]
	s_cbranch_execz .LBB21_15
; %bb.8:
	v_mov_b32_e32 v1, 0
	v_lshl_add_u64 v[6:7], s[16:17], 0, v[0:1]
	v_add_co_u32_e32 v12, vcc, 0x2000, v6
	v_add_u32_e32 v1, 0x2000, v10
	s_nop 0
	v_addc_co_u32_e32 v13, vcc, 0, v7, vcc
	global_load_dwordx4 v[12:15], v[12:13], off
	v_cmp_gt_u32_e32 vcc, s4, v1
	s_waitcnt vmcnt(0)
	ds_write_b128 v0, v[12:15] offset:8192
	s_and_saveexec_b64 s[6:7], vcc
	s_xor_b64 s[6:7], exec, s[6:7]
	s_cbranch_execz .LBB21_15
; %bb.9:
	v_add_co_u32_e32 v12, vcc, 0x4000, v6
	v_add_u32_e32 v1, 0x3000, v10
	s_nop 0
	v_addc_co_u32_e32 v13, vcc, 0, v7, vcc
	global_load_dwordx4 v[12:15], v[12:13], off
	v_cmp_gt_u32_e32 vcc, s4, v1
	s_waitcnt vmcnt(0)
	ds_write_b128 v0, v[12:15] offset:16384
	s_and_saveexec_b64 s[6:7], vcc
	s_xor_b64 s[6:7], exec, s[6:7]
	s_cbranch_execz .LBB21_15
; %bb.10:
	;; [unrolled: 12-line block ×6, first 2 shown]
	v_add_co_u32_e32 v6, vcc, 0xe000, v6
	s_nop 1
	v_addc_co_u32_e32 v7, vcc, 0, v7, vcc
	global_load_dwordx4 v[10:13], v[6:7], off
	s_waitcnt vmcnt(0)
	ds_write_b128 v0, v[10:13] offset:57344
.LBB21_15:
	s_or_b64 exec, exec, s[2:3]
	v_cmp_gt_u32_e32 vcc, s20, v8
	v_cmp_gt_u32_e64 s[2:3], s11, v46
	s_and_b64 s[2:3], vcc, s[2:3]
	s_waitcnt lgkmcnt(0)
	s_barrier
	s_and_saveexec_b64 s[4:5], s[2:3]
	s_cbranch_execz .LBB21_50
; %bb.16:
	v_cvt_f32_u32_e32 v0, s33
	s_load_dwordx4 s[12:15], s[0:1], 0x28
	s_load_dwordx2 s[18:19], s[0:1], 0x18
	s_cmp_lg_u32 s8, 0
	s_cselect_b64 s[2:3], -1, 0
	v_rcp_iflag_f32_e32 v0, v0
	s_add_i32 s10, s8, -8
	s_add_i32 s34, s11, -1
	s_mul_i32 s6, s20, s21
	v_mul_f32_e32 v0, 0x4f7ffffe, v0
	v_cvt_u32_f32_e32 v0, v0
	s_waitcnt lgkmcnt(0)
	s_cmp_lg_u64 s[12:13], 0
	s_cselect_b64 s[4:5], -1, 0
	s_lshl_b32 s35, s6, 2
	s_sub_i32 s6, 0, s33
	v_mul_lo_u32 v1, s6, v0
	v_mul_hi_u32 v1, v0, v1
	v_add_u32_e32 v67, v0, v1
	v_cndmask_b32_e64 v0, 0, 1, s[2:3]
	v_cmp_ne_u32_e64 s[2:3], 1, v0
	v_cndmask_b32_e64 v0, 0, 1, s[4:5]
	v_cmp_eq_u32_e64 s[0:1], 31, v9
	s_mov_b64 s[20:21], 0
	s_add_i32 s36, s11, -4
	v_mov_b32_e32 v1, 0
	v_lshlrev_b32_e32 v68, 4, v9
	s_movk_i32 s37, 0x7fff
	s_mov_b32 s22, 0
	v_cmp_ne_u32_e64 s[4:5], 1, v0
	s_branch .LBB21_19
.LBB21_17:                              ;   in Loop: Header=BB21_19 Depth=1
	s_or_b64 exec, exec, s[26:27]
	v_mov_b32_e32 v46, s36
.LBB21_18:                              ;   in Loop: Header=BB21_19 Depth=1
	s_or_b64 exec, exec, s[24:25]
	v_cmp_le_u32_e32 vcc, s11, v46
	s_or_b64 s[20:21], vcc, s[20:21]
	s_andn2_b64 exec, exec, s[20:21]
	s_cbranch_execz .LBB21_50
.LBB21_19:                              ; =>This Loop Header: Depth=1
                                        ;     Child Loop BB21_24 Depth 2
                                        ;     Child Loop BB21_45 Depth 2
	s_and_b64 vcc, exec, s[2:3]
	v_add_u32_e32 v52, 1, v46
	v_add_u32_e32 v50, 2, v46
	;; [unrolled: 1-line block ×3, first 2 shown]
	v_mov_b32_e32 v53, v1
	v_mov_b32_e32 v51, v1
	;; [unrolled: 1-line block ×4, first 2 shown]
	s_cbranch_vccnz .LBB21_34
; %bb.20:                               ;   in Loop: Header=BB21_19 Depth=1
	v_min_u32_e32 v0, s34, v46
	v_min_u32_e32 v6, s34, v52
	;; [unrolled: 1-line block ×4, first 2 shown]
	v_mul_lo_u32 v0, v0, s9
	v_mul_lo_u32 v6, v6, s9
	v_mov_b32_e32 v7, v1
	v_mul_lo_u32 v8, v8, s9
	v_mov_b32_e32 v9, v1
	;; [unrolled: 2-line block ×3, first 2 shown]
	v_mov_b32_e32 v47, 0
	v_lshlrev_b64 v[54:55], 1, v[0:1]
	v_lshlrev_b64 v[56:57], 1, v[6:7]
	;; [unrolled: 1-line block ×4, first 2 shown]
	v_mov_b32_e32 v69, v68
	v_mov_b32_e32 v49, 0
	;; [unrolled: 1-line block ×4, first 2 shown]
	s_mov_b32 s28, s22
	s_branch .LBB21_24
.LBB21_21:                              ;   in Loop: Header=BB21_24 Depth=2
	s_or_b64 exec, exec, s[26:27]
.LBB21_22:                              ;   in Loop: Header=BB21_24 Depth=2
	s_or_b64 exec, exec, s[24:25]
.LBB21_23:                              ;   in Loop: Header=BB21_24 Depth=2
	s_or_b64 exec, exec, s[6:7]
	s_waitcnt vmcnt(0) lgkmcnt(0)
	;;#ASMSTART
	v_dot2c_f32_f16 v53, v38, v34
	;;#ASMEND
	;;#ASMSTART
	v_dot2c_f32_f16 v51, v38, v30
	;;#ASMEND
	;; [unrolled: 3-line block ×4, first 2 shown]
	s_addk_i32 s28, 0x200
	;;#ASMSTART
	v_dot2c_f32_f16 v53, v39, v35
	;;#ASMEND
	;;#ASMSTART
	v_dot2c_f32_f16 v51, v39, v31
	;;#ASMEND
	;; [unrolled: 3-line block ×4, first 2 shown]
	s_cmp_ge_u32 s28, s8
	;;#ASMSTART
	v_dot2c_f32_f16 v53, v40, v36
	;;#ASMEND
	;;#ASMSTART
	v_dot2c_f32_f16 v51, v40, v32
	;;#ASMEND
	;; [unrolled: 3-line block ×4, first 2 shown]
	v_add_u32_e32 v69, 0x400, v69
	;;#ASMSTART
	v_dot2c_f32_f16 v53, v41, v37
	;;#ASMEND
	;;#ASMSTART
	v_dot2c_f32_f16 v51, v41, v33
	;;#ASMEND
	;;#ASMSTART
	v_dot2c_f32_f16 v49, v41, v29
	;;#ASMEND
	;;#ASMSTART
	v_dot2c_f32_f16 v47, v41, v25
	;;#ASMEND
	s_nop 0
	;;#ASMSTART
	v_dot2c_f32_f16 v53, v42, v18
	;;#ASMEND
	;;#ASMSTART
	v_dot2c_f32_f16 v51, v42, v14
	;;#ASMEND
	;;#ASMSTART
	v_dot2c_f32_f16 v49, v42, v10
	;;#ASMEND
	;;#ASMSTART
	v_dot2c_f32_f16 v47, v42, v6
	;;#ASMEND
	s_nop 0
	;; [unrolled: 13-line block ×4, first 2 shown]
	;;#ASMSTART
	v_dot2c_f32_f16 v53, v45, v21
	;;#ASMEND
	;;#ASMSTART
	v_dot2c_f32_f16 v51, v45, v17
	;;#ASMEND
	;; [unrolled: 3-line block ×4, first 2 shown]
	s_cbranch_scc1 .LBB21_34
.LBB21_24:                              ;   Parent Loop BB21_19 Depth=1
                                        ; =>  This Inner Loop Header: Depth=2
	v_add_u32_e32 v64, s28, v66
	v_min_u32_e32 v0, s10, v64
	v_lshl_add_u64 v[6:7], v[0:1], 1, s[18:19]
	v_lshl_add_u64 v[8:9], v[6:7], 0, v[54:55]
	v_add_u32_e32 v62, 0x100, v64
	v_lshl_add_u64 v[10:11], v[6:7], 0, v[56:57]
	global_load_dwordx4 v[34:37], v[8:9], off nt
	global_load_dwordx4 v[30:33], v[10:11], off nt
	v_lshl_add_u64 v[8:9], v[6:7], 0, v[58:59]
	v_lshl_add_u64 v[6:7], v[6:7], 0, v[60:61]
	v_min_u32_e32 v0, s10, v62
	global_load_dwordx4 v[26:29], v[8:9], off nt
	global_load_dwordx4 v[22:25], v[6:7], off nt
	v_lshl_add_u64 v[6:7], v[0:1], 1, s[18:19]
	v_lshl_add_u64 v[8:9], v[6:7], 0, v[54:55]
	;; [unrolled: 1-line block ×4, first 2 shown]
	global_load_dwordx4 v[18:21], v[8:9], off nt
	global_load_dwordx4 v[14:17], v[10:11], off nt
	v_lshl_add_u64 v[40:41], v[6:7], 0, v[60:61]
	global_load_dwordx4 v[10:13], v[38:39], off nt
	global_load_dwordx4 v[6:9], v[40:41], off nt
	s_mov_b32 s23, s22
	v_cmp_gt_u32_e32 vcc, s8, v64
	v_mov_b64_e32 v[38:39], s[22:23]
	v_mov_b32_e32 v45, 0
	v_mov_b32_e32 v44, 0
	v_mov_b32_e32 v43, 0
	v_mov_b32_e32 v42, 0
	v_mov_b64_e32 v[40:41], s[22:23]
	s_and_saveexec_b64 s[6:7], vcc
	s_cbranch_execz .LBB21_23
; %bb.25:                               ;   in Loop: Header=BB21_24 Depth=2
	v_cmp_lt_u32_e32 vcc, s37, v64
                                        ; implicit-def: $vgpr38_vgpr39
	s_and_saveexec_b64 s[24:25], vcc
	s_xor_b64 s[24:25], exec, s[24:25]
	s_cbranch_execz .LBB21_27
; %bb.26:                               ;   in Loop: Header=BB21_24 Depth=2
	v_mov_b32_e32 v65, v1
	v_lshl_add_u64 v[38:39], v[64:65], 1, s[16:17]
	global_load_dwordx4 v[38:41], v[38:39], off
.LBB21_27:                              ;   in Loop: Header=BB21_24 Depth=2
	s_andn2_saveexec_b64 s[24:25], s[24:25]
	s_cbranch_execz .LBB21_29
; %bb.28:                               ;   in Loop: Header=BB21_24 Depth=2
	s_waitcnt vmcnt(0)
	ds_read_b128 v[38:41], v69
.LBB21_29:                              ;   in Loop: Header=BB21_24 Depth=2
	s_or_b64 exec, exec, s[24:25]
	v_cmp_gt_u32_e32 vcc, s8, v62
	v_mov_b32_e32 v45, 0
	v_mov_b32_e32 v44, 0
	;; [unrolled: 1-line block ×4, first 2 shown]
	s_and_saveexec_b64 s[24:25], vcc
	s_cbranch_execz .LBB21_22
; %bb.30:                               ;   in Loop: Header=BB21_24 Depth=2
	v_cmp_lt_u32_e32 vcc, s37, v62
                                        ; implicit-def: $vgpr45
	s_and_saveexec_b64 s[26:27], vcc
	s_xor_b64 s[26:27], exec, s[26:27]
	s_cbranch_execz .LBB21_32
; %bb.31:                               ;   in Loop: Header=BB21_24 Depth=2
	v_mov_b32_e32 v63, v1
	v_lshl_add_u64 v[42:43], v[62:63], 1, s[16:17]
	global_load_dwordx4 v[42:45], v[42:43], off
.LBB21_32:                              ;   in Loop: Header=BB21_24 Depth=2
	s_andn2_saveexec_b64 s[26:27], s[26:27]
	s_cbranch_execz .LBB21_21
; %bb.33:                               ;   in Loop: Header=BB21_24 Depth=2
	s_waitcnt vmcnt(0)
	ds_read_b128 v[42:45], v69 offset:512
	s_branch .LBB21_21
.LBB21_34:                              ;   in Loop: Header=BB21_19 Depth=1
	v_cvt_i32_f32_e32 v0, v53
	v_cvt_i32_f32_e32 v6, v51
	;; [unrolled: 1-line block ×4, first 2 shown]
	v_cvt_f32_i32_dpp v0, v0 row_shr:8 row_mask:0xf bank_mask:0xf bound_ctrl:1
	v_cvt_f32_i32_dpp v6, v6 row_shr:8 row_mask:0xf bank_mask:0xf bound_ctrl:1
	;; [unrolled: 1-line block ×4, first 2 shown]
	v_add_f32_e32 v0, v53, v0
	v_cvt_i32_f32_e32 v9, v0
	v_add_f32_e32 v6, v51, v6
	v_cvt_i32_f32_e32 v10, v6
	v_add_f32_e32 v7, v49, v7
	v_cvt_f32_i32_dpp v9, v9 row_shr:4 row_mask:0xf bank_mask:0xf bound_ctrl:1
	v_add_f32_e32 v8, v47, v8
	v_cvt_f32_i32_dpp v10, v10 row_shr:4 row_mask:0xf bank_mask:0xf bound_ctrl:1
	v_cvt_i32_f32_e32 v11, v7
	v_add_f32_e32 v0, v0, v9
	v_cvt_i32_f32_e32 v9, v0
	v_cvt_i32_f32_e32 v12, v8
	v_add_f32_e32 v6, v6, v10
	v_cvt_i32_f32_e32 v10, v6
	v_cvt_f32_i32_dpp v9, v9 row_shr:2 row_mask:0xf bank_mask:0xf bound_ctrl:1
	v_cvt_f32_i32_dpp v11, v11 row_shr:4 row_mask:0xf bank_mask:0xf bound_ctrl:1
	;; [unrolled: 1-line block ×4, first 2 shown]
	v_add_f32_e32 v0, v0, v9
	v_cvt_i32_f32_e32 v9, v0
	v_add_f32_e32 v7, v7, v11
	v_add_f32_e32 v8, v8, v12
	v_cvt_i32_f32_e32 v11, v7
	v_cvt_f32_i32_dpp v9, v9 row_shr:1 row_mask:0xf bank_mask:0xf bound_ctrl:1
	v_add_f32_e32 v6, v6, v10
	v_cvt_i32_f32_e32 v12, v8
	v_cvt_i32_f32_e32 v10, v6
	v_add_f32_e32 v0, v0, v9
	v_cvt_f32_i32_dpp v11, v11 row_shr:2 row_mask:0xf bank_mask:0xf bound_ctrl:1
	v_cvt_f32_i32_dpp v12, v12 row_shr:2 row_mask:0xf bank_mask:0xf bound_ctrl:1
	v_cvt_i32_f32_e32 v9, v0
	v_cvt_f32_i32_dpp v10, v10 row_shr:1 row_mask:0xf bank_mask:0xf bound_ctrl:1
	v_add_f32_e32 v7, v7, v11
	v_add_f32_e32 v8, v8, v12
	v_cvt_f32_i32_dpp v9, v9 row_bcast:15 row_mask:0xf bank_mask:0xf bound_ctrl:1
	v_add_f32_e32 v6, v6, v10
	v_cvt_i32_f32_e32 v10, v7
	v_cvt_i32_f32_e32 v12, v8
	v_add_f32_e32 v11, v0, v9
	v_cvt_i32_f32_e32 v13, v6
	v_cvt_f32_i32_dpp v10, v10 row_shr:1 row_mask:0xf bank_mask:0xf bound_ctrl:1
	v_cvt_f32_i32_dpp v0, v12 row_shr:1 row_mask:0xf bank_mask:0xf bound_ctrl:1
	v_cvt_i32_f32_e32 v12, v11
	v_cvt_f32_i32_dpp v9, v13 row_bcast:15 row_mask:0xf bank_mask:0xf bound_ctrl:1
	v_add_f32_e32 v7, v7, v10
	v_add_f32_e32 v0, v8, v0
	v_cvt_i32_f32_e32 v10, v7
	v_cvt_i32_f32_e32 v8, v0
	s_nop 0
	v_cvt_f32_i32_dpp v13, v10 row_bcast:15 row_mask:0xf bank_mask:0xf bound_ctrl:1
	v_add_f32_e32 v10, v6, v9
	v_cvt_f32_i32_dpp v6, v8 row_bcast:15 row_mask:0xf bank_mask:0xf bound_ctrl:1
	v_cvt_i32_f32_e32 v9, v10
	v_add_f32_e32 v8, v7, v13
	v_cvt_i32_f32_e32 v7, v8
	v_add_f32_e32 v6, v0, v6
	v_cvt_i32_f32_e32 v0, v6
	v_mov_b32_dpp v13, v12 row_bcast:31 row_mask:0xf bank_mask:0xf bound_ctrl:1
	v_mov_b32_dpp v12, v9 row_bcast:31 row_mask:0xf bank_mask:0xf bound_ctrl:1
	;; [unrolled: 1-line block ×4, first 2 shown]
	s_and_saveexec_b64 s[6:7], s[0:1]
	s_cbranch_execz .LBB21_42
; %bb.35:                               ;   in Loop: Header=BB21_19 Depth=1
	s_and_b64 vcc, exec, s[4:5]
	v_mov_b32_e32 v0, 0
	v_mov_b32_e32 v14, 0
	;; [unrolled: 1-line block ×4, first 2 shown]
	s_cbranch_vccnz .LBB21_37
; %bb.36:                               ;   in Loop: Header=BB21_19 Depth=1
	v_mul_hi_u32 v0, v46, v67
	v_mul_lo_u32 v0, v0, s33
	v_sub_u32_e32 v0, v46, v0
	v_subrev_u32_e32 v14, s33, v0
	v_cmp_le_u32_e32 vcc, s33, v0
	s_nop 1
	v_cndmask_b32_e32 v0, v0, v14, vcc
	v_subrev_u32_e32 v14, s33, v0
	v_cmp_le_u32_e32 vcc, s33, v0
	s_nop 1
	v_cndmask_b32_e32 v0, v0, v14, vcc
	v_lshl_add_u64 v[18:19], v[0:1], 1, s[12:13]
	v_mul_hi_u32 v0, v52, v67
	v_mul_lo_u32 v0, v0, s33
	v_sub_u32_e32 v0, v52, v0
	v_subrev_u32_e32 v14, s33, v0
	v_cmp_le_u32_e32 vcc, s33, v0
	s_nop 1
	v_cndmask_b32_e32 v0, v0, v14, vcc
	v_subrev_u32_e32 v14, s33, v0
	v_cmp_le_u32_e32 vcc, s33, v0
	s_nop 1
	v_cndmask_b32_e32 v0, v0, v14, vcc
	v_lshl_add_u64 v[20:21], v[0:1], 1, s[12:13]
	;; [unrolled: 12-line block ×4, first 2 shown]
	global_load_ushort v16, v[18:19], off
	global_load_ushort v15, v[20:21], off
	;; [unrolled: 1-line block ×4, first 2 shown]
.LBB21_37:                              ;   in Loop: Header=BB21_19 Depth=1
	v_cmp_ne_u32_e32 vcc, 0, v2
	s_and_saveexec_b64 s[24:25], vcc
	s_cbranch_execnz .LBB21_47
; %bb.38:                               ;   in Loop: Header=BB21_19 Depth=1
	s_or_b64 exec, exec, s[24:25]
	v_cmp_ne_u32_e32 vcc, 0, v3
	s_and_saveexec_b64 s[24:25], vcc
	s_cbranch_execnz .LBB21_48
.LBB21_39:                              ;   in Loop: Header=BB21_19 Depth=1
	s_or_b64 exec, exec, s[24:25]
	v_cmp_ne_u32_e32 vcc, 0, v4
	s_and_saveexec_b64 s[24:25], vcc
	s_cbranch_execnz .LBB21_49
.LBB21_40:                              ;   in Loop: Header=BB21_19 Depth=1
	s_or_b64 exec, exec, s[24:25]
	v_cmp_ne_u32_e32 vcc, 0, v5
	s_and_b64 exec, exec, vcc
	s_cbranch_execz .LBB21_42
.LBB21_41:                              ;   in Loop: Header=BB21_19 Depth=1
	v_cvt_f32_i32_e32 v7, v7
	s_waitcnt vmcnt(0)
	v_cvt_f32_f16_e32 v0, v0
	v_mov_b32_e32 v49, v1
	v_add_f32_e32 v6, v6, v7
	v_add_f32_e32 v0, v6, v0
	v_cvt_f16_f32_e32 v0, v0
	v_lshl_add_u64 v[6:7], v[48:49], 1, s[14:15]
	global_store_short v[6:7], v0, off
.LBB21_42:                              ;   in Loop: Header=BB21_19 Depth=1
	s_or_b64 exec, exec, s[6:7]
	v_add_u32_e32 v46, s35, v46
	s_waitcnt vmcnt(0)
	v_add_u32_e32 v0, 4, v46
	v_cmp_gt_u32_e32 vcc, s11, v46
	v_cmp_le_u32_e64 s[6:7], s11, v0
	s_and_b64 s[6:7], vcc, s[6:7]
	s_and_saveexec_b64 s[24:25], s[6:7]
	s_cbranch_execz .LBB21_18
; %bb.43:                               ;   in Loop: Header=BB21_19 Depth=1
	v_cmp_ne_u32_e32 vcc, s36, v46
	s_and_saveexec_b64 s[26:27], vcc
	s_cbranch_execz .LBB21_17
; %bb.44:                               ;   in Loop: Header=BB21_19 Depth=1
	v_subrev_u32_e32 v0, s36, v46
	v_cmp_lt_u32_e32 vcc, 1, v0
	s_mov_b64 s[28:29], 0
	s_mov_b64 s[30:31], 0
	v_cndmask_b32_e32 v0, 1, v0, vcc
.LBB21_45:                              ;   Parent Loop BB21_19 Depth=1
                                        ; =>  This Inner Loop Header: Depth=2
	s_cmp_lg_u32 s30, 3
	s_cselect_b64 vcc, -1, 0
	s_cmp_lg_u32 s30, 2
	v_cndmask_b32_e32 v5, 0, v5, vcc
	s_cselect_b64 vcc, -1, 0
	s_cmp_lg_u32 s30, 1
	v_cndmask_b32_e32 v4, 0, v4, vcc
	s_cselect_b64 vcc, -1, 0
	s_cmp_lg_u32 s30, 0
	v_cndmask_b32_e32 v3, 0, v3, vcc
	s_cselect_b64 vcc, -1, 0
	s_add_u32 s30, s30, 1
	s_addc_u32 s31, s31, 0
	v_cmp_eq_u32_e64 s[6:7], s30, v0
	s_or_b64 s[28:29], s[6:7], s[28:29]
	v_cndmask_b32_e32 v2, 0, v2, vcc
	s_andn2_b64 exec, exec, s[28:29]
	s_cbranch_execnz .LBB21_45
; %bb.46:                               ;   in Loop: Header=BB21_19 Depth=1
	s_or_b64 exec, exec, s[28:29]
	s_branch .LBB21_17
.LBB21_47:                              ;   in Loop: Header=BB21_19 Depth=1
	v_cvt_f32_i32_e32 v13, v13
	s_waitcnt vmcnt(3)
	v_cvt_f32_f16_e32 v16, v16
	v_mov_b32_e32 v47, v1
	v_add_f32_e32 v11, v11, v13
	v_add_f32_e32 v11, v11, v16
	v_cvt_f16_f32_e32 v11, v11
	v_lshl_add_u64 v[16:17], v[46:47], 1, s[14:15]
	global_store_short v[16:17], v11, off
	s_or_b64 exec, exec, s[24:25]
	v_cmp_ne_u32_e32 vcc, 0, v3
	s_and_saveexec_b64 s[24:25], vcc
	s_cbranch_execz .LBB21_39
.LBB21_48:                              ;   in Loop: Header=BB21_19 Depth=1
	v_cvt_f32_i32_e32 v11, v12
	s_waitcnt vmcnt(2)
	v_cvt_f32_f16_e32 v12, v15
	v_mov_b32_e32 v53, v1
	v_add_f32_e32 v10, v10, v11
	v_add_f32_e32 v10, v10, v12
	v_cvt_f16_f32_e32 v12, v10
	v_lshl_add_u64 v[10:11], v[52:53], 1, s[14:15]
	global_store_short v[10:11], v12, off
	s_or_b64 exec, exec, s[24:25]
	v_cmp_ne_u32_e32 vcc, 0, v4
	s_and_saveexec_b64 s[24:25], vcc
	s_cbranch_execz .LBB21_40
.LBB21_49:                              ;   in Loop: Header=BB21_19 Depth=1
	v_cvt_f32_i32_e32 v9, v9
	s_waitcnt vmcnt(1)
	v_cvt_f32_f16_e32 v10, v14
	v_mov_b32_e32 v51, v1
	v_add_f32_e32 v8, v8, v9
	v_add_f32_e32 v8, v8, v10
	v_cvt_f16_f32_e32 v10, v8
	v_lshl_add_u64 v[8:9], v[50:51], 1, s[14:15]
	global_store_short v[8:9], v10, off
	s_or_b64 exec, exec, s[24:25]
	v_cmp_ne_u32_e32 vcc, 0, v5
	s_and_b64 exec, exec, vcc
	s_cbranch_execnz .LBB21_41
	s_branch .LBB21_42
.LBB21_50:
	s_endpgm
	.section	.rodata,"a",@progbits
	.p2align	6, 0x0
	.amdhsa_kernel _Z12wvSplitK_hf_I6__halfLi32ELi4ELi16ELi8ELi2ELi1EEviiiiiiPKT_S3_S3_PS1_ii
		.amdhsa_group_segment_fixed_size 65536
		.amdhsa_private_segment_fixed_size 0
		.amdhsa_kernarg_size 64
		.amdhsa_user_sgpr_count 2
		.amdhsa_user_sgpr_dispatch_ptr 0
		.amdhsa_user_sgpr_queue_ptr 0
		.amdhsa_user_sgpr_kernarg_segment_ptr 1
		.amdhsa_user_sgpr_dispatch_id 0
		.amdhsa_user_sgpr_kernarg_preload_length 0
		.amdhsa_user_sgpr_kernarg_preload_offset 0
		.amdhsa_user_sgpr_private_segment_size 0
		.amdhsa_uses_dynamic_stack 0
		.amdhsa_enable_private_segment 0
		.amdhsa_system_sgpr_workgroup_id_x 1
		.amdhsa_system_sgpr_workgroup_id_y 0
		.amdhsa_system_sgpr_workgroup_id_z 0
		.amdhsa_system_sgpr_workgroup_info 0
		.amdhsa_system_vgpr_workitem_id 1
		.amdhsa_next_free_vgpr 70
		.amdhsa_next_free_sgpr 38
		.amdhsa_accum_offset 72
		.amdhsa_reserve_vcc 1
		.amdhsa_float_round_mode_32 0
		.amdhsa_float_round_mode_16_64 0
		.amdhsa_float_denorm_mode_32 3
		.amdhsa_float_denorm_mode_16_64 3
		.amdhsa_dx10_clamp 1
		.amdhsa_ieee_mode 1
		.amdhsa_fp16_overflow 0
		.amdhsa_tg_split 0
		.amdhsa_exception_fp_ieee_invalid_op 0
		.amdhsa_exception_fp_denorm_src 0
		.amdhsa_exception_fp_ieee_div_zero 0
		.amdhsa_exception_fp_ieee_overflow 0
		.amdhsa_exception_fp_ieee_underflow 0
		.amdhsa_exception_fp_ieee_inexact 0
		.amdhsa_exception_int_div_zero 0
	.end_amdhsa_kernel
	.section	.text._Z12wvSplitK_hf_I6__halfLi32ELi4ELi16ELi8ELi2ELi1EEviiiiiiPKT_S3_S3_PS1_ii,"axG",@progbits,_Z12wvSplitK_hf_I6__halfLi32ELi4ELi16ELi8ELi2ELi1EEviiiiiiPKT_S3_S3_PS1_ii,comdat
.Lfunc_end21:
	.size	_Z12wvSplitK_hf_I6__halfLi32ELi4ELi16ELi8ELi2ELi1EEviiiiiiPKT_S3_S3_PS1_ii, .Lfunc_end21-_Z12wvSplitK_hf_I6__halfLi32ELi4ELi16ELi8ELi2ELi1EEviiiiiiPKT_S3_S3_PS1_ii
                                        ; -- End function
	.section	.AMDGPU.csdata,"",@progbits
; Kernel info:
; codeLenInByte = 2908
; NumSgprs: 44
; NumVgprs: 70
; NumAgprs: 0
; TotalNumVgprs: 70
; ScratchSize: 0
; MemoryBound: 1
; FloatMode: 240
; IeeeMode: 1
; LDSByteSize: 65536 bytes/workgroup (compile time only)
; SGPRBlocks: 5
; VGPRBlocks: 8
; NumSGPRsForWavesPerEU: 44
; NumVGPRsForWavesPerEU: 70
; AccumOffset: 72
; Occupancy: 2
; WaveLimiterHint : 0
; COMPUTE_PGM_RSRC2:SCRATCH_EN: 0
; COMPUTE_PGM_RSRC2:USER_SGPR: 2
; COMPUTE_PGM_RSRC2:TRAP_HANDLER: 0
; COMPUTE_PGM_RSRC2:TGID_X_EN: 1
; COMPUTE_PGM_RSRC2:TGID_Y_EN: 0
; COMPUTE_PGM_RSRC2:TGID_Z_EN: 0
; COMPUTE_PGM_RSRC2:TIDIG_COMP_CNT: 1
; COMPUTE_PGM_RSRC3_GFX90A:ACCUM_OFFSET: 17
; COMPUTE_PGM_RSRC3_GFX90A:TG_SPLIT: 0
	.section	.text._Z16wvSplitK_hf_big_I6__halfLi32ELi4ELi16ELi8ELi2ELi1EEviiiiiiPKT_S3_S3_PS1_ii,"axG",@progbits,_Z16wvSplitK_hf_big_I6__halfLi32ELi4ELi16ELi8ELi2ELi1EEviiiiiiPKT_S3_S3_PS1_ii,comdat
	.protected	_Z16wvSplitK_hf_big_I6__halfLi32ELi4ELi16ELi8ELi2ELi1EEviiiiiiPKT_S3_S3_PS1_ii ; -- Begin function _Z16wvSplitK_hf_big_I6__halfLi32ELi4ELi16ELi8ELi2ELi1EEviiiiiiPKT_S3_S3_PS1_ii
	.globl	_Z16wvSplitK_hf_big_I6__halfLi32ELi4ELi16ELi8ELi2ELi1EEviiiiiiPKT_S3_S3_PS1_ii
	.p2align	8
	.type	_Z16wvSplitK_hf_big_I6__halfLi32ELi4ELi16ELi8ELi2ELi1EEviiiiiiPKT_S3_S3_PS1_ii,@function
_Z16wvSplitK_hf_big_I6__halfLi32ELi4ELi16ELi8ELi2ELi1EEviiiiiiPKT_S3_S3_PS1_ii: ; @_Z16wvSplitK_hf_big_I6__halfLi32ELi4ELi16ELi8ELi2ELi1EEviiiiiiPKT_S3_S3_PS1_ii
; %bb.0:
	s_load_dwordx2 s[8:9], s[0:1], 0x38
	v_bfe_u32 v7, v0, 10, 10
	s_waitcnt lgkmcnt(0)
	v_cmp_gt_u32_e32 vcc, s8, v7
	s_and_saveexec_b64 s[4:5], vcc
	s_cbranch_execz .LBB22_48
; %bb.1:
	s_load_dwordx4 s[20:23], s[0:1], 0x0
	s_mul_i32 s2, s2, s8
	v_add_lshl_u32 v46, s2, v7, 2
	s_mov_b32 s4, 1
	v_add_u32_e32 v1, 4, v46
	s_mov_b32 s5, s4
	s_waitcnt lgkmcnt(0)
	v_cmp_gt_u32_e32 vcc, s23, v46
	v_cmp_le_u32_e64 s[2:3], s23, v1
	s_mov_b32 s6, s4
	s_mov_b32 s7, s4
	v_mov_b64_e32 v[2:3], s[4:5]
	s_and_b64 s[10:11], vcc, s[2:3]
	v_mov_b64_e32 v[4:5], s[6:7]
	s_and_saveexec_b64 s[2:3], s[10:11]
	s_cbranch_execz .LBB22_7
; %bb.2:
	s_add_i32 s16, s23, -4
	v_mov_b64_e32 v[2:3], s[4:5]
	v_cmp_ne_u32_e32 vcc, s16, v46
	v_mov_b64_e32 v[4:5], s[6:7]
	s_and_saveexec_b64 s[10:11], vcc
	s_cbranch_execz .LBB22_6
; %bb.3:
	v_subrev_u32_e32 v1, s16, v46
	v_cmp_lt_u32_e32 vcc, 1, v1
	s_mov_b64 s[12:13], 0
	s_mov_b64 s[14:15], 0
	v_cndmask_b32_e32 v6, 1, v1, vcc
	s_mov_b32 s5, s4
	s_mov_b32 s6, s4
	;; [unrolled: 1-line block ×3, first 2 shown]
.LBB22_4:                               ; =>This Inner Loop Header: Depth=1
	s_cmp_lg_u32 s14, 3
	s_cselect_b32 s7, s7, 0
	s_cmp_lg_u32 s14, 2
	s_cselect_b32 s6, s6, 0
	;; [unrolled: 2-line block ×4, first 2 shown]
	s_add_u32 s14, s14, 1
	s_addc_u32 s15, s15, 0
	v_cmp_eq_u32_e32 vcc, s14, v6
	v_mov_b64_e32 v[2:3], s[4:5]
	s_or_b64 s[12:13], vcc, s[12:13]
	v_mov_b64_e32 v[4:5], s[6:7]
	s_andn2_b64 exec, exec, s[12:13]
	s_cbranch_execnz .LBB22_4
; %bb.5:
	s_or_b64 exec, exec, s[12:13]
	v_mov_b32_e32 v46, s16
.LBB22_6:
	s_or_b64 exec, exec, s[10:11]
.LBB22_7:
	s_or_b64 exec, exec, s[2:3]
	s_lshl_b32 s2, s8, 2
	s_abs_i32 s3, s2
	v_cvt_f32_u32_e32 v1, s3
	s_sub_i32 s6, 0, s3
	s_abs_i32 s5, s23
	s_ashr_i32 s4, s23, 31
	v_rcp_iflag_f32_e32 v1, v1
	s_nop 0
	v_mul_f32_e32 v1, 0x4f7ffffe, v1
	v_cvt_u32_f32_e32 v1, v1
	s_nop 0
	v_readfirstlane_b32 s7, v1
	s_mul_i32 s6, s6, s7
	s_mul_hi_u32 s6, s7, s6
	s_add_i32 s7, s7, s6
	s_mul_hi_u32 s6, s5, s7
	s_mul_i32 s6, s6, s3
	s_sub_i32 s5, s5, s6
	s_sub_i32 s6, s5, s3
	s_cmp_ge_u32 s5, s3
	s_cselect_b32 s5, s6, s5
	s_sub_i32 s6, s5, s3
	s_cmp_ge_u32 s5, s3
	s_cselect_b32 s3, s6, s5
	s_xor_b32 s3, s3, s4
	s_sub_i32 s3, s3, s4
	s_add_i32 s2, s2, s23
	s_sub_i32 s2, s2, s3
	s_cmp_eq_u32 s3, 0
	s_cselect_b32 s33, s23, s2
	v_cmp_gt_u32_e32 vcc, s33, v46
	s_and_b64 exec, exec, vcc
	s_cbranch_execz .LBB22_48
; %bb.8:
	s_load_dwordx8 s[12:19], s[0:1], 0x18
	s_load_dword s38, s[0:1], 0x10
	s_min_u32 s39, s22, 0x8000
	s_cmp_lg_u32 s20, 0
	s_cselect_b64 s[2:3], -1, 0
	s_cmp_lg_u32 s22, 0
	s_waitcnt lgkmcnt(0)
	v_cvt_f32_u32_e32 v1, s38
	s_mul_i32 s0, s9, s8
	s_cselect_b64 s[4:5], -1, 0
	v_and_b32_e32 v0, 0x3ff, v0
	v_rcp_iflag_f32_e32 v1, v1
	s_lshl_b32 s40, s8, 8
	s_add_i32 s41, s20, -8
	s_add_i32 s42, s23, -1
	v_mul_f32_e32 v1, 0x4f7ffffe, v1
	v_cvt_u32_f32_e32 v1, v1
	s_lshl_b32 s43, s0, 2
	v_lshlrev_b32_e32 v56, 3, v0
	v_cmp_eq_u32_e64 s[0:1], 31, v0
	s_cmp_lg_u64 s[16:17], 0
	v_lshlrev_b32_e32 v0, 4, v0
	s_cselect_b64 s[6:7], -1, 0
	s_sub_i32 s9, 0, s38
	v_lshl_add_u32 v58, v7, 9, v0
	v_cndmask_b32_e64 v0, 0, 1, s[2:3]
	s_add_i32 s44, s23, -4
	v_mul_lo_u32 v6, s9, v1
	v_cmp_ne_u32_e64 s[2:3], 1, v0
	v_cndmask_b32_e64 v0, 0, 1, s[4:5]
	v_mul_hi_u32 v6, v1, v6
	s_add_u32 s26, s18, 2
	v_cmp_ne_u32_e64 s[4:5], 1, v0
	v_cndmask_b32_e64 v0, 0, 1, s[6:7]
	s_mov_b64 s[24:25], 0
	v_add_u32_e32 v57, v1, v6
	v_mov_b32_e32 v1, 0
	s_addc_u32 s27, s19, 0
	s_lshl_b32 s45, s8, 9
	v_lshl_add_u32 v59, v7, 8, v56
	v_cmp_ne_u32_e64 s[6:7], 1, v0
	s_branch .LBB22_12
.LBB22_9:                               ;   in Loop: Header=BB22_12 Depth=1
	s_or_b64 exec, exec, s[30:31]
	v_mov_b32_e32 v46, s44
.LBB22_10:                              ;   in Loop: Header=BB22_12 Depth=1
	s_or_b64 exec, exec, s[28:29]
.LBB22_11:                              ;   in Loop: Header=BB22_12 Depth=1
	s_or_b64 exec, exec, s[10:11]
	v_cmp_le_u32_e32 vcc, s33, v46
	s_or_b64 s[24:25], vcc, s[24:25]
	s_andn2_b64 exec, exec, s[24:25]
	s_cbranch_execz .LBB22_48
.LBB22_12:                              ; =>This Loop Header: Depth=1
                                        ;     Child Loop BB22_17 Depth 2
                                        ;       Child Loop BB22_22 Depth 3
                                        ;     Child Loop BB22_43 Depth 2
	s_mov_b32 s34, 0
	s_and_b64 vcc, exec, s[2:3]
	v_mov_b32_e32 v62, v1
	v_mov_b32_e32 v61, v1
	;; [unrolled: 1-line block ×4, first 2 shown]
	s_cbranch_vccnz .LBB22_29
; %bb.13:                               ;   in Loop: Header=BB22_12 Depth=1
	v_add_u32_e32 v6, 1, v46
	v_add_u32_e32 v8, 2, v46
	;; [unrolled: 1-line block ×3, first 2 shown]
	v_min_u32_e32 v0, s42, v46
	v_min_u32_e32 v6, s42, v6
	;; [unrolled: 1-line block ×4, first 2 shown]
	v_mul_lo_u32 v0, v0, s21
	v_mul_lo_u32 v6, v6, s21
	v_mov_b32_e32 v7, v1
	v_mul_lo_u32 v8, v8, s21
	v_mov_b32_e32 v9, v1
	;; [unrolled: 2-line block ×3, first 2 shown]
	v_cmp_gt_u32_e64 s[8:9], s23, v46
	v_mov_b32_e32 v47, 0
	v_lshlrev_b64 v[48:49], 1, v[0:1]
	v_lshlrev_b64 v[50:51], 1, v[6:7]
	;; [unrolled: 1-line block ×4, first 2 shown]
	v_mov_b32_e32 v60, 0
	v_mov_b32_e32 v61, 0
	;; [unrolled: 1-line block ×3, first 2 shown]
	s_mov_b32 s35, 0
	s_branch .LBB22_17
.LBB22_14:                              ;   in Loop: Header=BB22_17 Depth=2
	s_or_b64 exec, exec, s[30:31]
.LBB22_15:                              ;   in Loop: Header=BB22_17 Depth=2
	s_or_b64 exec, exec, s[28:29]
	s_waitcnt vmcnt(7) lgkmcnt(0)
	;;#ASMSTART
	v_dot2c_f32_f16 v62, v38, v42
	;;#ASMEND
	s_waitcnt vmcnt(6)
	;;#ASMSTART
	v_dot2c_f32_f16 v61, v38, v34
	;;#ASMEND
	s_waitcnt vmcnt(5)
	;; [unrolled: 4-line block ×3, first 2 shown]
	;;#ASMSTART
	v_dot2c_f32_f16 v47, v38, v26
	;;#ASMEND
	;;#ASMSTART
	v_dot2c_f32_f16 v62, v39, v43
	;;#ASMEND
	;;#ASMSTART
	v_dot2c_f32_f16 v61, v39, v35
	;;#ASMEND
	;;#ASMSTART
	v_dot2c_f32_f16 v60, v39, v31
	;;#ASMEND
	s_nop 0
	;;#ASMSTART
	v_dot2c_f32_f16 v47, v39, v27
	;;#ASMEND
	;;#ASMSTART
	v_dot2c_f32_f16 v62, v40, v44
	;;#ASMEND
	;;#ASMSTART
	v_dot2c_f32_f16 v61, v40, v36
	;;#ASMEND
	;;#ASMSTART
	v_dot2c_f32_f16 v60, v40, v32
	;;#ASMEND
	s_nop 0
	;;#ASMSTART
	v_dot2c_f32_f16 v47, v40, v28
	;;#ASMEND
	;;#ASMSTART
	v_dot2c_f32_f16 v62, v41, v45
	;;#ASMEND
	;;#ASMSTART
	v_dot2c_f32_f16 v61, v41, v37
	;;#ASMEND
	;;#ASMSTART
	v_dot2c_f32_f16 v60, v41, v33
	;;#ASMEND
	s_nop 0
	;;#ASMSTART
	v_dot2c_f32_f16 v47, v41, v29
	;;#ASMEND
	s_waitcnt vmcnt(3)
	;;#ASMSTART
	v_dot2c_f32_f16 v62, v10, v22
	;;#ASMEND
	s_waitcnt vmcnt(2)
	;; [unrolled: 4-line block ×4, first 2 shown]
	;;#ASMSTART
	v_dot2c_f32_f16 v47, v10, v6
	;;#ASMEND
	;;#ASMSTART
	v_dot2c_f32_f16 v62, v11, v23
	;;#ASMEND
	;;#ASMSTART
	v_dot2c_f32_f16 v61, v11, v19
	;;#ASMEND
	;;#ASMSTART
	v_dot2c_f32_f16 v60, v11, v15
	;;#ASMEND
	s_nop 0
	;;#ASMSTART
	v_dot2c_f32_f16 v47, v11, v7
	;;#ASMEND
	;;#ASMSTART
	v_dot2c_f32_f16 v62, v12, v24
	;;#ASMEND
	;;#ASMSTART
	v_dot2c_f32_f16 v61, v12, v20
	;;#ASMEND
	;;#ASMSTART
	v_dot2c_f32_f16 v60, v12, v16
	;;#ASMEND
	s_nop 0
	;; [unrolled: 13-line block ×3, first 2 shown]
	;;#ASMSTART
	v_dot2c_f32_f16 v47, v13, v9
	;;#ASMEND
.LBB22_16:                              ;   in Loop: Header=BB22_17 Depth=2
	s_or_b64 exec, exec, s[10:11]
	s_addk_i32 s35, 0x200
	s_cmp_ge_u32 s35, s20
	s_cbranch_scc1 .LBB22_29
.LBB22_17:                              ;   Parent Loop BB22_12 Depth=1
                                        ; =>  This Loop Header: Depth=2
                                        ;       Child Loop BB22_22 Depth 3
	s_cmp_eq_u32 s35, 0
	s_cselect_b64 s[10:11], -1, 0
	s_add_i32 s28, s34, s39
	s_cmp_eq_u32 s35, s28
	s_cselect_b64 s[30:31], -1, 0
	s_or_b64 s[30:31], s[10:11], s[30:31]
	s_andn2_b64 vcc, exec, s[30:31]
	s_cbranch_vccz .LBB22_19
; %bb.18:                               ;   in Loop: Header=BB22_17 Depth=2
	s_and_saveexec_b64 s[10:11], s[8:9]
	s_cbranch_execz .LBB22_16
	s_branch .LBB22_26
.LBB22_19:                              ;   in Loop: Header=BB22_17 Depth=2
	s_and_b64 s[10:11], s[10:11], exec
	s_cselect_b32 s34, s34, s28
	s_and_b64 vcc, exec, s[4:5]
	s_barrier
	s_cbranch_vccnz .LBB22_25
; %bb.20:                               ;   in Loop: Header=BB22_17 Depth=2
	v_add_u32_e32 v6, s34, v59
	s_mov_b32 s36, 0
	s_mov_b64 s[28:29], 0
	v_mov_b32_e32 v7, v58
                                        ; implicit-def: $sgpr30_sgpr31
	s_branch .LBB22_22
.LBB22_21:                              ;   in Loop: Header=BB22_22 Depth=3
	s_or_b64 exec, exec, s[10:11]
	s_and_b64 s[10:11], exec, s[30:31]
	s_or_b64 s[28:29], s[10:11], s[28:29]
	s_andn2_b64 exec, exec, s[28:29]
	s_cbranch_execz .LBB22_24
.LBB22_22:                              ;   Parent Loop BB22_12 Depth=1
                                        ;     Parent Loop BB22_17 Depth=2
                                        ; =>    This Inner Loop Header: Depth=3
	v_add_u32_e32 v8, s36, v59
	v_add_u32_e32 v0, s36, v6
	v_cmp_gt_u32_e32 vcc, s22, v0
	v_cmp_gt_u32_e64 s[10:11], s39, v8
	s_and_b64 s[46:47], s[10:11], vcc
	s_or_b64 s[30:31], s[30:31], exec
	s_and_saveexec_b64 s[10:11], s[46:47]
	s_cbranch_execz .LBB22_21
; %bb.23:                               ;   in Loop: Header=BB22_22 Depth=3
	v_lshl_add_u64 v[8:9], v[0:1], 1, s[14:15]
	global_load_dwordx4 v[8:11], v[8:9], off
	s_add_i32 s36, s36, s40
	s_cmp_ge_u32 s36, s39
	s_cselect_b64 s[46:47], -1, 0
	s_andn2_b64 s[30:31], s[30:31], exec
	s_and_b64 s[46:47], s[46:47], exec
	s_or_b64 s[30:31], s[30:31], s[46:47]
	s_waitcnt vmcnt(0)
	ds_write_b128 v7, v[8:11]
	v_add_u32_e32 v7, s45, v7
	s_branch .LBB22_21
.LBB22_24:                              ;   in Loop: Header=BB22_17 Depth=2
	s_or_b64 exec, exec, s[28:29]
.LBB22_25:                              ;   in Loop: Header=BB22_17 Depth=2
	s_waitcnt lgkmcnt(0)
	s_barrier
	s_and_saveexec_b64 s[10:11], s[8:9]
	s_cbranch_execz .LBB22_16
.LBB22_26:                              ;   in Loop: Header=BB22_17 Depth=2
	v_add_u32_e32 v63, s35, v56
	v_min_u32_e32 v0, s41, v63
	v_lshl_add_u64 v[6:7], v[0:1], 1, s[12:13]
	v_lshl_add_u64 v[8:9], v[6:7], 0, v[48:49]
	v_add_u32_e32 v64, 0x100, v63
	v_lshl_add_u64 v[10:11], v[6:7], 0, v[50:51]
	global_load_dwordx4 v[42:45], v[8:9], off nt
	global_load_dwordx4 v[34:37], v[10:11], off nt
	v_lshl_add_u64 v[8:9], v[6:7], 0, v[52:53]
	v_lshl_add_u64 v[6:7], v[6:7], 0, v[54:55]
	v_min_u32_e32 v0, s41, v64
	global_load_dwordx4 v[30:33], v[8:9], off nt
	global_load_dwordx4 v[26:29], v[6:7], off nt
	v_lshl_add_u64 v[6:7], v[0:1], 1, s[12:13]
	v_lshl_add_u64 v[8:9], v[6:7], 0, v[48:49]
	;; [unrolled: 1-line block ×3, first 2 shown]
	global_load_dwordx4 v[22:25], v[8:9], off nt
	global_load_dwordx4 v[18:21], v[10:11], off nt
	v_lshl_add_u64 v[10:11], v[6:7], 0, v[52:53]
	v_lshl_add_u64 v[12:13], v[6:7], 0, v[54:55]
	global_load_dwordx4 v[14:17], v[10:11], off nt
	global_load_dwordx4 v[6:9], v[12:13], off nt
	v_cmp_gt_u32_e32 vcc, s20, v63
	v_mov_b32_e32 v40, 0
	v_mov_b32_e32 v41, 0
	;; [unrolled: 1-line block ×8, first 2 shown]
	s_and_saveexec_b64 s[28:29], vcc
	s_cbranch_execz .LBB22_15
; %bb.27:                               ;   in Loop: Header=BB22_17 Depth=2
	v_subrev_u32_e32 v0, s34, v63
	v_lshlrev_b32_e32 v0, 1, v0
	ds_read_b128 v[38:41], v0
	v_cmp_gt_u32_e32 vcc, s20, v64
	v_mov_b32_e32 v13, 0
	v_mov_b32_e32 v12, 0
	;; [unrolled: 1-line block ×4, first 2 shown]
	s_and_saveexec_b64 s[30:31], vcc
	s_cbranch_execz .LBB22_14
; %bb.28:                               ;   in Loop: Header=BB22_17 Depth=2
	ds_read_b128 v[10:13], v0 offset:512
	s_branch .LBB22_14
.LBB22_29:                              ;   in Loop: Header=BB22_12 Depth=1
	v_cmp_le_u32_e32 vcc, s23, v46
	s_and_saveexec_b64 s[8:9], vcc
	s_xor_b64 s[8:9], exec, s[8:9]
; %bb.30:                               ;   in Loop: Header=BB22_12 Depth=1
	v_add_u32_e32 v46, s43, v46
                                        ; implicit-def: $vgpr62
                                        ; implicit-def: $vgpr61
                                        ; implicit-def: $vgpr60
                                        ; implicit-def: $vgpr47
; %bb.31:                               ;   in Loop: Header=BB22_12 Depth=1
	s_andn2_saveexec_b64 s[10:11], s[8:9]
	s_cbranch_execz .LBB22_11
; %bb.32:                               ;   in Loop: Header=BB22_12 Depth=1
	v_cvt_i32_f32_e32 v0, v62
	v_cvt_i32_f32_e32 v6, v61
	;; [unrolled: 1-line block ×4, first 2 shown]
	v_cvt_f32_i32_dpp v0, v0 row_shr:8 row_mask:0xf bank_mask:0xf bound_ctrl:1
	v_cvt_f32_i32_dpp v6, v6 row_shr:8 row_mask:0xf bank_mask:0xf bound_ctrl:1
	;; [unrolled: 1-line block ×4, first 2 shown]
	v_add_f32_e32 v0, v62, v0
	v_cvt_i32_f32_e32 v9, v0
	v_add_f32_e32 v6, v61, v6
	v_cvt_i32_f32_e32 v10, v6
	v_add_f32_e32 v7, v60, v7
	v_cvt_f32_i32_dpp v9, v9 row_shr:4 row_mask:0xf bank_mask:0xf bound_ctrl:1
	v_add_f32_e32 v8, v47, v8
	v_cvt_f32_i32_dpp v10, v10 row_shr:4 row_mask:0xf bank_mask:0xf bound_ctrl:1
	v_cvt_i32_f32_e32 v11, v7
	v_add_f32_e32 v0, v0, v9
	v_cvt_i32_f32_e32 v9, v0
	v_cvt_i32_f32_e32 v12, v8
	v_add_f32_e32 v6, v6, v10
	v_cvt_i32_f32_e32 v10, v6
	v_cvt_f32_i32_dpp v9, v9 row_shr:2 row_mask:0xf bank_mask:0xf bound_ctrl:1
	v_cvt_f32_i32_dpp v11, v11 row_shr:4 row_mask:0xf bank_mask:0xf bound_ctrl:1
	;; [unrolled: 1-line block ×4, first 2 shown]
	v_add_f32_e32 v0, v0, v9
	v_cvt_i32_f32_e32 v9, v0
	v_add_f32_e32 v7, v7, v11
	v_add_f32_e32 v8, v8, v12
	v_cvt_i32_f32_e32 v11, v7
	v_cvt_f32_i32_dpp v9, v9 row_shr:1 row_mask:0xf bank_mask:0xf bound_ctrl:1
	v_add_f32_e32 v6, v6, v10
	v_cvt_i32_f32_e32 v12, v8
	v_cvt_i32_f32_e32 v10, v6
	v_add_f32_e32 v0, v0, v9
	v_cvt_f32_i32_dpp v11, v11 row_shr:2 row_mask:0xf bank_mask:0xf bound_ctrl:1
	v_cvt_f32_i32_dpp v12, v12 row_shr:2 row_mask:0xf bank_mask:0xf bound_ctrl:1
	v_cvt_i32_f32_e32 v9, v0
	v_cvt_f32_i32_dpp v10, v10 row_shr:1 row_mask:0xf bank_mask:0xf bound_ctrl:1
	v_add_f32_e32 v7, v7, v11
	v_add_f32_e32 v8, v8, v12
	v_cvt_f32_i32_dpp v9, v9 row_bcast:15 row_mask:0xf bank_mask:0xf bound_ctrl:1
	v_add_f32_e32 v6, v6, v10
	v_cvt_i32_f32_e32 v10, v7
	v_cvt_i32_f32_e32 v11, v8
	v_add_f32_e32 v13, v0, v9
	v_cvt_i32_f32_e32 v12, v6
	v_cvt_f32_i32_dpp v10, v10 row_shr:1 row_mask:0xf bank_mask:0xf bound_ctrl:1
	v_cvt_f32_i32_dpp v0, v11 row_shr:1 row_mask:0xf bank_mask:0xf bound_ctrl:1
	v_cvt_i32_f32_e32 v11, v13
	v_cvt_f32_i32_dpp v9, v12 row_bcast:15 row_mask:0xf bank_mask:0xf bound_ctrl:1
	v_add_f32_e32 v7, v7, v10
	v_add_f32_e32 v0, v8, v0
	v_cvt_i32_f32_e32 v10, v7
	v_cvt_i32_f32_e32 v8, v0
	v_add_f32_e32 v12, v6, v9
	v_mov_b32_dpp v15, v11 row_bcast:31 row_mask:0xf bank_mask:0xf bound_ctrl:1
	v_cvt_f32_i32_dpp v10, v10 row_bcast:15 row_mask:0xf bank_mask:0xf bound_ctrl:1
	v_cvt_f32_i32_dpp v6, v8 row_bcast:15 row_mask:0xf bank_mask:0xf bound_ctrl:1
	v_cvt_i32_f32_e32 v8, v12
	v_add_f32_e32 v9, v7, v10
	v_add_f32_e32 v7, v0, v6
	v_cvt_i32_f32_e32 v10, v9
	v_cvt_i32_f32_e32 v0, v7
	v_mov_b32_dpp v14, v8 row_bcast:31 row_mask:0xf bank_mask:0xf bound_ctrl:1
	v_mov_b32_dpp v11, v10 row_bcast:31 row_mask:0xf bank_mask:0xf bound_ctrl:1
	;; [unrolled: 1-line block ×3, first 2 shown]
	s_and_saveexec_b64 s[8:9], s[0:1]
	s_cbranch_execz .LBB22_40
; %bb.33:                               ;   in Loop: Header=BB22_12 Depth=1
	s_and_b64 vcc, exec, s[6:7]
	v_mov_b32_e32 v0, 0
	v_add_u32_e32 v8, 2, v46
	v_add_u32_e32 v6, 3, v46
	v_mov_b32_e32 v16, 0
	v_mov_b32_e32 v17, 0
	;; [unrolled: 1-line block ×3, first 2 shown]
	s_cbranch_vccnz .LBB22_35
; %bb.34:                               ;   in Loop: Header=BB22_12 Depth=1
	v_mul_hi_u32 v0, v46, v57
	v_mul_lo_u32 v0, v0, s38
	v_sub_u32_e32 v0, v46, v0
	v_subrev_u32_e32 v16, s38, v0
	v_cmp_le_u32_e32 vcc, s38, v0
	s_nop 1
	v_cndmask_b32_e32 v0, v0, v16, vcc
	v_subrev_u32_e32 v16, s38, v0
	v_cmp_le_u32_e32 vcc, s38, v0
	s_nop 1
	v_cndmask_b32_e32 v0, v0, v16, vcc
	v_lshl_add_u64 v[20:21], v[0:1], 1, s[16:17]
	v_add_u32_e32 v0, 1, v46
	v_mul_hi_u32 v16, v0, v57
	v_mul_lo_u32 v16, v16, s38
	v_sub_u32_e32 v0, v0, v16
	v_subrev_u32_e32 v16, s38, v0
	v_cmp_le_u32_e32 vcc, s38, v0
	s_nop 1
	v_cndmask_b32_e32 v0, v0, v16, vcc
	v_subrev_u32_e32 v16, s38, v0
	v_cmp_le_u32_e32 vcc, s38, v0
	s_nop 1
	v_cndmask_b32_e32 v0, v0, v16, vcc
	v_lshl_add_u64 v[22:23], v[0:1], 1, s[16:17]
	v_mul_hi_u32 v0, v8, v57
	v_mul_lo_u32 v0, v0, s38
	v_sub_u32_e32 v0, v8, v0
	v_subrev_u32_e32 v16, s38, v0
	v_cmp_le_u32_e32 vcc, s38, v0
	s_nop 1
	v_cndmask_b32_e32 v0, v0, v16, vcc
	v_subrev_u32_e32 v16, s38, v0
	v_cmp_le_u32_e32 vcc, s38, v0
	s_nop 1
	v_cndmask_b32_e32 v0, v0, v16, vcc
	v_lshl_add_u64 v[24:25], v[0:1], 1, s[16:17]
	;; [unrolled: 12-line block ×3, first 2 shown]
	global_load_ushort v18, v[20:21], off
	global_load_ushort v17, v[22:23], off
	;; [unrolled: 1-line block ×4, first 2 shown]
.LBB22_35:                              ;   in Loop: Header=BB22_12 Depth=1
	v_cmp_ne_u32_e32 vcc, 0, v2
	s_and_saveexec_b64 s[28:29], vcc
	s_cbranch_execnz .LBB22_45
; %bb.36:                               ;   in Loop: Header=BB22_12 Depth=1
	s_or_b64 exec, exec, s[28:29]
	v_cmp_ne_u32_e32 vcc, 0, v3
	s_and_saveexec_b64 s[28:29], vcc
	s_cbranch_execnz .LBB22_46
.LBB22_37:                              ;   in Loop: Header=BB22_12 Depth=1
	s_or_b64 exec, exec, s[28:29]
	v_cmp_ne_u32_e32 vcc, 0, v4
	s_and_saveexec_b64 s[28:29], vcc
	s_cbranch_execnz .LBB22_47
.LBB22_38:                              ;   in Loop: Header=BB22_12 Depth=1
	s_or_b64 exec, exec, s[28:29]
	v_cmp_ne_u32_e32 vcc, 0, v5
	s_and_b64 exec, exec, vcc
	s_cbranch_execz .LBB22_40
.LBB22_39:                              ;   in Loop: Header=BB22_12 Depth=1
	v_cvt_f32_i32_e32 v8, v10
	s_waitcnt vmcnt(0)
	v_cvt_f32_f16_e32 v0, v0
	v_add_f32_e32 v7, v7, v8
	v_add_f32_e32 v0, v7, v0
	v_cvt_f16_f32_e32 v0, v0
	v_mov_b32_e32 v7, v1
	v_lshl_add_u64 v[6:7], v[6:7], 1, s[18:19]
	global_store_short v[6:7], v0, off
.LBB22_40:                              ;   in Loop: Header=BB22_12 Depth=1
	s_or_b64 exec, exec, s[8:9]
	v_add_u32_e32 v46, s43, v46
	s_waitcnt vmcnt(0)
	v_add_u32_e32 v0, 4, v46
	v_cmp_gt_u32_e32 vcc, s23, v46
	v_cmp_le_u32_e64 s[8:9], s23, v0
	s_and_b64 s[8:9], vcc, s[8:9]
	s_and_saveexec_b64 s[28:29], s[8:9]
	s_cbranch_execz .LBB22_10
; %bb.41:                               ;   in Loop: Header=BB22_12 Depth=1
	v_cmp_ne_u32_e32 vcc, s44, v46
	s_and_saveexec_b64 s[30:31], vcc
	s_cbranch_execz .LBB22_9
; %bb.42:                               ;   in Loop: Header=BB22_12 Depth=1
	v_subrev_u32_e32 v0, s44, v46
	v_cmp_lt_u32_e32 vcc, 1, v0
	s_mov_b64 s[34:35], 0
	s_mov_b64 s[36:37], 0
	v_cndmask_b32_e32 v0, 1, v0, vcc
.LBB22_43:                              ;   Parent Loop BB22_12 Depth=1
                                        ; =>  This Inner Loop Header: Depth=2
	s_cmp_lg_u32 s36, 3
	s_cselect_b64 vcc, -1, 0
	s_cmp_lg_u32 s36, 2
	v_cndmask_b32_e32 v5, 0, v5, vcc
	s_cselect_b64 vcc, -1, 0
	s_cmp_lg_u32 s36, 1
	v_cndmask_b32_e32 v4, 0, v4, vcc
	;; [unrolled: 3-line block ×3, first 2 shown]
	s_cselect_b64 vcc, -1, 0
	s_add_u32 s36, s36, 1
	s_addc_u32 s37, s37, 0
	v_cmp_eq_u32_e64 s[8:9], s36, v0
	s_or_b64 s[34:35], s[8:9], s[34:35]
	v_cndmask_b32_e32 v2, 0, v2, vcc
	s_andn2_b64 exec, exec, s[34:35]
	s_cbranch_execnz .LBB22_43
; %bb.44:                               ;   in Loop: Header=BB22_12 Depth=1
	s_or_b64 exec, exec, s[34:35]
	s_branch .LBB22_9
.LBB22_45:                              ;   in Loop: Header=BB22_12 Depth=1
	v_cvt_f32_i32_e32 v15, v15
	s_waitcnt vmcnt(3)
	v_cvt_f32_f16_e32 v18, v18
	v_mov_b32_e32 v47, v1
	v_add_f32_e32 v13, v13, v15
	v_add_f32_e32 v13, v13, v18
	v_cvt_f16_f32_e32 v13, v13
	v_lshl_add_u64 v[18:19], v[46:47], 1, s[18:19]
	global_store_short v[18:19], v13, off
	s_or_b64 exec, exec, s[28:29]
	v_cmp_ne_u32_e32 vcc, 0, v3
	s_and_saveexec_b64 s[28:29], vcc
	s_cbranch_execz .LBB22_37
.LBB22_46:                              ;   in Loop: Header=BB22_12 Depth=1
	v_cvt_f32_i32_e32 v13, v14
	s_waitcnt vmcnt(2)
	v_cvt_f32_f16_e32 v14, v17
	v_mov_b32_e32 v47, v1
	v_add_f32_e32 v12, v12, v13
	v_add_f32_e32 v12, v12, v14
	v_cvt_f16_f32_e32 v14, v12
	v_lshl_add_u64 v[12:13], v[46:47], 1, s[26:27]
	global_store_short v[12:13], v14, off
	s_or_b64 exec, exec, s[28:29]
	v_cmp_ne_u32_e32 vcc, 0, v4
	s_and_saveexec_b64 s[28:29], vcc
	s_cbranch_execz .LBB22_38
.LBB22_47:                              ;   in Loop: Header=BB22_12 Depth=1
	v_cvt_f32_i32_e32 v11, v11
	s_waitcnt vmcnt(1)
	v_cvt_f32_f16_e32 v12, v16
	v_add_f32_e32 v9, v9, v11
	v_add_f32_e32 v9, v9, v12
	v_cvt_f16_f32_e32 v11, v9
	v_mov_b32_e32 v9, v1
	v_lshl_add_u64 v[8:9], v[8:9], 1, s[18:19]
	global_store_short v[8:9], v11, off
	s_or_b64 exec, exec, s[28:29]
	v_cmp_ne_u32_e32 vcc, 0, v5
	s_and_b64 exec, exec, vcc
	s_cbranch_execnz .LBB22_39
	s_branch .LBB22_40
.LBB22_48:
	s_endpgm
	.section	.rodata,"a",@progbits
	.p2align	6, 0x0
	.amdhsa_kernel _Z16wvSplitK_hf_big_I6__halfLi32ELi4ELi16ELi8ELi2ELi1EEviiiiiiPKT_S3_S3_PS1_ii
		.amdhsa_group_segment_fixed_size 65536
		.amdhsa_private_segment_fixed_size 0
		.amdhsa_kernarg_size 64
		.amdhsa_user_sgpr_count 2
		.amdhsa_user_sgpr_dispatch_ptr 0
		.amdhsa_user_sgpr_queue_ptr 0
		.amdhsa_user_sgpr_kernarg_segment_ptr 1
		.amdhsa_user_sgpr_dispatch_id 0
		.amdhsa_user_sgpr_kernarg_preload_length 0
		.amdhsa_user_sgpr_kernarg_preload_offset 0
		.amdhsa_user_sgpr_private_segment_size 0
		.amdhsa_uses_dynamic_stack 0
		.amdhsa_enable_private_segment 0
		.amdhsa_system_sgpr_workgroup_id_x 1
		.amdhsa_system_sgpr_workgroup_id_y 0
		.amdhsa_system_sgpr_workgroup_id_z 0
		.amdhsa_system_sgpr_workgroup_info 0
		.amdhsa_system_vgpr_workitem_id 1
		.amdhsa_next_free_vgpr 65
		.amdhsa_next_free_sgpr 48
		.amdhsa_accum_offset 68
		.amdhsa_reserve_vcc 1
		.amdhsa_float_round_mode_32 0
		.amdhsa_float_round_mode_16_64 0
		.amdhsa_float_denorm_mode_32 3
		.amdhsa_float_denorm_mode_16_64 3
		.amdhsa_dx10_clamp 1
		.amdhsa_ieee_mode 1
		.amdhsa_fp16_overflow 0
		.amdhsa_tg_split 0
		.amdhsa_exception_fp_ieee_invalid_op 0
		.amdhsa_exception_fp_denorm_src 0
		.amdhsa_exception_fp_ieee_div_zero 0
		.amdhsa_exception_fp_ieee_overflow 0
		.amdhsa_exception_fp_ieee_underflow 0
		.amdhsa_exception_fp_ieee_inexact 0
		.amdhsa_exception_int_div_zero 0
	.end_amdhsa_kernel
	.section	.text._Z16wvSplitK_hf_big_I6__halfLi32ELi4ELi16ELi8ELi2ELi1EEviiiiiiPKT_S3_S3_PS1_ii,"axG",@progbits,_Z16wvSplitK_hf_big_I6__halfLi32ELi4ELi16ELi8ELi2ELi1EEviiiiiiPKT_S3_S3_PS1_ii,comdat
.Lfunc_end22:
	.size	_Z16wvSplitK_hf_big_I6__halfLi32ELi4ELi16ELi8ELi2ELi1EEviiiiiiPKT_S3_S3_PS1_ii, .Lfunc_end22-_Z16wvSplitK_hf_big_I6__halfLi32ELi4ELi16ELi8ELi2ELi1EEviiiiiiPKT_S3_S3_PS1_ii
                                        ; -- End function
	.section	.AMDGPU.csdata,"",@progbits
; Kernel info:
; codeLenInByte = 2784
; NumSgprs: 54
; NumVgprs: 65
; NumAgprs: 0
; TotalNumVgprs: 65
; ScratchSize: 0
; MemoryBound: 0
; FloatMode: 240
; IeeeMode: 1
; LDSByteSize: 65536 bytes/workgroup (compile time only)
; SGPRBlocks: 6
; VGPRBlocks: 8
; NumSGPRsForWavesPerEU: 54
; NumVGPRsForWavesPerEU: 65
; AccumOffset: 68
; Occupancy: 2
; WaveLimiterHint : 0
; COMPUTE_PGM_RSRC2:SCRATCH_EN: 0
; COMPUTE_PGM_RSRC2:USER_SGPR: 2
; COMPUTE_PGM_RSRC2:TRAP_HANDLER: 0
; COMPUTE_PGM_RSRC2:TGID_X_EN: 1
; COMPUTE_PGM_RSRC2:TGID_Y_EN: 0
; COMPUTE_PGM_RSRC2:TGID_Z_EN: 0
; COMPUTE_PGM_RSRC2:TIDIG_COMP_CNT: 1
; COMPUTE_PGM_RSRC3_GFX90A:ACCUM_OFFSET: 16
; COMPUTE_PGM_RSRC3_GFX90A:TG_SPLIT: 0
	.section	.text._Z16wvSplitK_hf_sml_I6__halfLi64ELi1ELi16ELi8ELi4ELi1EEviiiiiiPKT_S3_S3_PS1_ii,"axG",@progbits,_Z16wvSplitK_hf_sml_I6__halfLi64ELi1ELi16ELi8ELi4ELi1EEviiiiiiPKT_S3_S3_PS1_ii,comdat
	.protected	_Z16wvSplitK_hf_sml_I6__halfLi64ELi1ELi16ELi8ELi4ELi1EEviiiiiiPKT_S3_S3_PS1_ii ; -- Begin function _Z16wvSplitK_hf_sml_I6__halfLi64ELi1ELi16ELi8ELi4ELi1EEviiiiiiPKT_S3_S3_PS1_ii
	.globl	_Z16wvSplitK_hf_sml_I6__halfLi64ELi1ELi16ELi8ELi4ELi1EEviiiiiiPKT_S3_S3_PS1_ii
	.p2align	8
	.type	_Z16wvSplitK_hf_sml_I6__halfLi64ELi1ELi16ELi8ELi4ELi1EEviiiiiiPKT_S3_S3_PS1_ii,@function
_Z16wvSplitK_hf_sml_I6__halfLi64ELi1ELi16ELi8ELi4ELi1EEviiiiiiPKT_S3_S3_PS1_ii: ; @_Z16wvSplitK_hf_sml_I6__halfLi64ELi1ELi16ELi8ELi4ELi1EEviiiiiiPKT_S3_S3_PS1_ii
; %bb.0:
	s_load_dwordx4 s[4:7], s[0:1], 0x0
	s_load_dword s26, s[0:1], 0x10
	s_load_dwordx2 s[8:9], s[0:1], 0x28
	v_and_b32_e32 v2, 0x3ff, v0
	v_bfe_u32 v3, v0, 10, 10
	v_lshlrev_b32_e32 v38, 3, v2
	v_lshl_add_u32 v4, v3, 9, v38
	s_waitcnt lgkmcnt(0)
	s_min_u32 s3, s6, 0x8000
	v_cmp_gt_u32_e32 vcc, s3, v4
	s_and_saveexec_b64 s[10:11], vcc
	s_cbranch_execz .LBB23_3
; %bb.1:
	s_load_dwordx2 s[12:13], s[0:1], 0x20
	v_mov_b32_e32 v7, 0
	v_lshlrev_b32_e32 v6, 10, v3
	v_lshlrev_b32_e32 v8, 4, v2
	v_mov_b32_e32 v9, v7
	v_lshl_add_u64 v[0:1], v[6:7], 0, v[8:9]
	s_waitcnt lgkmcnt(0)
	v_lshl_add_u64 v[0:1], s[12:13], 0, v[0:1]
	v_add_u32_e32 v5, v6, v8
	s_mov_b64 s[12:13], 0
	s_mov_b64 s[14:15], 0x4000
.LBB23_2:                               ; =>This Inner Loop Header: Depth=1
	global_load_dwordx4 v[6:9], v[0:1], off
	v_add_u32_e32 v4, 0x2000, v4
	v_cmp_le_u32_e32 vcc, s3, v4
	v_lshl_add_u64 v[0:1], v[0:1], 0, s[14:15]
	s_or_b64 s[12:13], vcc, s[12:13]
	s_waitcnt vmcnt(0)
	ds_write_b128 v5, v[6:9]
	v_add_u32_e32 v5, 0x4000, v5
	s_andn2_b64 exec, exec, s[12:13]
	s_cbranch_execnz .LBB23_2
.LBB23_3:
	s_or_b64 exec, exec, s[10:11]
	s_load_dwordx2 s[18:19], s[0:1], 0x38
	s_waitcnt lgkmcnt(0)
	s_barrier
	v_cmp_gt_u32_e32 vcc, s18, v3
	s_and_saveexec_b64 s[10:11], vcc
	s_cbranch_execz .LBB23_24
; %bb.4:
	s_mul_i32 s2, s2, s18
	v_add_u32_e32 v32, s2, v3
	v_cmp_gt_u32_e32 vcc, s7, v32
	s_and_b64 exec, exec, vcc
	s_cbranch_execz .LBB23_24
; %bb.5:
	v_cvt_f32_u32_e32 v0, s26
	s_cmp_lg_u32 s4, 0
	s_cselect_b64 s[2:3], -1, 0
	s_add_i32 s6, s4, -8
	v_rcp_iflag_f32_e32 v0, v0
	s_add_i32 s27, s7, -1
	s_cmp_lg_u64 s[8:9], 0
	s_load_dwordx2 s[10:11], s[0:1], 0x18
	s_load_dwordx2 s[12:13], s[0:1], 0x30
	v_mul_f32_e32 v0, 0x4f7ffffe, v0
	v_cvt_u32_f32_e32 v0, v0
	s_cselect_b64 s[16:17], -1, 0
	s_mul_i32 s28, s19, s18
	s_sub_i32 s18, 0, s26
	v_mul_lo_u32 v1, s18, v0
	v_mul_hi_u32 v1, v0, v1
	v_add_u32_e32 v39, v0, v1
	v_cndmask_b32_e64 v0, 0, 1, s[2:3]
	v_cmp_eq_u32_e64 s[0:1], 63, v2
	s_mov_b64 s[14:15], 0
	v_mov_b32_e32 v35, 0
	v_lshlrev_b32_e32 v40, 4, v2
	v_cmp_ne_u32_e64 s[2:3], 1, v0
	s_branch .LBB23_8
.LBB23_6:                               ;   in Loop: Header=BB23_8 Depth=1
	v_cvt_f32_i32_e32 v1, v1
	s_waitcnt vmcnt(0)
	v_cvt_f32_f16_e32 v2, v2
	v_add_f32_e32 v0, v0, v1
	v_add_f32_e32 v0, v0, v2
	v_cvt_f16_f32_e32 v2, v0
	s_waitcnt lgkmcnt(0)
	v_lshl_add_u64 v[0:1], v[32:33], 1, s[12:13]
	global_store_short v[0:1], v2, off
.LBB23_7:                               ;   in Loop: Header=BB23_8 Depth=1
	s_or_b64 exec, exec, s[18:19]
	v_add_u32_e32 v32, s28, v32
	v_cmp_le_u32_e32 vcc, s7, v32
	s_or_b64 s[14:15], vcc, s[14:15]
	s_andn2_b64 exec, exec, s[14:15]
	s_cbranch_execz .LBB23_24
.LBB23_8:                               ; =>This Loop Header: Depth=1
                                        ;     Child Loop BB23_14 Depth 2
	s_and_b64 vcc, exec, s[2:3]
	v_mov_b32_e32 v33, v35
	s_cbranch_vccnz .LBB23_19
; %bb.9:                                ;   in Loop: Header=BB23_8 Depth=1
	v_min_u32_e32 v0, s27, v32
	v_mul_lo_u32 v34, v0, s5
	s_waitcnt lgkmcnt(0)
	v_lshl_add_u64 v[36:37], v[34:35], 1, s[10:11]
	s_mov_b32 s29, 0
	v_mov_b32_e32 v33, 0
	v_mov_b32_e32 v41, v40
	s_branch .LBB23_14
.LBB23_10:                              ;   in Loop: Header=BB23_14 Depth=2
	s_or_b64 exec, exec, s[24:25]
.LBB23_11:                              ;   in Loop: Header=BB23_14 Depth=2
	s_or_b64 exec, exec, s[22:23]
.LBB23_12:                              ;   in Loop: Header=BB23_14 Depth=2
	s_or_b64 exec, exec, s[20:21]
.LBB23_13:                              ;   in Loop: Header=BB23_14 Depth=2
	s_or_b64 exec, exec, s[18:19]
	s_waitcnt vmcnt(3) lgkmcnt(0)
	;;#ASMSTART
	v_dot2c_f32_f16 v33, v20, v12
	;;#ASMEND
	s_addk_i32 s29, 0x800
	;;#ASMSTART
	v_dot2c_f32_f16 v33, v21, v13
	;;#ASMEND
	s_cmp_ge_u32 s29, s4
	;;#ASMSTART
	v_dot2c_f32_f16 v33, v22, v14
	;;#ASMEND
	v_add_u32_e32 v41, 0x1000, v41
	;;#ASMSTART
	v_dot2c_f32_f16 v33, v23, v15
	;;#ASMEND
	s_waitcnt vmcnt(2)
	;;#ASMSTART
	v_dot2c_f32_f16 v33, v28, v4
	;;#ASMEND
	s_nop 0
	;;#ASMSTART
	v_dot2c_f32_f16 v33, v29, v5
	;;#ASMEND
	s_nop 0
	;;#ASMSTART
	v_dot2c_f32_f16 v33, v30, v6
	;;#ASMEND
	s_nop 0
	;;#ASMSTART
	v_dot2c_f32_f16 v33, v31, v7
	;;#ASMEND
	s_waitcnt vmcnt(1)
	;;#ASMSTART
	v_dot2c_f32_f16 v33, v24, v8
	;;#ASMEND
	s_nop 0
	;;#ASMSTART
	v_dot2c_f32_f16 v33, v25, v9
	;;#ASMEND
	s_nop 0
	;;#ASMSTART
	v_dot2c_f32_f16 v33, v26, v10
	;;#ASMEND
	s_nop 0
	;; [unrolled: 16-line block ×3, first 2 shown]
	;;#ASMSTART
	v_dot2c_f32_f16 v33, v19, v3
	;;#ASMEND
	s_cbranch_scc1 .LBB23_19
.LBB23_14:                              ;   Parent Loop BB23_8 Depth=1
                                        ; =>  This Inner Loop Header: Depth=2
	v_add_u32_e32 v20, s29, v38
	v_min_u32_e32 v34, s6, v20
	v_add_u32_e32 v44, 0x200, v20
	v_lshl_add_u64 v[0:1], v[34:35], 1, v[36:37]
	v_min_u32_e32 v34, s6, v44
	v_add_u32_e32 v43, 0x400, v20
	v_lshl_add_u64 v[2:3], v[34:35], 1, v[36:37]
	;; [unrolled: 3-line block ×3, first 2 shown]
	v_min_u32_e32 v34, s6, v42
	global_load_dwordx4 v[12:15], v[0:1], off nt
	global_load_dwordx4 v[4:7], v[2:3], off nt
	v_lshl_add_u64 v[18:19], v[34:35], 1, v[36:37]
	global_load_dwordx4 v[8:11], v[16:17], off nt
	global_load_dwordx4 v[0:3], v[18:19], off nt
	v_cmp_gt_u32_e32 vcc, s4, v20
	v_mov_b32_e32 v22, 0
	v_mov_b32_e32 v23, 0
	;; [unrolled: 1-line block ×16, first 2 shown]
	s_and_saveexec_b64 s[18:19], vcc
	s_cbranch_execz .LBB23_13
; %bb.15:                               ;   in Loop: Header=BB23_14 Depth=2
	ds_read_b128 v[20:23], v41
	v_cmp_gt_u32_e32 vcc, s4, v44
	v_mov_b32_e32 v19, 0
	v_mov_b32_e32 v18, 0
	;; [unrolled: 1-line block ×12, first 2 shown]
	s_and_saveexec_b64 s[20:21], vcc
	s_cbranch_execz .LBB23_12
; %bb.16:                               ;   in Loop: Header=BB23_14 Depth=2
	ds_read_b128 v[28:31], v41 offset:1024
	v_cmp_gt_u32_e32 vcc, s4, v43
	v_mov_b32_e32 v19, 0
	v_mov_b32_e32 v18, 0
	;; [unrolled: 1-line block ×8, first 2 shown]
	s_and_saveexec_b64 s[22:23], vcc
	s_cbranch_execz .LBB23_11
; %bb.17:                               ;   in Loop: Header=BB23_14 Depth=2
	ds_read_b128 v[24:27], v41 offset:2048
	v_cmp_gt_u32_e32 vcc, s4, v42
	v_mov_b32_e32 v19, 0
	v_mov_b32_e32 v18, 0
	;; [unrolled: 1-line block ×4, first 2 shown]
	s_and_saveexec_b64 s[24:25], vcc
	s_cbranch_execz .LBB23_10
; %bb.18:                               ;   in Loop: Header=BB23_14 Depth=2
	ds_read_b128 v[16:19], v41 offset:3072
	s_branch .LBB23_10
.LBB23_19:                              ;   in Loop: Header=BB23_8 Depth=1
	; sched_barrier mask(0x00000000)
	v_cvt_i32_f32_e32 v0, v33
	s_nop 1
	v_cvt_f32_i32_dpp v0, v0 row_shr:8 row_mask:0xf bank_mask:0xf bound_ctrl:1
	v_add_f32_e32 v0, v33, v0
	v_cvt_i32_f32_e32 v1, v0
	s_nop 1
	v_cvt_f32_i32_dpp v1, v1 row_shr:4 row_mask:0xf bank_mask:0xf bound_ctrl:1
	v_add_f32_e32 v0, v0, v1
	;; [unrolled: 4-line block ×4, first 2 shown]
	v_cvt_i32_f32_e32 v1, v0
	s_nop 1
	v_cvt_f32_i32_dpp v1, v1 row_bcast:15 row_mask:0xf bank_mask:0xf bound_ctrl:1
	v_add_f32_e32 v0, v0, v1
	v_cvt_i32_f32_e32 v1, v0
	s_nop 1
	v_mov_b32_dpp v1, v1 row_bcast:31 row_mask:0xf bank_mask:0xf bound_ctrl:1
	s_and_saveexec_b64 s[18:19], s[0:1]
	s_cbranch_execz .LBB23_7
; %bb.20:                               ;   in Loop: Header=BB23_8 Depth=1
	s_and_b64 vcc, exec, s[16:17]
	s_cbranch_vccz .LBB23_22
; %bb.21:                               ;   in Loop: Header=BB23_8 Depth=1
	v_mul_hi_u32 v2, v32, v39
	v_mul_lo_u32 v2, v2, s26
	v_sub_u32_e32 v2, v32, v2
	v_subrev_u32_e32 v3, s26, v2
	v_cmp_le_u32_e32 vcc, s26, v2
	v_mov_b32_e32 v33, v35
	s_nop 0
	v_cndmask_b32_e32 v2, v2, v3, vcc
	v_subrev_u32_e32 v3, s26, v2
	v_cmp_le_u32_e32 vcc, s26, v2
	s_nop 1
	v_cndmask_b32_e32 v34, v2, v3, vcc
	v_lshl_add_u64 v[2:3], v[34:35], 1, s[8:9]
	global_load_ushort v2, v[2:3], off
	s_cbranch_execnz .LBB23_6
	s_branch .LBB23_23
.LBB23_22:                              ;   in Loop: Header=BB23_8 Depth=1
                                        ; implicit-def: $vgpr2
.LBB23_23:                              ;   in Loop: Header=BB23_8 Depth=1
	v_mov_b32_e32 v33, v35
	s_waitcnt vmcnt(0)
	v_mov_b32_e32 v2, 0
	s_branch .LBB23_6
.LBB23_24:
	s_endpgm
	.section	.rodata,"a",@progbits
	.p2align	6, 0x0
	.amdhsa_kernel _Z16wvSplitK_hf_sml_I6__halfLi64ELi1ELi16ELi8ELi4ELi1EEviiiiiiPKT_S3_S3_PS1_ii
		.amdhsa_group_segment_fixed_size 65536
		.amdhsa_private_segment_fixed_size 0
		.amdhsa_kernarg_size 64
		.amdhsa_user_sgpr_count 2
		.amdhsa_user_sgpr_dispatch_ptr 0
		.amdhsa_user_sgpr_queue_ptr 0
		.amdhsa_user_sgpr_kernarg_segment_ptr 1
		.amdhsa_user_sgpr_dispatch_id 0
		.amdhsa_user_sgpr_kernarg_preload_length 0
		.amdhsa_user_sgpr_kernarg_preload_offset 0
		.amdhsa_user_sgpr_private_segment_size 0
		.amdhsa_uses_dynamic_stack 0
		.amdhsa_enable_private_segment 0
		.amdhsa_system_sgpr_workgroup_id_x 1
		.amdhsa_system_sgpr_workgroup_id_y 0
		.amdhsa_system_sgpr_workgroup_id_z 0
		.amdhsa_system_sgpr_workgroup_info 0
		.amdhsa_system_vgpr_workitem_id 1
		.amdhsa_next_free_vgpr 45
		.amdhsa_next_free_sgpr 30
		.amdhsa_accum_offset 48
		.amdhsa_reserve_vcc 1
		.amdhsa_float_round_mode_32 0
		.amdhsa_float_round_mode_16_64 0
		.amdhsa_float_denorm_mode_32 3
		.amdhsa_float_denorm_mode_16_64 3
		.amdhsa_dx10_clamp 1
		.amdhsa_ieee_mode 1
		.amdhsa_fp16_overflow 0
		.amdhsa_tg_split 0
		.amdhsa_exception_fp_ieee_invalid_op 0
		.amdhsa_exception_fp_denorm_src 0
		.amdhsa_exception_fp_ieee_div_zero 0
		.amdhsa_exception_fp_ieee_overflow 0
		.amdhsa_exception_fp_ieee_underflow 0
		.amdhsa_exception_fp_ieee_inexact 0
		.amdhsa_exception_int_div_zero 0
	.end_amdhsa_kernel
	.section	.text._Z16wvSplitK_hf_sml_I6__halfLi64ELi1ELi16ELi8ELi4ELi1EEviiiiiiPKT_S3_S3_PS1_ii,"axG",@progbits,_Z16wvSplitK_hf_sml_I6__halfLi64ELi1ELi16ELi8ELi4ELi1EEviiiiiiPKT_S3_S3_PS1_ii,comdat
.Lfunc_end23:
	.size	_Z16wvSplitK_hf_sml_I6__halfLi64ELi1ELi16ELi8ELi4ELi1EEviiiiiiPKT_S3_S3_PS1_ii, .Lfunc_end23-_Z16wvSplitK_hf_sml_I6__halfLi64ELi1ELi16ELi8ELi4ELi1EEviiiiiiPKT_S3_S3_PS1_ii
                                        ; -- End function
	.section	.AMDGPU.csdata,"",@progbits
; Kernel info:
; codeLenInByte = 1296
; NumSgprs: 36
; NumVgprs: 45
; NumAgprs: 0
; TotalNumVgprs: 45
; ScratchSize: 0
; MemoryBound: 0
; FloatMode: 240
; IeeeMode: 1
; LDSByteSize: 65536 bytes/workgroup (compile time only)
; SGPRBlocks: 4
; VGPRBlocks: 5
; NumSGPRsForWavesPerEU: 36
; NumVGPRsForWavesPerEU: 45
; AccumOffset: 48
; Occupancy: 4
; WaveLimiterHint : 0
; COMPUTE_PGM_RSRC2:SCRATCH_EN: 0
; COMPUTE_PGM_RSRC2:USER_SGPR: 2
; COMPUTE_PGM_RSRC2:TRAP_HANDLER: 0
; COMPUTE_PGM_RSRC2:TGID_X_EN: 1
; COMPUTE_PGM_RSRC2:TGID_Y_EN: 0
; COMPUTE_PGM_RSRC2:TGID_Z_EN: 0
; COMPUTE_PGM_RSRC2:TIDIG_COMP_CNT: 1
; COMPUTE_PGM_RSRC3_GFX90A:ACCUM_OFFSET: 11
; COMPUTE_PGM_RSRC3_GFX90A:TG_SPLIT: 0
	.section	.text._Z12wvSplitK_hf_I6__halfLi64ELi1ELi16ELi8ELi4ELi1EEviiiiiiPKT_S3_S3_PS1_ii,"axG",@progbits,_Z12wvSplitK_hf_I6__halfLi64ELi1ELi16ELi8ELi4ELi1EEviiiiiiPKT_S3_S3_PS1_ii,comdat
	.protected	_Z12wvSplitK_hf_I6__halfLi64ELi1ELi16ELi8ELi4ELi1EEviiiiiiPKT_S3_S3_PS1_ii ; -- Begin function _Z12wvSplitK_hf_I6__halfLi64ELi1ELi16ELi8ELi4ELi1EEviiiiiiPKT_S3_S3_PS1_ii
	.globl	_Z12wvSplitK_hf_I6__halfLi64ELi1ELi16ELi8ELi4ELi1EEviiiiiiPKT_S3_S3_PS1_ii
	.p2align	8
	.type	_Z12wvSplitK_hf_I6__halfLi64ELi1ELi16ELi8ELi4ELi1EEviiiiiiPKT_S3_S3_PS1_ii,@function
_Z12wvSplitK_hf_I6__halfLi64ELi1ELi16ELi8ELi4ELi1EEviiiiiiPKT_S3_S3_PS1_ii: ; @_Z12wvSplitK_hf_I6__halfLi64ELi1ELi16ELi8ELi4ELi1EEviiiiiiPKT_S3_S3_PS1_ii
; %bb.0:
	s_load_dwordx2 s[4:5], s[0:1], 0x38
	s_load_dwordx4 s[8:11], s[0:1], 0x0
	s_load_dword s33, s[0:1], 0x10
	v_bfe_u32 v3, v0, 10, 10
	v_mov_b32_e32 v46, 1
	s_waitcnt lgkmcnt(0)
	s_mul_i32 s2, s2, s4
	v_add_u32_e32 v32, s2, v3
	v_add_u32_e32 v1, 1, v32
	v_cmp_gt_u32_e32 vcc, s11, v32
	v_cmp_le_u32_e64 s[2:3], s11, v1
	s_and_b64 s[6:7], vcc, s[2:3]
	s_and_saveexec_b64 s[2:3], s[6:7]
; %bb.1:
	v_subrev_u32_e32 v1, s11, v32
	v_cmp_eq_u32_e32 vcc, -1, v1
	s_add_i32 s6, s11, -1
	v_mov_b32_e32 v32, s6
	v_cndmask_b32_e64 v46, 0, 1, vcc
; %bb.2:
	s_or_b64 exec, exec, s[2:3]
	s_load_dwordx4 s[12:15], s[0:1], 0x20
	v_and_b32_e32 v2, 0x3ff, v0
	v_lshlrev_b32_e32 v47, 3, v2
	v_lshl_add_u32 v4, v3, 9, v47
	s_min_u32 s10, s10, 0x8000
	v_cmp_gt_u32_e32 vcc, s10, v4
	s_and_saveexec_b64 s[2:3], vcc
	s_cbranch_execz .LBB24_5
; %bb.3:
	v_mov_b32_e32 v7, 0
	v_lshlrev_b32_e32 v6, 10, v3
	v_lshlrev_b32_e32 v8, 4, v2
	v_mov_b32_e32 v9, v7
	v_lshl_add_u64 v[0:1], v[6:7], 0, v[8:9]
	s_waitcnt lgkmcnt(0)
	v_lshl_add_u64 v[0:1], s[12:13], 0, v[0:1]
	v_add_u32_e32 v5, v6, v8
	s_mov_b64 s[6:7], 0
	s_mov_b64 s[16:17], 0x4000
.LBB24_4:                               ; =>This Inner Loop Header: Depth=1
	global_load_dwordx4 v[6:9], v[0:1], off
	v_add_u32_e32 v4, 0x2000, v4
	v_cmp_le_u32_e32 vcc, s10, v4
	v_lshl_add_u64 v[0:1], v[0:1], 0, s[16:17]
	s_or_b64 s[6:7], vcc, s[6:7]
	s_waitcnt vmcnt(0)
	ds_write_b128 v5, v[6:9]
	v_add_u32_e32 v5, 0x4000, v5
	s_andn2_b64 exec, exec, s[6:7]
	s_cbranch_execnz .LBB24_4
.LBB24_5:
	s_or_b64 exec, exec, s[2:3]
	v_cmp_gt_u32_e32 vcc, s4, v3
	v_cmp_gt_u32_e64 s[2:3], s11, v32
	s_and_b64 s[2:3], vcc, s[2:3]
	s_waitcnt lgkmcnt(0)
	s_barrier
	s_and_saveexec_b64 s[6:7], s[2:3]
	s_cbranch_execz .LBB24_40
; %bb.6:
	v_cvt_f32_u32_e32 v0, s33
	s_cmp_lg_u32 s8, 0
	s_cselect_b64 s[2:3], -1, 0
	s_add_i32 s10, s8, -8
	v_rcp_iflag_f32_e32 v0, v0
	s_add_i32 s36, s11, -1
	s_cmp_lg_u64 s[14:15], 0
	s_load_dwordx2 s[16:17], s[0:1], 0x18
	s_load_dwordx2 s[18:19], s[0:1], 0x30
	v_mul_f32_e32 v0, 0x4f7ffffe, v0
	v_cvt_u32_f32_e32 v0, v0
	s_cselect_b64 s[22:23], -1, 0
	s_mul_i32 s37, s5, s4
	s_sub_i32 s4, 0, s33
	v_mul_lo_u32 v1, s4, v0
	v_mul_hi_u32 v1, v0, v1
	s_sub_i32 s38, s37, s11
	v_add_u32_e32 v48, v0, v1
	v_cndmask_b32_e64 v0, 0, 1, s[2:3]
	v_cmp_eq_u32_e64 s[0:1], 63, v2
	s_mov_b64 s[20:21], 0
	s_add_i32 s38, s38, 2
	v_mov_b32_e32 v35, 0
	v_lshlrev_b32_e32 v49, 4, v2
	v_cmp_ne_u32_e64 s[2:3], 1, v0
	s_movk_i32 s39, 0x7fff
	s_mov_b32 s24, 0
	s_branch .LBB24_8
.LBB24_7:                               ;   in Loop: Header=BB24_8 Depth=1
	s_or_b64 exec, exec, s[4:5]
	v_add_u32_e32 v0, s37, v32
	v_add_u32_e32 v1, 1, v0
	v_cmp_le_u32_e32 vcc, s11, v0
	v_cmp_gt_u32_e64 s[4:5], s11, v1
	v_add_u32_e32 v1, s38, v32
	v_cmp_eq_u32_e64 s[6:7], 1, v1
	v_mov_b32_e32 v1, s36
	s_or_b64 vcc, vcc, s[4:5]
	v_cndmask_b32_e32 v32, v1, v0, vcc
	v_cmp_le_u32_e64 s[4:5], s11, v32
	s_or_b64 vcc, vcc, s[6:7]
	s_or_b64 s[20:21], s[4:5], s[20:21]
	v_cndmask_b32_e32 v46, 0, v46, vcc
	s_andn2_b64 exec, exec, s[20:21]
	s_cbranch_execz .LBB24_40
.LBB24_8:                               ; =>This Loop Header: Depth=1
                                        ;     Child Loop BB24_15 Depth 2
	s_and_b64 vcc, exec, s[2:3]
	v_mov_b32_e32 v33, v35
	s_cbranch_vccnz .LBB24_35
; %bb.9:                                ;   in Loop: Header=BB24_8 Depth=1
	v_min_u32_e32 v0, s36, v32
	v_mul_lo_u32 v34, v0, s9
	s_waitcnt lgkmcnt(0)
	v_lshl_add_u64 v[36:37], v[34:35], 1, s[16:17]
	s_mov_b32 s4, 0
	v_mov_b32_e32 v33, 0
	v_mov_b32_e32 v50, v49
	s_mov_b32 s40, 0
	s_branch .LBB24_15
.LBB24_10:                              ;   in Loop: Header=BB24_15 Depth=2
	s_or_b64 exec, exec, s[34:35]
.LBB24_11:                              ;   in Loop: Header=BB24_15 Depth=2
	s_or_b64 exec, exec, s[30:31]
.LBB24_12:                              ;   in Loop: Header=BB24_15 Depth=2
	s_or_b64 exec, exec, s[28:29]
.LBB24_13:                              ;   in Loop: Header=BB24_15 Depth=2
	s_or_b64 exec, exec, s[26:27]
.LBB24_14:                              ;   in Loop: Header=BB24_15 Depth=2
	s_or_b64 exec, exec, s[6:7]
	s_waitcnt vmcnt(0) lgkmcnt(0)
	;;#ASMSTART
	v_dot2c_f32_f16 v33, v16, v12
	;;#ASMEND
	s_addk_i32 s40, 0x800
	;;#ASMSTART
	v_dot2c_f32_f16 v33, v17, v13
	;;#ASMEND
	s_cmp_lt_u32 s40, s8
	;;#ASMSTART
	v_dot2c_f32_f16 v33, v18, v14
	;;#ASMEND
	v_add_u32_e32 v50, 0x1000, v50
	;;#ASMSTART
	v_dot2c_f32_f16 v33, v19, v15
	;;#ASMEND
	s_nop 0
	;;#ASMSTART
	v_dot2c_f32_f16 v33, v20, v8
	;;#ASMEND
	s_nop 0
	;; [unrolled: 4-line block ×12, first 2 shown]
	;;#ASMSTART
	v_dot2c_f32_f16 v33, v31, v3
	;;#ASMEND
	s_cbranch_scc0 .LBB24_35
.LBB24_15:                              ;   Parent Loop BB24_8 Depth=1
                                        ; =>  This Inner Loop Header: Depth=2
	v_add_u32_e32 v44, s40, v47
	v_min_u32_e32 v34, s10, v44
	v_add_u32_e32 v42, 0x200, v44
	v_lshl_add_u64 v[0:1], v[34:35], 1, v[36:37]
	v_min_u32_e32 v34, s10, v42
	v_add_u32_e32 v40, 0x400, v44
	s_waitcnt vmcnt(0)
	v_lshl_add_u64 v[2:3], v[34:35], 1, v[36:37]
	v_min_u32_e32 v34, s10, v40
	v_add_u32_e32 v38, 0x600, v44
	v_lshl_add_u64 v[16:17], v[34:35], 1, v[36:37]
	v_min_u32_e32 v34, s10, v38
	global_load_dwordx4 v[12:15], v[0:1], off nt
	global_load_dwordx4 v[8:11], v[2:3], off nt
	v_lshl_add_u64 v[18:19], v[34:35], 1, v[36:37]
	global_load_dwordx4 v[4:7], v[16:17], off nt
	global_load_dwordx4 v[0:3], v[18:19], off nt
	s_mov_b32 s5, s4
	v_cmp_gt_u32_e32 vcc, s8, v44
	v_mov_b64_e32 v[26:27], s[4:5]
	v_mov_b32_e32 v31, 0
	v_mov_b32_e32 v30, 0
	;; [unrolled: 1-line block ×4, first 2 shown]
	v_mov_b64_e32 v[24:25], s[4:5]
	v_mov_b64_e32 v[22:23], s[4:5]
	;; [unrolled: 1-line block ×5, first 2 shown]
	s_and_saveexec_b64 s[6:7], vcc
	s_cbranch_execz .LBB24_14
; %bb.16:                               ;   in Loop: Header=BB24_15 Depth=2
	v_cmp_lt_u32_e32 vcc, s39, v44
                                        ; implicit-def: $vgpr16_vgpr17
	s_and_saveexec_b64 s[26:27], vcc
	s_xor_b64 s[26:27], exec, s[26:27]
	s_cbranch_execz .LBB24_18
; %bb.17:                               ;   in Loop: Header=BB24_15 Depth=2
	v_mov_b32_e32 v45, v35
	v_lshl_add_u64 v[16:17], v[44:45], 1, s[12:13]
	global_load_dwordx4 v[16:19], v[16:17], off
.LBB24_18:                              ;   in Loop: Header=BB24_15 Depth=2
	s_andn2_saveexec_b64 s[26:27], s[26:27]
	s_cbranch_execz .LBB24_20
; %bb.19:                               ;   in Loop: Header=BB24_15 Depth=2
	s_waitcnt vmcnt(0)
	ds_read_b128 v[16:19], v50
.LBB24_20:                              ;   in Loop: Header=BB24_15 Depth=2
	s_or_b64 exec, exec, s[26:27]
	s_mov_b32 s25, s24
	v_cmp_gt_u32_e32 vcc, s8, v42
	v_mov_b32_e32 v31, 0
	v_mov_b64_e32 v[26:27], s[24:25]
	v_mov_b32_e32 v30, 0
	v_mov_b32_e32 v29, 0
	;; [unrolled: 1-line block ×3, first 2 shown]
	v_mov_b64_e32 v[24:25], s[24:25]
	v_mov_b64_e32 v[22:23], s[24:25]
	;; [unrolled: 1-line block ×3, first 2 shown]
	s_and_saveexec_b64 s[26:27], vcc
	s_cbranch_execz .LBB24_13
; %bb.21:                               ;   in Loop: Header=BB24_15 Depth=2
	v_cmp_lt_u32_e32 vcc, s39, v42
                                        ; implicit-def: $vgpr22_vgpr23
	s_and_saveexec_b64 s[28:29], vcc
	s_xor_b64 s[28:29], exec, s[28:29]
	s_cbranch_execz .LBB24_23
; %bb.22:                               ;   in Loop: Header=BB24_15 Depth=2
	v_mov_b32_e32 v43, v35
	v_lshl_add_u64 v[20:21], v[42:43], 1, s[12:13]
	global_load_dwordx4 v[20:23], v[20:21], off
.LBB24_23:                              ;   in Loop: Header=BB24_15 Depth=2
	s_andn2_saveexec_b64 s[28:29], s[28:29]
	s_cbranch_execz .LBB24_25
; %bb.24:                               ;   in Loop: Header=BB24_15 Depth=2
	s_waitcnt vmcnt(0)
	ds_read_b128 v[20:23], v50 offset:1024
.LBB24_25:                              ;   in Loop: Header=BB24_15 Depth=2
	s_or_b64 exec, exec, s[28:29]
	s_mov_b32 s25, s24
	v_cmp_gt_u32_e32 vcc, s8, v40
	v_mov_b32_e32 v31, 0
	v_mov_b64_e32 v[26:27], s[24:25]
	v_mov_b32_e32 v30, 0
	v_mov_b32_e32 v29, 0
	;; [unrolled: 1-line block ×3, first 2 shown]
	v_mov_b64_e32 v[24:25], s[24:25]
	s_and_saveexec_b64 s[28:29], vcc
	s_cbranch_execz .LBB24_12
; %bb.26:                               ;   in Loop: Header=BB24_15 Depth=2
	v_cmp_lt_u32_e32 vcc, s39, v40
                                        ; implicit-def: $vgpr26_vgpr27
	s_and_saveexec_b64 s[30:31], vcc
	s_xor_b64 s[30:31], exec, s[30:31]
	s_cbranch_execz .LBB24_28
; %bb.27:                               ;   in Loop: Header=BB24_15 Depth=2
	v_mov_b32_e32 v41, v35
	v_lshl_add_u64 v[24:25], v[40:41], 1, s[12:13]
	global_load_dwordx4 v[24:27], v[24:25], off
.LBB24_28:                              ;   in Loop: Header=BB24_15 Depth=2
	s_andn2_saveexec_b64 s[30:31], s[30:31]
	s_cbranch_execz .LBB24_30
; %bb.29:                               ;   in Loop: Header=BB24_15 Depth=2
	s_waitcnt vmcnt(0)
	ds_read_b128 v[24:27], v50 offset:2048
.LBB24_30:                              ;   in Loop: Header=BB24_15 Depth=2
	s_or_b64 exec, exec, s[30:31]
	v_cmp_gt_u32_e32 vcc, s8, v38
	v_mov_b32_e32 v31, 0
	v_mov_b32_e32 v30, 0
	;; [unrolled: 1-line block ×4, first 2 shown]
	s_and_saveexec_b64 s[30:31], vcc
	s_cbranch_execz .LBB24_11
; %bb.31:                               ;   in Loop: Header=BB24_15 Depth=2
	v_cmp_lt_u32_e32 vcc, s39, v38
                                        ; implicit-def: $vgpr31
	s_and_saveexec_b64 s[34:35], vcc
	s_xor_b64 s[34:35], exec, s[34:35]
	s_cbranch_execz .LBB24_33
; %bb.32:                               ;   in Loop: Header=BB24_15 Depth=2
	v_mov_b32_e32 v39, v35
	v_lshl_add_u64 v[28:29], v[38:39], 1, s[12:13]
	global_load_dwordx4 v[28:31], v[28:29], off
.LBB24_33:                              ;   in Loop: Header=BB24_15 Depth=2
	s_andn2_saveexec_b64 s[34:35], s[34:35]
	s_cbranch_execz .LBB24_10
; %bb.34:                               ;   in Loop: Header=BB24_15 Depth=2
	s_waitcnt vmcnt(0)
	ds_read_b128 v[28:31], v50 offset:3072
	s_branch .LBB24_10
.LBB24_35:                              ;   in Loop: Header=BB24_8 Depth=1
	v_cvt_i32_f32_e32 v0, v33
	s_nop 1
	v_cvt_f32_i32_dpp v0, v0 row_shr:8 row_mask:0xf bank_mask:0xf bound_ctrl:1
	v_add_f32_e32 v0, v33, v0
	v_cvt_i32_f32_e32 v1, v0
	s_nop 1
	v_cvt_f32_i32_dpp v1, v1 row_shr:4 row_mask:0xf bank_mask:0xf bound_ctrl:1
	v_add_f32_e32 v0, v0, v1
	;; [unrolled: 4-line block ×4, first 2 shown]
	v_cvt_i32_f32_e32 v1, v0
	s_nop 1
	v_cvt_f32_i32_dpp v1, v1 row_bcast:15 row_mask:0xf bank_mask:0xf bound_ctrl:1
	v_add_f32_e32 v0, v0, v1
	v_cvt_i32_f32_e32 v1, v0
	s_nop 1
	v_mov_b32_dpp v1, v1 row_bcast:31 row_mask:0xf bank_mask:0xf bound_ctrl:1
	s_and_saveexec_b64 s[4:5], s[0:1]
	s_cbranch_execz .LBB24_7
; %bb.36:                               ;   in Loop: Header=BB24_8 Depth=1
	s_andn2_b64 vcc, exec, s[22:23]
	s_cbranch_vccnz .LBB24_38
; %bb.37:                               ;   in Loop: Header=BB24_8 Depth=1
	s_waitcnt vmcnt(0)
	v_mul_hi_u32 v2, v32, v48
	v_mul_lo_u32 v2, v2, s33
	v_sub_u32_e32 v2, v32, v2
	v_subrev_u32_e32 v3, s33, v2
	v_cmp_le_u32_e32 vcc, s33, v2
	s_nop 1
	v_cndmask_b32_e32 v2, v2, v3, vcc
	v_subrev_u32_e32 v3, s33, v2
	v_cmp_le_u32_e32 vcc, s33, v2
	s_nop 1
	v_cndmask_b32_e32 v34, v2, v3, vcc
	v_lshl_add_u64 v[2:3], v[34:35], 1, s[14:15]
	global_load_ushort v2, v[2:3], off
	v_cmp_ne_u32_e32 vcc, 0, v46
	s_and_b64 exec, exec, vcc
	s_cbranch_execz .LBB24_7
	s_branch .LBB24_39
.LBB24_38:                              ;   in Loop: Header=BB24_8 Depth=1
	s_waitcnt vmcnt(0)
	v_mov_b32_e32 v2, 0
	v_cmp_ne_u32_e32 vcc, 0, v46
	s_and_b64 exec, exec, vcc
	s_cbranch_execz .LBB24_7
.LBB24_39:                              ;   in Loop: Header=BB24_8 Depth=1
	v_cvt_f32_i32_e32 v1, v1
	s_waitcnt vmcnt(0)
	v_cvt_f32_f16_e32 v2, v2
	v_mov_b32_e32 v33, v35
	v_add_f32_e32 v0, v0, v1
	v_add_f32_e32 v0, v0, v2
	v_cvt_f16_f32_e32 v2, v0
	s_waitcnt lgkmcnt(0)
	v_lshl_add_u64 v[0:1], v[32:33], 1, s[18:19]
	global_store_short v[0:1], v2, off
	s_branch .LBB24_7
.LBB24_40:
	s_endpgm
	.section	.rodata,"a",@progbits
	.p2align	6, 0x0
	.amdhsa_kernel _Z12wvSplitK_hf_I6__halfLi64ELi1ELi16ELi8ELi4ELi1EEviiiiiiPKT_S3_S3_PS1_ii
		.amdhsa_group_segment_fixed_size 65536
		.amdhsa_private_segment_fixed_size 0
		.amdhsa_kernarg_size 64
		.amdhsa_user_sgpr_count 2
		.amdhsa_user_sgpr_dispatch_ptr 0
		.amdhsa_user_sgpr_queue_ptr 0
		.amdhsa_user_sgpr_kernarg_segment_ptr 1
		.amdhsa_user_sgpr_dispatch_id 0
		.amdhsa_user_sgpr_kernarg_preload_length 0
		.amdhsa_user_sgpr_kernarg_preload_offset 0
		.amdhsa_user_sgpr_private_segment_size 0
		.amdhsa_uses_dynamic_stack 0
		.amdhsa_enable_private_segment 0
		.amdhsa_system_sgpr_workgroup_id_x 1
		.amdhsa_system_sgpr_workgroup_id_y 0
		.amdhsa_system_sgpr_workgroup_id_z 0
		.amdhsa_system_sgpr_workgroup_info 0
		.amdhsa_system_vgpr_workitem_id 1
		.amdhsa_next_free_vgpr 51
		.amdhsa_next_free_sgpr 41
		.amdhsa_accum_offset 52
		.amdhsa_reserve_vcc 1
		.amdhsa_float_round_mode_32 0
		.amdhsa_float_round_mode_16_64 0
		.amdhsa_float_denorm_mode_32 3
		.amdhsa_float_denorm_mode_16_64 3
		.amdhsa_dx10_clamp 1
		.amdhsa_ieee_mode 1
		.amdhsa_fp16_overflow 0
		.amdhsa_tg_split 0
		.amdhsa_exception_fp_ieee_invalid_op 0
		.amdhsa_exception_fp_denorm_src 0
		.amdhsa_exception_fp_ieee_div_zero 0
		.amdhsa_exception_fp_ieee_overflow 0
		.amdhsa_exception_fp_ieee_underflow 0
		.amdhsa_exception_fp_ieee_inexact 0
		.amdhsa_exception_int_div_zero 0
	.end_amdhsa_kernel
	.section	.text._Z12wvSplitK_hf_I6__halfLi64ELi1ELi16ELi8ELi4ELi1EEviiiiiiPKT_S3_S3_PS1_ii,"axG",@progbits,_Z12wvSplitK_hf_I6__halfLi64ELi1ELi16ELi8ELi4ELi1EEviiiiiiPKT_S3_S3_PS1_ii,comdat
.Lfunc_end24:
	.size	_Z12wvSplitK_hf_I6__halfLi64ELi1ELi16ELi8ELi4ELi1EEviiiiiiPKT_S3_S3_PS1_ii, .Lfunc_end24-_Z12wvSplitK_hf_I6__halfLi64ELi1ELi16ELi8ELi4ELi1EEviiiiiiPKT_S3_S3_PS1_ii
                                        ; -- End function
	.section	.AMDGPU.csdata,"",@progbits
; Kernel info:
; codeLenInByte = 1612
; NumSgprs: 47
; NumVgprs: 51
; NumAgprs: 0
; TotalNumVgprs: 51
; ScratchSize: 0
; MemoryBound: 1
; FloatMode: 240
; IeeeMode: 1
; LDSByteSize: 65536 bytes/workgroup (compile time only)
; SGPRBlocks: 5
; VGPRBlocks: 6
; NumSGPRsForWavesPerEU: 47
; NumVGPRsForWavesPerEU: 51
; AccumOffset: 52
; Occupancy: 4
; WaveLimiterHint : 0
; COMPUTE_PGM_RSRC2:SCRATCH_EN: 0
; COMPUTE_PGM_RSRC2:USER_SGPR: 2
; COMPUTE_PGM_RSRC2:TRAP_HANDLER: 0
; COMPUTE_PGM_RSRC2:TGID_X_EN: 1
; COMPUTE_PGM_RSRC2:TGID_Y_EN: 0
; COMPUTE_PGM_RSRC2:TGID_Z_EN: 0
; COMPUTE_PGM_RSRC2:TIDIG_COMP_CNT: 1
; COMPUTE_PGM_RSRC3_GFX90A:ACCUM_OFFSET: 12
; COMPUTE_PGM_RSRC3_GFX90A:TG_SPLIT: 0
	.section	.text._Z16wvSplitK_hf_big_I6__halfLi64ELi1ELi16ELi8ELi4ELi1EEviiiiiiPKT_S3_S3_PS1_ii,"axG",@progbits,_Z16wvSplitK_hf_big_I6__halfLi64ELi1ELi16ELi8ELi4ELi1EEviiiiiiPKT_S3_S3_PS1_ii,comdat
	.protected	_Z16wvSplitK_hf_big_I6__halfLi64ELi1ELi16ELi8ELi4ELi1EEviiiiiiPKT_S3_S3_PS1_ii ; -- Begin function _Z16wvSplitK_hf_big_I6__halfLi64ELi1ELi16ELi8ELi4ELi1EEviiiiiiPKT_S3_S3_PS1_ii
	.globl	_Z16wvSplitK_hf_big_I6__halfLi64ELi1ELi16ELi8ELi4ELi1EEviiiiiiPKT_S3_S3_PS1_ii
	.p2align	8
	.type	_Z16wvSplitK_hf_big_I6__halfLi64ELi1ELi16ELi8ELi4ELi1EEviiiiiiPKT_S3_S3_PS1_ii,@function
_Z16wvSplitK_hf_big_I6__halfLi64ELi1ELi16ELi8ELi4ELi1EEviiiiiiPKT_S3_S3_PS1_ii: ; @_Z16wvSplitK_hf_big_I6__halfLi64ELi1ELi16ELi8ELi4ELi1EEviiiiiiPKT_S3_S3_PS1_ii
; %bb.0:
	s_load_dwordx2 s[4:5], s[0:1], 0x38
	v_bfe_u32 v1, v0, 10, 10
	s_waitcnt lgkmcnt(0)
	v_cmp_gt_u32_e32 vcc, s4, v1
	s_and_saveexec_b64 s[6:7], vcc
	s_cbranch_execz .LBB25_38
; %bb.1:
	s_load_dwordx4 s[20:23], s[0:1], 0x0
	s_mul_i32 s2, s2, s4
	v_add_u32_e32 v32, s2, v1
	v_add_u32_e32 v2, 1, v32
	v_mov_b32_e32 v38, 1
	s_waitcnt lgkmcnt(0)
	v_cmp_gt_u32_e32 vcc, s23, v32
	v_cmp_le_u32_e64 s[2:3], s23, v2
	s_and_b64 s[6:7], vcc, s[2:3]
	s_and_saveexec_b64 s[2:3], s[6:7]
; %bb.2:
	v_subrev_u32_e32 v2, s23, v32
	v_cmp_eq_u32_e32 vcc, -1, v2
	s_add_i32 s6, s23, -1
	v_mov_b32_e32 v32, s6
	v_cndmask_b32_e64 v38, 0, 1, vcc
; %bb.3:
	s_or_b64 exec, exec, s[2:3]
	s_abs_i32 s2, s4
	v_cvt_f32_u32_e32 v2, s2
	s_sub_i32 s7, 0, s2
	s_abs_i32 s6, s23
	s_ashr_i32 s3, s23, 31
	v_rcp_iflag_f32_e32 v2, v2
	s_nop 0
	v_mul_f32_e32 v2, 0x4f7ffffe, v2
	v_cvt_u32_f32_e32 v2, v2
	s_nop 0
	v_readfirstlane_b32 s8, v2
	s_mul_i32 s7, s7, s8
	s_mul_hi_u32 s7, s8, s7
	s_add_i32 s8, s8, s7
	s_mul_hi_u32 s7, s6, s8
	s_mul_i32 s7, s7, s2
	s_sub_i32 s6, s6, s7
	s_sub_i32 s7, s6, s2
	s_cmp_ge_u32 s6, s2
	s_cselect_b32 s6, s7, s6
	s_sub_i32 s7, s6, s2
	s_cmp_ge_u32 s6, s2
	s_cselect_b32 s2, s7, s6
	s_xor_b32 s2, s2, s3
	s_sub_i32 s2, s2, s3
	s_add_i32 s3, s4, s23
	s_sub_i32 s3, s3, s2
	s_cmp_eq_u32 s2, 0
	s_cselect_b32 s33, s23, s3
	v_cmp_gt_u32_e32 vcc, s33, v32
	s_and_b64 exec, exec, vcc
	s_cbranch_execz .LBB25_38
; %bb.4:
	s_load_dwordx8 s[12:19], s[0:1], 0x18
	s_load_dword s36, s[0:1], 0x10
	s_min_u32 s37, s22, 0x8000
	s_cmp_lg_u32 s20, 0
	s_cselect_b64 s[2:3], -1, 0
	s_cmp_lg_u32 s22, 0
	s_waitcnt lgkmcnt(0)
	v_cvt_f32_u32_e32 v2, s36
	s_cselect_b64 s[6:7], -1, 0
	s_lshl_b32 s38, s4, 9
	s_add_i32 s39, s20, -8
	v_rcp_iflag_f32_e32 v2, v2
	s_add_i32 s40, s23, -1
	v_and_b32_e32 v0, 0x3ff, v0
	s_cmp_lg_u64 s[16:17], 0
	v_mul_f32_e32 v2, 0x4f7ffffe, v2
	v_cvt_u32_f32_e32 v2, v2
	v_lshlrev_b32_e32 v39, 3, v0
	s_mul_i32 s41, s5, s4
	v_cmp_eq_u32_e64 s[0:1], 63, v0
	s_cselect_b64 s[24:25], -1, 0
	s_sub_i32 s5, 0, s36
	v_lshlrev_b32_e32 v0, 4, v0
	v_mul_lo_u32 v3, s5, v2
	v_lshl_add_u32 v41, v1, 10, v0
	v_cndmask_b32_e64 v0, 0, 1, s[2:3]
	s_sub_i32 s42, s41, s23
	v_mul_hi_u32 v3, v2, v3
	v_cmp_ne_u32_e64 s[2:3], 1, v0
	v_cndmask_b32_e64 v0, 0, 1, s[6:7]
	s_mov_b64 s[10:11], 0
	s_add_i32 s42, s42, 2
	v_add_u32_e32 v40, v2, v3
	v_mov_b32_e32 v35, 0
	s_lshl_b32 s43, s4, 10
	v_lshl_add_u32 v42, v1, 9, v39
	v_cmp_ne_u32_e64 s[4:5], 1, v0
	s_branch .LBB25_7
.LBB25_5:                               ;   in Loop: Header=BB25_7 Depth=1
	s_or_b64 exec, exec, s[6:7]
.LBB25_6:                               ;   in Loop: Header=BB25_7 Depth=1
	s_or_b64 exec, exec, s[8:9]
	v_cmp_le_u32_e32 vcc, s33, v0
	s_or_b64 s[10:11], vcc, s[10:11]
	v_mov_b32_e32 v32, v0
	s_andn2_b64 exec, exec, s[10:11]
	s_cbranch_execz .LBB25_38
.LBB25_7:                               ; =>This Loop Header: Depth=1
                                        ;     Child Loop BB25_14 Depth 2
                                        ;       Child Loop BB25_19 Depth 3
	s_and_b64 vcc, exec, s[2:3]
	v_mov_b32_e32 v33, v35
	s_cbranch_vccnz .LBB25_28
; %bb.8:                                ;   in Loop: Header=BB25_7 Depth=1
	v_min_u32_e32 v0, s40, v32
	v_mul_lo_u32 v34, v0, s21
	v_cmp_gt_u32_e64 s[6:7], s23, v32
	v_lshl_add_u64 v[36:37], v[34:35], 1, s[12:13]
	s_mov_b32 s44, 0
	v_mov_b32_e32 v33, 0
	s_mov_b32 s45, 0
	s_branch .LBB25_14
.LBB25_9:                               ;   in Loop: Header=BB25_14 Depth=2
	s_or_b64 exec, exec, s[34:35]
.LBB25_10:                              ;   in Loop: Header=BB25_14 Depth=2
	s_or_b64 exec, exec, s[30:31]
.LBB25_11:                              ;   in Loop: Header=BB25_14 Depth=2
	s_or_b64 exec, exec, s[28:29]
.LBB25_12:                              ;   in Loop: Header=BB25_14 Depth=2
	s_or_b64 exec, exec, s[26:27]
	s_waitcnt vmcnt(3) lgkmcnt(0)
	;;#ASMSTART
	v_dot2c_f32_f16 v33, v28, v16
	;;#ASMEND
	s_nop 0
	;;#ASMSTART
	v_dot2c_f32_f16 v33, v29, v17
	;;#ASMEND
	s_nop 0
	;;#ASMSTART
	v_dot2c_f32_f16 v33, v30, v18
	;;#ASMEND
	s_nop 0
	;;#ASMSTART
	v_dot2c_f32_f16 v33, v31, v19
	;;#ASMEND
	s_waitcnt vmcnt(2)
	;;#ASMSTART
	v_dot2c_f32_f16 v33, v24, v8
	;;#ASMEND
	s_nop 0
	;;#ASMSTART
	v_dot2c_f32_f16 v33, v25, v9
	;;#ASMEND
	s_nop 0
	;;#ASMSTART
	v_dot2c_f32_f16 v33, v26, v10
	;;#ASMEND
	s_nop 0
	;;#ASMSTART
	v_dot2c_f32_f16 v33, v27, v11
	;;#ASMEND
	s_waitcnt vmcnt(1)
	;; [unrolled: 16-line block ×3, first 2 shown]
	;;#ASMSTART
	v_dot2c_f32_f16 v33, v12, v0
	;;#ASMEND
	s_nop 0
	;;#ASMSTART
	v_dot2c_f32_f16 v33, v13, v1
	;;#ASMEND
	s_nop 0
	;;#ASMSTART
	v_dot2c_f32_f16 v33, v14, v2
	;;#ASMEND
	s_nop 0
	;;#ASMSTART
	v_dot2c_f32_f16 v33, v15, v3
	;;#ASMEND
.LBB25_13:                              ;   in Loop: Header=BB25_14 Depth=2
	s_or_b64 exec, exec, s[8:9]
	s_addk_i32 s45, 0x800
	s_cmp_ge_u32 s45, s20
	s_cbranch_scc1 .LBB25_28
.LBB25_14:                              ;   Parent Loop BB25_7 Depth=1
                                        ; =>  This Loop Header: Depth=2
                                        ;       Child Loop BB25_19 Depth 3
	s_cmp_eq_u32 s45, 0
	s_cselect_b64 s[8:9], -1, 0
	s_add_i32 s26, s44, s37
	s_cmp_eq_u32 s45, s26
	s_cselect_b64 s[28:29], -1, 0
	s_or_b64 s[28:29], s[8:9], s[28:29]
	s_andn2_b64 vcc, exec, s[28:29]
	s_cbranch_vccz .LBB25_16
; %bb.15:                               ;   in Loop: Header=BB25_14 Depth=2
	s_and_saveexec_b64 s[8:9], s[6:7]
	s_cbranch_execz .LBB25_13
	s_branch .LBB25_23
.LBB25_16:                              ;   in Loop: Header=BB25_14 Depth=2
	s_and_b64 s[8:9], s[8:9], exec
	s_cselect_b32 s44, s44, s26
	s_and_b64 vcc, exec, s[4:5]
	s_barrier
	s_cbranch_vccnz .LBB25_22
; %bb.17:                               ;   in Loop: Header=BB25_14 Depth=2
	v_add_u32_e32 v0, s44, v42
	s_mov_b32 s30, 0
	s_mov_b64 s[26:27], 0
	v_mov_b32_e32 v1, v41
                                        ; implicit-def: $sgpr28_sgpr29
	s_branch .LBB25_19
.LBB25_18:                              ;   in Loop: Header=BB25_19 Depth=3
	s_or_b64 exec, exec, s[8:9]
	s_and_b64 s[8:9], exec, s[28:29]
	s_or_b64 s[26:27], s[8:9], s[26:27]
	s_andn2_b64 exec, exec, s[26:27]
	s_cbranch_execz .LBB25_21
.LBB25_19:                              ;   Parent Loop BB25_7 Depth=1
                                        ;     Parent Loop BB25_14 Depth=2
                                        ; =>    This Inner Loop Header: Depth=3
	s_waitcnt vmcnt(0)
	v_add_u32_e32 v2, s30, v42
	v_add_u32_e32 v34, s30, v0
	v_cmp_gt_u32_e32 vcc, s22, v34
	v_cmp_gt_u32_e64 s[8:9], s37, v2
	s_and_b64 s[34:35], s[8:9], vcc
	s_or_b64 s[28:29], s[28:29], exec
	s_and_saveexec_b64 s[8:9], s[34:35]
	s_cbranch_execz .LBB25_18
; %bb.20:                               ;   in Loop: Header=BB25_19 Depth=3
	v_lshl_add_u64 v[2:3], v[34:35], 1, s[14:15]
	global_load_dwordx4 v[2:5], v[2:3], off
	s_add_i32 s30, s30, s38
	s_cmp_ge_u32 s30, s37
	s_cselect_b64 s[34:35], -1, 0
	s_andn2_b64 s[28:29], s[28:29], exec
	s_and_b64 s[34:35], s[34:35], exec
	s_or_b64 s[28:29], s[28:29], s[34:35]
	s_waitcnt vmcnt(0)
	ds_write_b128 v1, v[2:5]
	v_add_u32_e32 v1, s43, v1
	s_branch .LBB25_18
.LBB25_21:                              ;   in Loop: Header=BB25_14 Depth=2
	s_or_b64 exec, exec, s[26:27]
.LBB25_22:                              ;   in Loop: Header=BB25_14 Depth=2
	s_waitcnt lgkmcnt(0)
	s_barrier
	s_and_saveexec_b64 s[8:9], s[6:7]
	s_cbranch_execz .LBB25_13
.LBB25_23:                              ;   in Loop: Header=BB25_14 Depth=2
	v_add_u32_e32 v45, s45, v39
	v_min_u32_e32 v34, s39, v45
	v_add_u32_e32 v46, 0x200, v45
	v_lshl_add_u64 v[0:1], v[34:35], 1, v[36:37]
	v_min_u32_e32 v34, s39, v46
	v_add_u32_e32 v44, 0x400, v45
	s_waitcnt vmcnt(0)
	v_lshl_add_u64 v[2:3], v[34:35], 1, v[36:37]
	v_min_u32_e32 v34, s39, v44
	v_add_u32_e32 v43, 0x600, v45
	v_lshl_add_u64 v[12:13], v[34:35], 1, v[36:37]
	v_min_u32_e32 v34, s39, v43
	global_load_dwordx4 v[16:19], v[0:1], off nt
	global_load_dwordx4 v[8:11], v[2:3], off nt
	v_lshl_add_u64 v[14:15], v[34:35], 1, v[36:37]
	global_load_dwordx4 v[4:7], v[12:13], off nt
	global_load_dwordx4 v[0:3], v[14:15], off nt
	v_cmp_gt_u32_e32 vcc, s20, v45
	v_mov_b32_e32 v30, 0
	v_mov_b32_e32 v31, 0
	;; [unrolled: 1-line block ×16, first 2 shown]
	s_and_saveexec_b64 s[26:27], vcc
	s_cbranch_execz .LBB25_12
; %bb.24:                               ;   in Loop: Header=BB25_14 Depth=2
	v_subrev_u32_e32 v12, s44, v45
	v_lshlrev_b32_e32 v34, 1, v12
	ds_read_b128 v[28:31], v34
	v_cmp_gt_u32_e32 vcc, s20, v46
	v_mov_b32_e32 v15, 0
	v_mov_b32_e32 v14, 0
	;; [unrolled: 1-line block ×12, first 2 shown]
	s_and_saveexec_b64 s[28:29], vcc
	s_cbranch_execz .LBB25_11
; %bb.25:                               ;   in Loop: Header=BB25_14 Depth=2
	ds_read_b128 v[24:27], v34 offset:1024
	v_cmp_gt_u32_e32 vcc, s20, v44
	v_mov_b32_e32 v15, 0
	v_mov_b32_e32 v14, 0
	;; [unrolled: 1-line block ×8, first 2 shown]
	s_and_saveexec_b64 s[30:31], vcc
	s_cbranch_execz .LBB25_10
; %bb.26:                               ;   in Loop: Header=BB25_14 Depth=2
	ds_read_b128 v[20:23], v34 offset:2048
	v_cmp_gt_u32_e32 vcc, s20, v43
	v_mov_b32_e32 v15, 0
	v_mov_b32_e32 v14, 0
	;; [unrolled: 1-line block ×4, first 2 shown]
	s_and_saveexec_b64 s[34:35], vcc
	s_cbranch_execz .LBB25_9
; %bb.27:                               ;   in Loop: Header=BB25_14 Depth=2
	ds_read_b128 v[12:15], v34 offset:3072
	s_branch .LBB25_9
.LBB25_28:                              ;   in Loop: Header=BB25_7 Depth=1
	v_cmp_le_u32_e32 vcc, s23, v32
                                        ; implicit-def: $vgpr0
	s_and_saveexec_b64 s[6:7], vcc
	s_xor_b64 s[6:7], exec, s[6:7]
; %bb.29:                               ;   in Loop: Header=BB25_7 Depth=1
	v_add_u32_e32 v0, s41, v32
                                        ; implicit-def: $vgpr32
                                        ; implicit-def: $vgpr33
; %bb.30:                               ;   in Loop: Header=BB25_7 Depth=1
	s_andn2_saveexec_b64 s[8:9], s[6:7]
	s_cbranch_execz .LBB25_6
; %bb.31:                               ;   in Loop: Header=BB25_7 Depth=1
	v_cvt_i32_f32_e32 v0, v33
	s_nop 1
	v_cvt_f32_i32_dpp v0, v0 row_shr:8 row_mask:0xf bank_mask:0xf bound_ctrl:1
	v_add_f32_e32 v0, v33, v0
	v_cvt_i32_f32_e32 v1, v0
	s_nop 1
	v_cvt_f32_i32_dpp v1, v1 row_shr:4 row_mask:0xf bank_mask:0xf bound_ctrl:1
	v_add_f32_e32 v0, v0, v1
	;; [unrolled: 4-line block ×4, first 2 shown]
	v_cvt_i32_f32_e32 v1, v0
	s_nop 1
	v_cvt_f32_i32_dpp v1, v1 row_bcast:15 row_mask:0xf bank_mask:0xf bound_ctrl:1
	v_add_f32_e32 v0, v0, v1
	v_cvt_i32_f32_e32 v1, v0
	s_nop 1
	v_mov_b32_dpp v1, v1 row_bcast:31 row_mask:0xf bank_mask:0xf bound_ctrl:1
	s_and_saveexec_b64 s[6:7], s[0:1]
	s_cbranch_execz .LBB25_35
; %bb.32:                               ;   in Loop: Header=BB25_7 Depth=1
	s_andn2_b64 vcc, exec, s[24:25]
	s_cbranch_vccnz .LBB25_37
; %bb.33:                               ;   in Loop: Header=BB25_7 Depth=1
	s_waitcnt vmcnt(0)
	v_mul_hi_u32 v2, v32, v40
	v_mul_lo_u32 v2, v2, s36
	v_sub_u32_e32 v2, v32, v2
	v_subrev_u32_e32 v3, s36, v2
	v_cmp_le_u32_e32 vcc, s36, v2
	s_nop 1
	v_cndmask_b32_e32 v2, v2, v3, vcc
	v_subrev_u32_e32 v3, s36, v2
	v_cmp_le_u32_e32 vcc, s36, v2
	s_nop 1
	v_cndmask_b32_e32 v34, v2, v3, vcc
	v_lshl_add_u64 v[2:3], v[34:35], 1, s[16:17]
	global_load_ushort v2, v[2:3], off
	v_cmp_ne_u32_e32 vcc, 0, v38
	s_and_b64 exec, exec, vcc
	s_cbranch_execz .LBB25_35
.LBB25_34:                              ;   in Loop: Header=BB25_7 Depth=1
	v_cvt_f32_i32_e32 v1, v1
	s_waitcnt vmcnt(0)
	v_cvt_f32_f16_e32 v2, v2
	v_mov_b32_e32 v33, v35
	v_add_f32_e32 v0, v0, v1
	v_add_f32_e32 v0, v0, v2
	v_cvt_f16_f32_e32 v2, v0
	v_lshl_add_u64 v[0:1], v[32:33], 1, s[18:19]
	global_store_short v[0:1], v2, off
.LBB25_35:                              ;   in Loop: Header=BB25_7 Depth=1
	s_or_b64 exec, exec, s[6:7]
	v_add_u32_e32 v0, s41, v32
	v_add_u32_e32 v1, 1, v0
	v_cmp_gt_u32_e32 vcc, s23, v0
	v_cmp_le_u32_e64 s[6:7], s23, v1
	s_and_b64 s[26:27], vcc, s[6:7]
	s_and_saveexec_b64 s[6:7], s[26:27]
	s_cbranch_execz .LBB25_5
; %bb.36:                               ;   in Loop: Header=BB25_7 Depth=1
	v_add_u32_e32 v0, s42, v32
	v_cmp_eq_u32_e32 vcc, 1, v0
	v_mov_b32_e32 v0, s40
	s_nop 0
	v_cndmask_b32_e32 v38, 0, v38, vcc
	s_branch .LBB25_5
.LBB25_37:                              ;   in Loop: Header=BB25_7 Depth=1
	s_waitcnt vmcnt(0)
	v_mov_b32_e32 v2, 0
	v_cmp_ne_u32_e32 vcc, 0, v38
	s_and_b64 exec, exec, vcc
	s_cbranch_execnz .LBB25_34
	s_branch .LBB25_35
.LBB25_38:
	s_endpgm
	.section	.rodata,"a",@progbits
	.p2align	6, 0x0
	.amdhsa_kernel _Z16wvSplitK_hf_big_I6__halfLi64ELi1ELi16ELi8ELi4ELi1EEviiiiiiPKT_S3_S3_PS1_ii
		.amdhsa_group_segment_fixed_size 65536
		.amdhsa_private_segment_fixed_size 0
		.amdhsa_kernarg_size 64
		.amdhsa_user_sgpr_count 2
		.amdhsa_user_sgpr_dispatch_ptr 0
		.amdhsa_user_sgpr_queue_ptr 0
		.amdhsa_user_sgpr_kernarg_segment_ptr 1
		.amdhsa_user_sgpr_dispatch_id 0
		.amdhsa_user_sgpr_kernarg_preload_length 0
		.amdhsa_user_sgpr_kernarg_preload_offset 0
		.amdhsa_user_sgpr_private_segment_size 0
		.amdhsa_uses_dynamic_stack 0
		.amdhsa_enable_private_segment 0
		.amdhsa_system_sgpr_workgroup_id_x 1
		.amdhsa_system_sgpr_workgroup_id_y 0
		.amdhsa_system_sgpr_workgroup_id_z 0
		.amdhsa_system_sgpr_workgroup_info 0
		.amdhsa_system_vgpr_workitem_id 1
		.amdhsa_next_free_vgpr 47
		.amdhsa_next_free_sgpr 46
		.amdhsa_accum_offset 48
		.amdhsa_reserve_vcc 1
		.amdhsa_float_round_mode_32 0
		.amdhsa_float_round_mode_16_64 0
		.amdhsa_float_denorm_mode_32 3
		.amdhsa_float_denorm_mode_16_64 3
		.amdhsa_dx10_clamp 1
		.amdhsa_ieee_mode 1
		.amdhsa_fp16_overflow 0
		.amdhsa_tg_split 0
		.amdhsa_exception_fp_ieee_invalid_op 0
		.amdhsa_exception_fp_denorm_src 0
		.amdhsa_exception_fp_ieee_div_zero 0
		.amdhsa_exception_fp_ieee_overflow 0
		.amdhsa_exception_fp_ieee_underflow 0
		.amdhsa_exception_fp_ieee_inexact 0
		.amdhsa_exception_int_div_zero 0
	.end_amdhsa_kernel
	.section	.text._Z16wvSplitK_hf_big_I6__halfLi64ELi1ELi16ELi8ELi4ELi1EEviiiiiiPKT_S3_S3_PS1_ii,"axG",@progbits,_Z16wvSplitK_hf_big_I6__halfLi64ELi1ELi16ELi8ELi4ELi1EEviiiiiiPKT_S3_S3_PS1_ii,comdat
.Lfunc_end25:
	.size	_Z16wvSplitK_hf_big_I6__halfLi64ELi1ELi16ELi8ELi4ELi1EEviiiiiiPKT_S3_S3_PS1_ii, .Lfunc_end25-_Z16wvSplitK_hf_big_I6__halfLi64ELi1ELi16ELi8ELi4ELi1EEviiiiiiPKT_S3_S3_PS1_ii
                                        ; -- End function
	.section	.AMDGPU.csdata,"",@progbits
; Kernel info:
; codeLenInByte = 1716
; NumSgprs: 52
; NumVgprs: 47
; NumAgprs: 0
; TotalNumVgprs: 47
; ScratchSize: 0
; MemoryBound: 0
; FloatMode: 240
; IeeeMode: 1
; LDSByteSize: 65536 bytes/workgroup (compile time only)
; SGPRBlocks: 6
; VGPRBlocks: 5
; NumSGPRsForWavesPerEU: 52
; NumVGPRsForWavesPerEU: 47
; AccumOffset: 48
; Occupancy: 4
; WaveLimiterHint : 0
; COMPUTE_PGM_RSRC2:SCRATCH_EN: 0
; COMPUTE_PGM_RSRC2:USER_SGPR: 2
; COMPUTE_PGM_RSRC2:TRAP_HANDLER: 0
; COMPUTE_PGM_RSRC2:TGID_X_EN: 1
; COMPUTE_PGM_RSRC2:TGID_Y_EN: 0
; COMPUTE_PGM_RSRC2:TGID_Z_EN: 0
; COMPUTE_PGM_RSRC2:TIDIG_COMP_CNT: 1
; COMPUTE_PGM_RSRC3_GFX90A:ACCUM_OFFSET: 11
; COMPUTE_PGM_RSRC3_GFX90A:TG_SPLIT: 0
	.section	.text._Z16wvSplitK_hf_sml_I6__halfLi64ELi2ELi16ELi8ELi2ELi1EEviiiiiiPKT_S3_S3_PS1_ii,"axG",@progbits,_Z16wvSplitK_hf_sml_I6__halfLi64ELi2ELi16ELi8ELi2ELi1EEviiiiiiPKT_S3_S3_PS1_ii,comdat
	.protected	_Z16wvSplitK_hf_sml_I6__halfLi64ELi2ELi16ELi8ELi2ELi1EEviiiiiiPKT_S3_S3_PS1_ii ; -- Begin function _Z16wvSplitK_hf_sml_I6__halfLi64ELi2ELi16ELi8ELi2ELi1EEviiiiiiPKT_S3_S3_PS1_ii
	.globl	_Z16wvSplitK_hf_sml_I6__halfLi64ELi2ELi16ELi8ELi2ELi1EEviiiiiiPKT_S3_S3_PS1_ii
	.p2align	8
	.type	_Z16wvSplitK_hf_sml_I6__halfLi64ELi2ELi16ELi8ELi2ELi1EEviiiiiiPKT_S3_S3_PS1_ii,@function
_Z16wvSplitK_hf_sml_I6__halfLi64ELi2ELi16ELi8ELi2ELi1EEviiiiiiPKT_S3_S3_PS1_ii: ; @_Z16wvSplitK_hf_sml_I6__halfLi64ELi2ELi16ELi8ELi2ELi1EEviiiiiiPKT_S3_S3_PS1_ii
; %bb.0:
	s_load_dwordx4 s[4:7], s[0:1], 0x0
	s_load_dword s22, s[0:1], 0x10
	s_load_dwordx2 s[8:9], s[0:1], 0x28
	v_and_b32_e32 v2, 0x3ff, v0
	v_bfe_u32 v3, v0, 10, 10
	v_lshlrev_b32_e32 v34, 3, v2
	v_lshl_add_u32 v4, v3, 9, v34
	s_waitcnt lgkmcnt(0)
	s_min_u32 s3, s6, 0x8000
	v_cmp_gt_u32_e32 vcc, s3, v4
	s_and_saveexec_b64 s[10:11], vcc
	s_cbranch_execz .LBB26_3
; %bb.1:
	s_load_dwordx2 s[12:13], s[0:1], 0x20
	v_mov_b32_e32 v7, 0
	v_lshlrev_b32_e32 v6, 10, v3
	v_lshlrev_b32_e32 v8, 4, v2
	v_mov_b32_e32 v9, v7
	v_lshl_add_u64 v[0:1], v[6:7], 0, v[8:9]
	s_waitcnt lgkmcnt(0)
	v_lshl_add_u64 v[0:1], s[12:13], 0, v[0:1]
	v_add_u32_e32 v5, v6, v8
	s_mov_b64 s[12:13], 0
	s_mov_b64 s[14:15], 0x4000
.LBB26_2:                               ; =>This Inner Loop Header: Depth=1
	global_load_dwordx4 v[6:9], v[0:1], off
	v_add_u32_e32 v4, 0x2000, v4
	v_cmp_le_u32_e32 vcc, s3, v4
	v_lshl_add_u64 v[0:1], v[0:1], 0, s[14:15]
	s_or_b64 s[12:13], vcc, s[12:13]
	s_waitcnt vmcnt(0)
	ds_write_b128 v5, v[6:9]
	v_add_u32_e32 v5, 0x4000, v5
	s_andn2_b64 exec, exec, s[12:13]
	s_cbranch_execnz .LBB26_2
.LBB26_3:
	s_or_b64 exec, exec, s[10:11]
	s_load_dwordx2 s[14:15], s[0:1], 0x38
	s_waitcnt lgkmcnt(0)
	s_barrier
	v_cmp_gt_u32_e32 vcc, s14, v3
	s_and_saveexec_b64 s[10:11], vcc
	s_cbranch_execz .LBB26_20
; %bb.4:
	s_mul_i32 s2, s2, s14
	v_add_lshl_u32 v24, s2, v3, 1
	v_cmp_gt_u32_e32 vcc, s7, v24
	s_and_b64 exec, exec, vcc
	s_cbranch_execz .LBB26_20
; %bb.5:
	v_cvt_f32_u32_e32 v0, s22
	s_cmp_lg_u32 s4, 0
	s_cselect_b64 s[2:3], -1, 0
	s_add_i32 s6, s4, -8
	v_rcp_iflag_f32_e32 v0, v0
	s_add_i32 s23, s7, -1
	s_mul_i32 s18, s14, s15
	s_cmp_lg_u64 s[8:9], 0
	v_mul_f32_e32 v0, 0x4f7ffffe, v0
	v_cvt_u32_f32_e32 v0, v0
	s_load_dwordx2 s[10:11], s[0:1], 0x18
	s_load_dwordx2 s[12:13], s[0:1], 0x30
	s_cselect_b64 s[16:17], -1, 0
	s_lshl_b32 s24, s18, 1
	s_sub_i32 s18, 0, s22
	v_mul_lo_u32 v1, s18, v0
	v_mul_hi_u32 v1, v0, v1
	v_add_u32_e32 v35, v0, v1
	v_cndmask_b32_e64 v0, 0, 1, s[2:3]
	v_cmp_eq_u32_e64 s[0:1], 63, v2
	s_mov_b64 s[14:15], 0
	v_lshlrev_b32_e32 v36, 4, v2
	v_cmp_ne_u32_e64 s[2:3], 1, v0
	v_mov_b32_e32 v27, 0
	s_branch .LBB26_8
.LBB26_6:                               ;   in Loop: Header=BB26_8 Depth=1
	v_cvt_f32_i32_e32 v3, v3
	v_cvt_f32_i32_e32 v2, v2
	s_waitcnt vmcnt(1)
	v_cvt_f32_f16_e32 v5, v5
	s_waitcnt vmcnt(0)
	v_cvt_f32_f16_e32 v4, v4
	v_add_f32_e32 v0, v0, v3
	v_add_f32_e32 v1, v1, v2
	;; [unrolled: 1-line block ×3, first 2 shown]
	v_cvt_f16_f32_e32 v2, v0
	v_add_f32_e32 v0, v1, v4
	v_cvt_f16_f32_e32 v3, v0
	s_waitcnt lgkmcnt(0)
	v_lshl_add_u64 v[0:1], v[24:25], 1, s[12:13]
	global_store_short v[0:1], v2, off
	v_lshl_add_u64 v[0:1], v[28:29], 1, s[12:13]
	global_store_short v[0:1], v3, off
.LBB26_7:                               ;   in Loop: Header=BB26_8 Depth=1
	s_or_b64 exec, exec, s[18:19]
	v_add_u32_e32 v24, s24, v24
	v_cmp_le_u32_e32 vcc, s7, v24
	s_or_b64 s[14:15], vcc, s[14:15]
	s_andn2_b64 exec, exec, s[14:15]
	s_cbranch_execz .LBB26_20
.LBB26_8:                               ; =>This Loop Header: Depth=1
                                        ;     Child Loop BB26_12 Depth 2
	s_mov_b32 s25, 0
	s_and_b64 vcc, exec, s[2:3]
	v_or_b32_e32 v28, 1, v24
	v_mov_b32_e32 v29, v27
	v_mov_b32_e32 v25, v27
	s_cbranch_vccnz .LBB26_15
; %bb.9:                                ;   in Loop: Header=BB26_8 Depth=1
	v_min_u32_e32 v0, s23, v24
	v_mul_lo_u32 v26, v0, s5
	v_min_u32_e32 v0, s23, v28
	v_mul_lo_u32 v0, v0, s5
	v_mov_b32_e32 v1, v27
	v_mov_b32_e32 v25, 0
	v_lshlrev_b64 v[30:31], 1, v[26:27]
	v_lshlrev_b64 v[32:33], 1, v[0:1]
	v_mov_b32_e32 v37, v36
	v_mov_b32_e32 v29, 0
	s_branch .LBB26_12
.LBB26_10:                              ;   in Loop: Header=BB26_12 Depth=2
	s_or_b64 exec, exec, s[20:21]
.LBB26_11:                              ;   in Loop: Header=BB26_12 Depth=2
	s_or_b64 exec, exec, s[18:19]
	s_waitcnt vmcnt(3) lgkmcnt(0)
	;;#ASMSTART
	v_dot2c_f32_f16 v25, v20, v16
	;;#ASMEND
	s_waitcnt vmcnt(2)
	;;#ASMSTART
	v_dot2c_f32_f16 v29, v20, v12
	;;#ASMEND
	s_addk_i32 s25, 0x400
	;;#ASMSTART
	v_dot2c_f32_f16 v25, v21, v17
	;;#ASMEND
	;;#ASMSTART
	v_dot2c_f32_f16 v29, v21, v13
	;;#ASMEND
	s_cmp_ge_u32 s25, s4
	;;#ASMSTART
	v_dot2c_f32_f16 v25, v22, v18
	;;#ASMEND
	;;#ASMSTART
	v_dot2c_f32_f16 v29, v22, v14
	;;#ASMEND
	v_add_u32_e32 v37, 0x800, v37
	;;#ASMSTART
	v_dot2c_f32_f16 v25, v23, v19
	;;#ASMEND
	;;#ASMSTART
	v_dot2c_f32_f16 v29, v23, v15
	;;#ASMEND
	s_waitcnt vmcnt(1)
	;;#ASMSTART
	v_dot2c_f32_f16 v25, v8, v4
	;;#ASMEND
	s_waitcnt vmcnt(0)
	;;#ASMSTART
	v_dot2c_f32_f16 v29, v8, v0
	;;#ASMEND
	;;#ASMSTART
	v_dot2c_f32_f16 v25, v9, v5
	;;#ASMEND
	s_nop 0
	;;#ASMSTART
	v_dot2c_f32_f16 v29, v9, v1
	;;#ASMEND
	;;#ASMSTART
	v_dot2c_f32_f16 v25, v10, v6
	;;#ASMEND
	s_nop 0
	;; [unrolled: 7-line block ×3, first 2 shown]
	;;#ASMSTART
	v_dot2c_f32_f16 v29, v11, v3
	;;#ASMEND
	s_cbranch_scc1 .LBB26_15
.LBB26_12:                              ;   Parent Loop BB26_8 Depth=1
                                        ; =>  This Inner Loop Header: Depth=2
	v_add_u32_e32 v20, s25, v34
	v_min_u32_e32 v26, s6, v20
	s_waitcnt lgkmcnt(0)
	v_lshl_add_u64 v[0:1], v[26:27], 1, s[10:11]
	v_add_u32_e32 v38, 0x200, v20
	v_lshl_add_u64 v[2:3], v[0:1], 0, v[30:31]
	v_lshl_add_u64 v[0:1], v[0:1], 0, v[32:33]
	v_min_u32_e32 v26, s6, v38
	global_load_dwordx4 v[16:19], v[2:3], off nt
	global_load_dwordx4 v[12:15], v[0:1], off nt
	v_lshl_add_u64 v[0:1], v[26:27], 1, s[10:11]
	v_lshl_add_u64 v[8:9], v[0:1], 0, v[30:31]
	;; [unrolled: 1-line block ×3, first 2 shown]
	global_load_dwordx4 v[4:7], v[8:9], off nt
	global_load_dwordx4 v[0:3], v[10:11], off nt
	v_cmp_gt_u32_e32 vcc, s4, v20
	v_mov_b32_e32 v22, 0
	v_mov_b32_e32 v23, 0
	;; [unrolled: 1-line block ×8, first 2 shown]
	s_and_saveexec_b64 s[18:19], vcc
	s_cbranch_execz .LBB26_11
; %bb.13:                               ;   in Loop: Header=BB26_12 Depth=2
	ds_read_b128 v[20:23], v37
	v_cmp_gt_u32_e32 vcc, s4, v38
	v_mov_b32_e32 v11, 0
	v_mov_b32_e32 v10, 0
	;; [unrolled: 1-line block ×4, first 2 shown]
	s_and_saveexec_b64 s[20:21], vcc
	s_cbranch_execz .LBB26_10
; %bb.14:                               ;   in Loop: Header=BB26_12 Depth=2
	ds_read_b128 v[8:11], v37 offset:1024
	s_branch .LBB26_10
.LBB26_15:                              ;   in Loop: Header=BB26_8 Depth=1
	; sched_barrier mask(0x00000000)
	v_cvt_i32_f32_e32 v0, v25
	v_cvt_i32_f32_e32 v1, v29
	s_nop 0
	v_cvt_f32_i32_dpp v0, v0 row_shr:8 row_mask:0xf bank_mask:0xf bound_ctrl:1
	v_cvt_f32_i32_dpp v1, v1 row_shr:8 row_mask:0xf bank_mask:0xf bound_ctrl:1
	v_add_f32_e32 v0, v25, v0
	v_add_f32_e32 v1, v29, v1
	v_cvt_i32_f32_e32 v2, v0
	v_cvt_i32_f32_e32 v3, v1
	s_nop 0
	v_cvt_f32_i32_dpp v2, v2 row_shr:4 row_mask:0xf bank_mask:0xf bound_ctrl:1
	v_cvt_f32_i32_dpp v3, v3 row_shr:4 row_mask:0xf bank_mask:0xf bound_ctrl:1
	v_add_f32_e32 v0, v0, v2
	v_add_f32_e32 v1, v1, v3
	;; [unrolled: 7-line block ×4, first 2 shown]
	v_cvt_i32_f32_e32 v2, v0
	v_cvt_i32_f32_e32 v3, v1
	s_nop 0
	v_cvt_f32_i32_dpp v2, v2 row_bcast:15 row_mask:0xf bank_mask:0xf bound_ctrl:1
	v_cvt_f32_i32_dpp v3, v3 row_bcast:15 row_mask:0xf bank_mask:0xf bound_ctrl:1
	v_add_f32_e32 v0, v0, v2
	v_add_f32_e32 v1, v1, v3
	v_cvt_i32_f32_e32 v2, v0
	v_cvt_i32_f32_e32 v4, v1
	s_nop 0
	v_mov_b32_dpp v3, v2 row_bcast:31 row_mask:0xf bank_mask:0xf bound_ctrl:1
	v_mov_b32_dpp v2, v4 row_bcast:31 row_mask:0xf bank_mask:0xf bound_ctrl:1
	s_and_saveexec_b64 s[18:19], s[0:1]
	s_cbranch_execz .LBB26_7
; %bb.16:                               ;   in Loop: Header=BB26_8 Depth=1
	s_and_b64 vcc, exec, s[16:17]
	s_cbranch_vccz .LBB26_18
; %bb.17:                               ;   in Loop: Header=BB26_8 Depth=1
	v_mul_hi_u32 v4, v24, v35
	v_mul_lo_u32 v4, v4, s22
	v_sub_u32_e32 v4, v24, v4
	v_subrev_u32_e32 v5, s22, v4
	v_cmp_le_u32_e32 vcc, s22, v4
	v_mov_b32_e32 v25, v27
	v_mov_b32_e32 v29, v27
	v_cndmask_b32_e32 v4, v4, v5, vcc
	v_subrev_u32_e32 v5, s22, v4
	v_cmp_le_u32_e32 vcc, s22, v4
	s_nop 1
	v_cndmask_b32_e32 v26, v4, v5, vcc
	v_mul_hi_u32 v4, v28, v35
	v_mul_lo_u32 v4, v4, s22
	v_sub_u32_e32 v4, v28, v4
	v_subrev_u32_e32 v5, s22, v4
	v_cmp_le_u32_e32 vcc, s22, v4
	v_lshl_add_u64 v[6:7], v[26:27], 1, s[8:9]
	s_nop 0
	v_cndmask_b32_e32 v4, v4, v5, vcc
	v_subrev_u32_e32 v5, s22, v4
	v_cmp_le_u32_e32 vcc, s22, v4
	s_nop 1
	v_cndmask_b32_e32 v26, v4, v5, vcc
	v_lshl_add_u64 v[8:9], v[26:27], 1, s[8:9]
	global_load_ushort v5, v[6:7], off
	global_load_ushort v4, v[8:9], off
	s_cbranch_execnz .LBB26_6
	s_branch .LBB26_19
.LBB26_18:                              ;   in Loop: Header=BB26_8 Depth=1
                                        ; implicit-def: $vgpr5
                                        ; implicit-def: $vgpr4
.LBB26_19:                              ;   in Loop: Header=BB26_8 Depth=1
	v_mov_b32_e32 v25, v27
	v_mov_b32_e32 v29, v27
	s_waitcnt vmcnt(0)
	v_mov_b32_e32 v4, 0
	v_mov_b32_e32 v5, 0
	s_branch .LBB26_6
.LBB26_20:
	s_endpgm
	.section	.rodata,"a",@progbits
	.p2align	6, 0x0
	.amdhsa_kernel _Z16wvSplitK_hf_sml_I6__halfLi64ELi2ELi16ELi8ELi2ELi1EEviiiiiiPKT_S3_S3_PS1_ii
		.amdhsa_group_segment_fixed_size 65536
		.amdhsa_private_segment_fixed_size 0
		.amdhsa_kernarg_size 64
		.amdhsa_user_sgpr_count 2
		.amdhsa_user_sgpr_dispatch_ptr 0
		.amdhsa_user_sgpr_queue_ptr 0
		.amdhsa_user_sgpr_kernarg_segment_ptr 1
		.amdhsa_user_sgpr_dispatch_id 0
		.amdhsa_user_sgpr_kernarg_preload_length 0
		.amdhsa_user_sgpr_kernarg_preload_offset 0
		.amdhsa_user_sgpr_private_segment_size 0
		.amdhsa_uses_dynamic_stack 0
		.amdhsa_enable_private_segment 0
		.amdhsa_system_sgpr_workgroup_id_x 1
		.amdhsa_system_sgpr_workgroup_id_y 0
		.amdhsa_system_sgpr_workgroup_id_z 0
		.amdhsa_system_sgpr_workgroup_info 0
		.amdhsa_system_vgpr_workitem_id 1
		.amdhsa_next_free_vgpr 39
		.amdhsa_next_free_sgpr 26
		.amdhsa_accum_offset 40
		.amdhsa_reserve_vcc 1
		.amdhsa_float_round_mode_32 0
		.amdhsa_float_round_mode_16_64 0
		.amdhsa_float_denorm_mode_32 3
		.amdhsa_float_denorm_mode_16_64 3
		.amdhsa_dx10_clamp 1
		.amdhsa_ieee_mode 1
		.amdhsa_fp16_overflow 0
		.amdhsa_tg_split 0
		.amdhsa_exception_fp_ieee_invalid_op 0
		.amdhsa_exception_fp_denorm_src 0
		.amdhsa_exception_fp_ieee_div_zero 0
		.amdhsa_exception_fp_ieee_overflow 0
		.amdhsa_exception_fp_ieee_underflow 0
		.amdhsa_exception_fp_ieee_inexact 0
		.amdhsa_exception_int_div_zero 0
	.end_amdhsa_kernel
	.section	.text._Z16wvSplitK_hf_sml_I6__halfLi64ELi2ELi16ELi8ELi2ELi1EEviiiiiiPKT_S3_S3_PS1_ii,"axG",@progbits,_Z16wvSplitK_hf_sml_I6__halfLi64ELi2ELi16ELi8ELi2ELi1EEviiiiiiPKT_S3_S3_PS1_ii,comdat
.Lfunc_end26:
	.size	_Z16wvSplitK_hf_sml_I6__halfLi64ELi2ELi16ELi8ELi2ELi1EEviiiiiiPKT_S3_S3_PS1_ii, .Lfunc_end26-_Z16wvSplitK_hf_sml_I6__halfLi64ELi2ELi16ELi8ELi2ELi1EEviiiiiiPKT_S3_S3_PS1_ii
                                        ; -- End function
	.section	.AMDGPU.csdata,"",@progbits
; Kernel info:
; codeLenInByte = 1356
; NumSgprs: 32
; NumVgprs: 39
; NumAgprs: 0
; TotalNumVgprs: 39
; ScratchSize: 0
; MemoryBound: 0
; FloatMode: 240
; IeeeMode: 1
; LDSByteSize: 65536 bytes/workgroup (compile time only)
; SGPRBlocks: 3
; VGPRBlocks: 4
; NumSGPRsForWavesPerEU: 32
; NumVGPRsForWavesPerEU: 39
; AccumOffset: 40
; Occupancy: 4
; WaveLimiterHint : 0
; COMPUTE_PGM_RSRC2:SCRATCH_EN: 0
; COMPUTE_PGM_RSRC2:USER_SGPR: 2
; COMPUTE_PGM_RSRC2:TRAP_HANDLER: 0
; COMPUTE_PGM_RSRC2:TGID_X_EN: 1
; COMPUTE_PGM_RSRC2:TGID_Y_EN: 0
; COMPUTE_PGM_RSRC2:TGID_Z_EN: 0
; COMPUTE_PGM_RSRC2:TIDIG_COMP_CNT: 1
; COMPUTE_PGM_RSRC3_GFX90A:ACCUM_OFFSET: 9
; COMPUTE_PGM_RSRC3_GFX90A:TG_SPLIT: 0
	.section	.text._Z12wvSplitK_hf_I6__halfLi64ELi2ELi16ELi8ELi2ELi1EEviiiiiiPKT_S3_S3_PS1_ii,"axG",@progbits,_Z12wvSplitK_hf_I6__halfLi64ELi2ELi16ELi8ELi2ELi1EEviiiiiiPKT_S3_S3_PS1_ii,comdat
	.protected	_Z12wvSplitK_hf_I6__halfLi64ELi2ELi16ELi8ELi2ELi1EEviiiiiiPKT_S3_S3_PS1_ii ; -- Begin function _Z12wvSplitK_hf_I6__halfLi64ELi2ELi16ELi8ELi2ELi1EEviiiiiiPKT_S3_S3_PS1_ii
	.globl	_Z12wvSplitK_hf_I6__halfLi64ELi2ELi16ELi8ELi2ELi1EEviiiiiiPKT_S3_S3_PS1_ii
	.p2align	8
	.type	_Z12wvSplitK_hf_I6__halfLi64ELi2ELi16ELi8ELi2ELi1EEviiiiiiPKT_S3_S3_PS1_ii,@function
_Z12wvSplitK_hf_I6__halfLi64ELi2ELi16ELi8ELi2ELi1EEviiiiiiPKT_S3_S3_PS1_ii: ; @_Z12wvSplitK_hf_I6__halfLi64ELi2ELi16ELi8ELi2ELi1EEviiiiiiPKT_S3_S3_PS1_ii
; %bb.0:
	s_load_dwordx2 s[4:5], s[0:1], 0x38
	s_load_dwordx4 s[8:11], s[0:1], 0x0
	s_load_dword s33, s[0:1], 0x10
	v_bfe_u32 v3, v0, 10, 10
	s_mov_b32 s6, 1
	s_waitcnt lgkmcnt(0)
	s_mul_i32 s2, s2, s4
	v_add_lshl_u32 v26, s2, v3, 1
	v_add_u32_e32 v1, 2, v26
	v_cmp_gt_u32_e32 vcc, s11, v26
	v_cmp_le_u32_e64 s[2:3], s11, v1
	s_mov_b32 s7, s6
	s_and_b64 s[12:13], vcc, s[2:3]
	v_mov_b64_e32 v[24:25], s[6:7]
	s_and_saveexec_b64 s[2:3], s[12:13]
	s_cbranch_execz .LBB27_6
; %bb.1:
	s_add_i32 s18, s11, -2
	v_cmp_ne_u32_e32 vcc, s18, v26
	v_mov_b64_e32 v[24:25], s[6:7]
	s_and_saveexec_b64 s[6:7], vcc
	s_cbranch_execz .LBB27_5
; %bb.2:
	v_subrev_u32_e32 v1, s18, v26
	s_mov_b32 s12, 1
	v_cmp_lt_u32_e32 vcc, 1, v1
	s_mov_b64 s[14:15], 0
	s_mov_b64 s[16:17], 0
	v_cndmask_b32_e32 v2, 1, v1, vcc
	s_mov_b32 s13, s12
.LBB27_3:                               ; =>This Inner Loop Header: Depth=1
	s_cmp_lg_u32 s16, 1
	s_cselect_b32 s13, s13, 0
	s_cmp_lg_u32 s16, 0
	s_cselect_b32 s12, s12, 0
	s_add_u32 s16, s16, 1
	s_addc_u32 s17, s17, 0
	v_cmp_eq_u32_e32 vcc, s16, v2
	s_or_b64 s[14:15], vcc, s[14:15]
	v_mov_b64_e32 v[24:25], s[12:13]
	s_andn2_b64 exec, exec, s[14:15]
	s_cbranch_execnz .LBB27_3
; %bb.4:
	s_or_b64 exec, exec, s[14:15]
	v_mov_b32_e32 v26, s18
.LBB27_5:
	s_or_b64 exec, exec, s[6:7]
.LBB27_6:
	s_or_b64 exec, exec, s[2:3]
	s_load_dwordx4 s[12:15], s[0:1], 0x20
	v_and_b32_e32 v2, 0x3ff, v0
	v_lshlrev_b32_e32 v40, 3, v2
	v_lshl_add_u32 v4, v3, 9, v40
	s_min_u32 s10, s10, 0x8000
	v_cmp_gt_u32_e32 vcc, s10, v4
	s_and_saveexec_b64 s[2:3], vcc
	s_cbranch_execz .LBB27_9
; %bb.7:
	v_mov_b32_e32 v7, 0
	v_lshlrev_b32_e32 v6, 10, v3
	v_lshlrev_b32_e32 v8, 4, v2
	v_mov_b32_e32 v9, v7
	v_lshl_add_u64 v[0:1], v[6:7], 0, v[8:9]
	s_waitcnt lgkmcnt(0)
	v_lshl_add_u64 v[0:1], s[12:13], 0, v[0:1]
	v_add_u32_e32 v5, v6, v8
	s_mov_b64 s[6:7], 0
	s_mov_b64 s[16:17], 0x4000
.LBB27_8:                               ; =>This Inner Loop Header: Depth=1
	global_load_dwordx4 v[6:9], v[0:1], off
	v_add_u32_e32 v4, 0x2000, v4
	v_cmp_le_u32_e32 vcc, s10, v4
	v_lshl_add_u64 v[0:1], v[0:1], 0, s[16:17]
	s_or_b64 s[6:7], vcc, s[6:7]
	s_waitcnt vmcnt(0)
	ds_write_b128 v5, v[6:9]
	v_add_u32_e32 v5, 0x4000, v5
	s_andn2_b64 exec, exec, s[6:7]
	s_cbranch_execnz .LBB27_8
.LBB27_9:
	s_or_b64 exec, exec, s[2:3]
	v_cmp_gt_u32_e32 vcc, s4, v3
	v_cmp_gt_u32_e64 s[2:3], s11, v26
	s_and_b64 s[2:3], vcc, s[2:3]
	s_waitcnt lgkmcnt(0)
	s_barrier
	s_and_saveexec_b64 s[6:7], s[2:3]
	s_cbranch_execz .LBB27_40
; %bb.10:
	v_cvt_f32_u32_e32 v0, s33
	s_cmp_lg_u32 s8, 0
	s_cselect_b64 s[2:3], -1, 0
	s_add_i32 s10, s8, -8
	v_rcp_iflag_f32_e32 v0, v0
	s_add_i32 s34, s11, -1
	s_mul_i32 s4, s4, s5
	s_cmp_lg_u64 s[14:15], 0
	v_mul_f32_e32 v0, 0x4f7ffffe, v0
	v_cvt_u32_f32_e32 v0, v0
	s_load_dwordx2 s[6:7], s[0:1], 0x18
	s_load_dwordx2 s[16:17], s[0:1], 0x30
	s_cselect_b64 s[20:21], -1, 0
	s_lshl_b32 s35, s4, 1
	s_sub_i32 s4, 0, s33
	v_mul_lo_u32 v1, s4, v0
	v_mul_hi_u32 v1, v0, v1
	v_add_u32_e32 v41, v0, v1
	v_cndmask_b32_e64 v0, 0, 1, s[2:3]
	v_cmp_eq_u32_e64 s[0:1], 63, v2
	s_mov_b64 s[18:19], 0
	s_add_i32 s36, s11, -2
	v_mov_b32_e32 v29, 0
	v_lshlrev_b32_e32 v42, 4, v2
	v_cmp_ne_u32_e64 s[2:3], 1, v0
	s_movk_i32 s37, 0x7fff
	s_mov_b32 s22, 0
	s_branch .LBB27_13
.LBB27_11:                              ;   in Loop: Header=BB27_13 Depth=1
	s_or_b64 exec, exec, s[26:27]
	v_mov_b32_e32 v26, s36
.LBB27_12:                              ;   in Loop: Header=BB27_13 Depth=1
	s_or_b64 exec, exec, s[24:25]
	v_cmp_le_u32_e32 vcc, s11, v26
	s_or_b64 s[18:19], vcc, s[18:19]
	s_andn2_b64 exec, exec, s[18:19]
	s_cbranch_execz .LBB27_40
.LBB27_13:                              ; =>This Loop Header: Depth=1
                                        ;     Child Loop BB27_18 Depth 2
                                        ;     Child Loop BB27_38 Depth 2
	s_and_b64 vcc, exec, s[2:3]
	v_add_u32_e32 v30, 1, v26
	v_mov_b32_e32 v31, v29
	v_mov_b32_e32 v27, v29
	s_cbranch_vccnz .LBB27_28
; %bb.14:                               ;   in Loop: Header=BB27_13 Depth=1
	v_min_u32_e32 v0, s34, v26
	v_mul_lo_u32 v28, v0, s9
	v_min_u32_e32 v0, s34, v30
	v_mul_lo_u32 v0, v0, s9
	v_mov_b32_e32 v1, v29
	v_mov_b32_e32 v27, 0
	v_lshlrev_b64 v[32:33], 1, v[28:29]
	v_lshlrev_b64 v[34:35], 1, v[0:1]
	v_mov_b32_e32 v43, v42
	v_mov_b32_e32 v31, 0
	s_mov_b32 s28, s22
	s_branch .LBB27_18
.LBB27_15:                              ;   in Loop: Header=BB27_18 Depth=2
	s_or_b64 exec, exec, s[26:27]
.LBB27_16:                              ;   in Loop: Header=BB27_18 Depth=2
	s_or_b64 exec, exec, s[24:25]
.LBB27_17:                              ;   in Loop: Header=BB27_18 Depth=2
	s_or_b64 exec, exec, s[4:5]
	s_waitcnt vmcnt(0) lgkmcnt(0)
	;;#ASMSTART
	v_dot2c_f32_f16 v27, v16, v12
	;;#ASMEND
	;;#ASMSTART
	v_dot2c_f32_f16 v31, v16, v8
	;;#ASMEND
	s_addk_i32 s28, 0x400
	;;#ASMSTART
	v_dot2c_f32_f16 v27, v17, v13
	;;#ASMEND
	;;#ASMSTART
	v_dot2c_f32_f16 v31, v17, v9
	;;#ASMEND
	s_cmp_ge_u32 s28, s8
	;;#ASMSTART
	v_dot2c_f32_f16 v27, v18, v14
	;;#ASMEND
	;;#ASMSTART
	v_dot2c_f32_f16 v31, v18, v10
	;;#ASMEND
	v_add_u32_e32 v43, 0x800, v43
	;;#ASMSTART
	v_dot2c_f32_f16 v27, v19, v15
	;;#ASMEND
	;;#ASMSTART
	v_dot2c_f32_f16 v31, v19, v11
	;;#ASMEND
	s_nop 0
	;;#ASMSTART
	v_dot2c_f32_f16 v27, v20, v4
	;;#ASMEND
	;;#ASMSTART
	v_dot2c_f32_f16 v31, v20, v0
	;;#ASMEND
	s_nop 0
	;; [unrolled: 7-line block ×4, first 2 shown]
	;;#ASMSTART
	v_dot2c_f32_f16 v27, v23, v7
	;;#ASMEND
	;;#ASMSTART
	v_dot2c_f32_f16 v31, v23, v3
	;;#ASMEND
	s_cbranch_scc1 .LBB27_28
.LBB27_18:                              ;   Parent Loop BB27_13 Depth=1
                                        ; =>  This Inner Loop Header: Depth=2
	v_add_u32_e32 v38, s28, v40
	v_min_u32_e32 v28, s10, v38
	s_waitcnt lgkmcnt(0)
	v_lshl_add_u64 v[0:1], v[28:29], 1, s[6:7]
	v_add_u32_e32 v36, 0x200, v38
	v_lshl_add_u64 v[2:3], v[0:1], 0, v[32:33]
	v_lshl_add_u64 v[0:1], v[0:1], 0, v[34:35]
	v_min_u32_e32 v28, s10, v36
	global_load_dwordx4 v[12:15], v[2:3], off nt
	global_load_dwordx4 v[8:11], v[0:1], off nt
	v_lshl_add_u64 v[0:1], v[28:29], 1, s[6:7]
	v_lshl_add_u64 v[16:17], v[0:1], 0, v[32:33]
	;; [unrolled: 1-line block ×3, first 2 shown]
	global_load_dwordx4 v[4:7], v[16:17], off nt
	global_load_dwordx4 v[0:3], v[18:19], off nt
	s_mov_b32 s23, s22
	v_cmp_gt_u32_e32 vcc, s8, v38
	v_mov_b64_e32 v[16:17], s[22:23]
	v_mov_b32_e32 v23, 0
	v_mov_b32_e32 v22, 0
	;; [unrolled: 1-line block ×4, first 2 shown]
	v_mov_b64_e32 v[18:19], s[22:23]
	s_and_saveexec_b64 s[4:5], vcc
	s_cbranch_execz .LBB27_17
; %bb.19:                               ;   in Loop: Header=BB27_18 Depth=2
	v_cmp_lt_u32_e32 vcc, s37, v38
                                        ; implicit-def: $vgpr16_vgpr17
	s_and_saveexec_b64 s[24:25], vcc
	s_xor_b64 s[24:25], exec, s[24:25]
	s_cbranch_execz .LBB27_21
; %bb.20:                               ;   in Loop: Header=BB27_18 Depth=2
	v_mov_b32_e32 v39, v29
	v_lshl_add_u64 v[16:17], v[38:39], 1, s[12:13]
	global_load_dwordx4 v[16:19], v[16:17], off
.LBB27_21:                              ;   in Loop: Header=BB27_18 Depth=2
	s_andn2_saveexec_b64 s[24:25], s[24:25]
	s_cbranch_execz .LBB27_23
; %bb.22:                               ;   in Loop: Header=BB27_18 Depth=2
	s_waitcnt vmcnt(0)
	ds_read_b128 v[16:19], v43
.LBB27_23:                              ;   in Loop: Header=BB27_18 Depth=2
	s_or_b64 exec, exec, s[24:25]
	v_cmp_gt_u32_e32 vcc, s8, v36
	v_mov_b32_e32 v23, 0
	v_mov_b32_e32 v22, 0
	;; [unrolled: 1-line block ×4, first 2 shown]
	s_and_saveexec_b64 s[24:25], vcc
	s_cbranch_execz .LBB27_16
; %bb.24:                               ;   in Loop: Header=BB27_18 Depth=2
	v_cmp_lt_u32_e32 vcc, s37, v36
                                        ; implicit-def: $vgpr23
	s_and_saveexec_b64 s[26:27], vcc
	s_xor_b64 s[26:27], exec, s[26:27]
	s_cbranch_execz .LBB27_26
; %bb.25:                               ;   in Loop: Header=BB27_18 Depth=2
	v_mov_b32_e32 v37, v29
	v_lshl_add_u64 v[20:21], v[36:37], 1, s[12:13]
	global_load_dwordx4 v[20:23], v[20:21], off
.LBB27_26:                              ;   in Loop: Header=BB27_18 Depth=2
	s_andn2_saveexec_b64 s[26:27], s[26:27]
	s_cbranch_execz .LBB27_15
; %bb.27:                               ;   in Loop: Header=BB27_18 Depth=2
	s_waitcnt vmcnt(0)
	ds_read_b128 v[20:23], v43 offset:1024
	s_branch .LBB27_15
.LBB27_28:                              ;   in Loop: Header=BB27_13 Depth=1
	v_cvt_i32_f32_e32 v0, v27
	v_cvt_i32_f32_e32 v1, v31
	s_nop 0
	v_cvt_f32_i32_dpp v0, v0 row_shr:8 row_mask:0xf bank_mask:0xf bound_ctrl:1
	v_cvt_f32_i32_dpp v1, v1 row_shr:8 row_mask:0xf bank_mask:0xf bound_ctrl:1
	v_add_f32_e32 v0, v27, v0
	v_add_f32_e32 v1, v31, v1
	v_cvt_i32_f32_e32 v2, v0
	v_cvt_i32_f32_e32 v3, v1
	s_nop 0
	v_cvt_f32_i32_dpp v2, v2 row_shr:4 row_mask:0xf bank_mask:0xf bound_ctrl:1
	v_cvt_f32_i32_dpp v3, v3 row_shr:4 row_mask:0xf bank_mask:0xf bound_ctrl:1
	v_add_f32_e32 v0, v0, v2
	v_add_f32_e32 v1, v1, v3
	;; [unrolled: 7-line block ×4, first 2 shown]
	v_cvt_i32_f32_e32 v2, v0
	v_cvt_i32_f32_e32 v3, v1
	s_nop 0
	v_cvt_f32_i32_dpp v2, v2 row_bcast:15 row_mask:0xf bank_mask:0xf bound_ctrl:1
	v_cvt_f32_i32_dpp v3, v3 row_bcast:15 row_mask:0xf bank_mask:0xf bound_ctrl:1
	v_add_f32_e32 v2, v0, v2
	v_add_f32_e32 v0, v1, v3
	v_cvt_i32_f32_e32 v1, v2
	s_waitcnt vmcnt(0)
	v_cvt_i32_f32_e32 v4, v0
	v_mov_b32_dpp v3, v1 row_bcast:31 row_mask:0xf bank_mask:0xf bound_ctrl:1
	s_nop 0
	v_mov_b32_dpp v1, v4 row_bcast:31 row_mask:0xf bank_mask:0xf bound_ctrl:1
	s_and_saveexec_b64 s[4:5], s[0:1]
	s_cbranch_execz .LBB27_35
; %bb.29:                               ;   in Loop: Header=BB27_13 Depth=1
	s_andn2_b64 vcc, exec, s[20:21]
	v_mov_b32_e32 v4, 0
	v_mov_b32_e32 v5, 0
	s_cbranch_vccnz .LBB27_31
; %bb.30:                               ;   in Loop: Header=BB27_13 Depth=1
	v_mul_hi_u32 v4, v26, v41
	v_mul_lo_u32 v4, v4, s33
	v_sub_u32_e32 v4, v26, v4
	v_subrev_u32_e32 v5, s33, v4
	v_cmp_le_u32_e32 vcc, s33, v4
	s_nop 1
	v_cndmask_b32_e32 v4, v4, v5, vcc
	v_subrev_u32_e32 v5, s33, v4
	v_cmp_le_u32_e32 vcc, s33, v4
	s_nop 1
	v_cndmask_b32_e32 v28, v4, v5, vcc
	v_mul_hi_u32 v4, v30, v41
	v_mul_lo_u32 v4, v4, s33
	v_sub_u32_e32 v4, v30, v4
	v_subrev_u32_e32 v5, s33, v4
	v_cmp_le_u32_e32 vcc, s33, v4
	v_lshl_add_u64 v[6:7], v[28:29], 1, s[14:15]
	s_nop 0
	v_cndmask_b32_e32 v4, v4, v5, vcc
	v_subrev_u32_e32 v5, s33, v4
	v_cmp_le_u32_e32 vcc, s33, v4
	s_nop 1
	v_cndmask_b32_e32 v28, v4, v5, vcc
	v_lshl_add_u64 v[8:9], v[28:29], 1, s[14:15]
	global_load_ushort v5, v[6:7], off
	global_load_ushort v4, v[8:9], off
.LBB27_31:                              ;   in Loop: Header=BB27_13 Depth=1
	v_cmp_ne_u32_e32 vcc, 0, v24
	s_and_saveexec_b64 s[24:25], vcc
	s_cbranch_execz .LBB27_33
; %bb.32:                               ;   in Loop: Header=BB27_13 Depth=1
	v_cvt_f32_i32_e32 v3, v3
	s_waitcnt vmcnt(1)
	v_cvt_f32_f16_e32 v5, v5
	v_mov_b32_e32 v27, v29
	v_add_f32_e32 v2, v2, v3
	v_add_f32_e32 v2, v2, v5
	v_cvt_f16_f32_e32 v5, v2
	s_waitcnt lgkmcnt(0)
	v_lshl_add_u64 v[2:3], v[26:27], 1, s[16:17]
	global_store_short v[2:3], v5, off
.LBB27_33:                              ;   in Loop: Header=BB27_13 Depth=1
	s_or_b64 exec, exec, s[24:25]
	v_cmp_ne_u32_e32 vcc, 0, v25
	s_and_b64 exec, exec, vcc
	s_cbranch_execz .LBB27_35
; %bb.34:                               ;   in Loop: Header=BB27_13 Depth=1
	v_cvt_f32_i32_e32 v1, v1
	s_waitcnt vmcnt(0)
	v_cvt_f32_f16_e32 v2, v4
	v_mov_b32_e32 v31, v29
	v_add_f32_e32 v0, v0, v1
	v_add_f32_e32 v0, v0, v2
	v_cvt_f16_f32_e32 v2, v0
	s_waitcnt lgkmcnt(0)
	v_lshl_add_u64 v[0:1], v[30:31], 1, s[16:17]
	global_store_short v[0:1], v2, off
.LBB27_35:                              ;   in Loop: Header=BB27_13 Depth=1
	s_or_b64 exec, exec, s[4:5]
	v_add_u32_e32 v26, s35, v26
	v_add_u32_e32 v0, 2, v26
	v_cmp_gt_u32_e32 vcc, s11, v26
	v_cmp_le_u32_e64 s[4:5], s11, v0
	s_and_b64 s[4:5], vcc, s[4:5]
	s_and_saveexec_b64 s[24:25], s[4:5]
	s_cbranch_execz .LBB27_12
; %bb.36:                               ;   in Loop: Header=BB27_13 Depth=1
	v_cmp_ne_u32_e32 vcc, s36, v26
	s_and_saveexec_b64 s[26:27], vcc
	s_cbranch_execz .LBB27_11
; %bb.37:                               ;   in Loop: Header=BB27_13 Depth=1
	v_subrev_u32_e32 v0, s36, v26
	v_cmp_lt_u32_e32 vcc, 1, v0
	s_mov_b64 s[28:29], 0
	s_mov_b64 s[30:31], 0
	v_cndmask_b32_e32 v0, 1, v0, vcc
.LBB27_38:                              ;   Parent Loop BB27_13 Depth=1
                                        ; =>  This Inner Loop Header: Depth=2
	s_cmp_lg_u32 s30, 1
	s_cselect_b64 vcc, -1, 0
	s_cmp_lg_u32 s30, 0
	v_cndmask_b32_e32 v25, 0, v25, vcc
	s_cselect_b64 vcc, -1, 0
	s_add_u32 s30, s30, 1
	s_addc_u32 s31, s31, 0
	v_cmp_eq_u32_e64 s[4:5], s30, v0
	s_or_b64 s[28:29], s[4:5], s[28:29]
	v_cndmask_b32_e32 v24, 0, v24, vcc
	s_andn2_b64 exec, exec, s[28:29]
	s_cbranch_execnz .LBB27_38
; %bb.39:                               ;   in Loop: Header=BB27_13 Depth=1
	s_or_b64 exec, exec, s[28:29]
	s_branch .LBB27_11
.LBB27_40:
	s_endpgm
	.section	.rodata,"a",@progbits
	.p2align	6, 0x0
	.amdhsa_kernel _Z12wvSplitK_hf_I6__halfLi64ELi2ELi16ELi8ELi2ELi1EEviiiiiiPKT_S3_S3_PS1_ii
		.amdhsa_group_segment_fixed_size 65536
		.amdhsa_private_segment_fixed_size 0
		.amdhsa_kernarg_size 64
		.amdhsa_user_sgpr_count 2
		.amdhsa_user_sgpr_dispatch_ptr 0
		.amdhsa_user_sgpr_queue_ptr 0
		.amdhsa_user_sgpr_kernarg_segment_ptr 1
		.amdhsa_user_sgpr_dispatch_id 0
		.amdhsa_user_sgpr_kernarg_preload_length 0
		.amdhsa_user_sgpr_kernarg_preload_offset 0
		.amdhsa_user_sgpr_private_segment_size 0
		.amdhsa_uses_dynamic_stack 0
		.amdhsa_enable_private_segment 0
		.amdhsa_system_sgpr_workgroup_id_x 1
		.amdhsa_system_sgpr_workgroup_id_y 0
		.amdhsa_system_sgpr_workgroup_id_z 0
		.amdhsa_system_sgpr_workgroup_info 0
		.amdhsa_system_vgpr_workitem_id 1
		.amdhsa_next_free_vgpr 44
		.amdhsa_next_free_sgpr 38
		.amdhsa_accum_offset 44
		.amdhsa_reserve_vcc 1
		.amdhsa_float_round_mode_32 0
		.amdhsa_float_round_mode_16_64 0
		.amdhsa_float_denorm_mode_32 3
		.amdhsa_float_denorm_mode_16_64 3
		.amdhsa_dx10_clamp 1
		.amdhsa_ieee_mode 1
		.amdhsa_fp16_overflow 0
		.amdhsa_tg_split 0
		.amdhsa_exception_fp_ieee_invalid_op 0
		.amdhsa_exception_fp_denorm_src 0
		.amdhsa_exception_fp_ieee_div_zero 0
		.amdhsa_exception_fp_ieee_overflow 0
		.amdhsa_exception_fp_ieee_underflow 0
		.amdhsa_exception_fp_ieee_inexact 0
		.amdhsa_exception_int_div_zero 0
	.end_amdhsa_kernel
	.section	.text._Z12wvSplitK_hf_I6__halfLi64ELi2ELi16ELi8ELi2ELi1EEviiiiiiPKT_S3_S3_PS1_ii,"axG",@progbits,_Z12wvSplitK_hf_I6__halfLi64ELi2ELi16ELi8ELi2ELi1EEviiiiiiPKT_S3_S3_PS1_ii,comdat
.Lfunc_end27:
	.size	_Z12wvSplitK_hf_I6__halfLi64ELi2ELi16ELi8ELi2ELi1EEviiiiiiPKT_S3_S3_PS1_ii, .Lfunc_end27-_Z12wvSplitK_hf_I6__halfLi64ELi2ELi16ELi8ELi2ELi1EEviiiiiiPKT_S3_S3_PS1_ii
                                        ; -- End function
	.section	.AMDGPU.csdata,"",@progbits
; Kernel info:
; codeLenInByte = 1748
; NumSgprs: 44
; NumVgprs: 44
; NumAgprs: 0
; TotalNumVgprs: 44
; ScratchSize: 0
; MemoryBound: 1
; FloatMode: 240
; IeeeMode: 1
; LDSByteSize: 65536 bytes/workgroup (compile time only)
; SGPRBlocks: 5
; VGPRBlocks: 5
; NumSGPRsForWavesPerEU: 44
; NumVGPRsForWavesPerEU: 44
; AccumOffset: 44
; Occupancy: 4
; WaveLimiterHint : 0
; COMPUTE_PGM_RSRC2:SCRATCH_EN: 0
; COMPUTE_PGM_RSRC2:USER_SGPR: 2
; COMPUTE_PGM_RSRC2:TRAP_HANDLER: 0
; COMPUTE_PGM_RSRC2:TGID_X_EN: 1
; COMPUTE_PGM_RSRC2:TGID_Y_EN: 0
; COMPUTE_PGM_RSRC2:TGID_Z_EN: 0
; COMPUTE_PGM_RSRC2:TIDIG_COMP_CNT: 1
; COMPUTE_PGM_RSRC3_GFX90A:ACCUM_OFFSET: 10
; COMPUTE_PGM_RSRC3_GFX90A:TG_SPLIT: 0
	.section	.text._Z16wvSplitK_hf_big_I6__halfLi64ELi2ELi16ELi8ELi2ELi1EEviiiiiiPKT_S3_S3_PS1_ii,"axG",@progbits,_Z16wvSplitK_hf_big_I6__halfLi64ELi2ELi16ELi8ELi2ELi1EEviiiiiiPKT_S3_S3_PS1_ii,comdat
	.protected	_Z16wvSplitK_hf_big_I6__halfLi64ELi2ELi16ELi8ELi2ELi1EEviiiiiiPKT_S3_S3_PS1_ii ; -- Begin function _Z16wvSplitK_hf_big_I6__halfLi64ELi2ELi16ELi8ELi2ELi1EEviiiiiiPKT_S3_S3_PS1_ii
	.globl	_Z16wvSplitK_hf_big_I6__halfLi64ELi2ELi16ELi8ELi2ELi1EEviiiiiiPKT_S3_S3_PS1_ii
	.p2align	8
	.type	_Z16wvSplitK_hf_big_I6__halfLi64ELi2ELi16ELi8ELi2ELi1EEviiiiiiPKT_S3_S3_PS1_ii,@function
_Z16wvSplitK_hf_big_I6__halfLi64ELi2ELi16ELi8ELi2ELi1EEviiiiiiPKT_S3_S3_PS1_ii: ; @_Z16wvSplitK_hf_big_I6__halfLi64ELi2ELi16ELi8ELi2ELi1EEviiiiiiPKT_S3_S3_PS1_ii
; %bb.0:
	s_load_dwordx2 s[4:5], s[0:1], 0x38
	v_bfe_u32 v1, v0, 10, 10
	s_waitcnt lgkmcnt(0)
	v_cmp_gt_u32_e32 vcc, s4, v1
	s_and_saveexec_b64 s[6:7], vcc
	s_cbranch_execz .LBB28_44
; %bb.1:
	s_load_dwordx4 s[20:23], s[0:1], 0x0
	s_mul_i32 s2, s2, s4
	v_add_lshl_u32 v26, s2, v1, 1
	s_mov_b32 s6, 1
	v_add_u32_e32 v2, 2, v26
	s_waitcnt lgkmcnt(0)
	v_cmp_gt_u32_e32 vcc, s23, v26
	v_cmp_le_u32_e64 s[2:3], s23, v2
	s_mov_b32 s7, s6
	s_and_b64 s[8:9], vcc, s[2:3]
	v_mov_b64_e32 v[24:25], s[6:7]
	s_and_saveexec_b64 s[2:3], s[8:9]
	s_cbranch_execz .LBB28_7
; %bb.2:
	s_add_i32 s14, s23, -2
	v_cmp_ne_u32_e32 vcc, s14, v26
	v_mov_b64_e32 v[24:25], s[6:7]
	s_and_saveexec_b64 s[6:7], vcc
	s_cbranch_execz .LBB28_6
; %bb.3:
	v_subrev_u32_e32 v2, s14, v26
	s_mov_b32 s8, 1
	v_cmp_lt_u32_e32 vcc, 1, v2
	s_mov_b64 s[10:11], 0
	s_mov_b64 s[12:13], 0
	v_cndmask_b32_e32 v2, 1, v2, vcc
	s_mov_b32 s9, s8
.LBB28_4:                               ; =>This Inner Loop Header: Depth=1
	s_cmp_lg_u32 s12, 1
	s_cselect_b32 s9, s9, 0
	s_cmp_lg_u32 s12, 0
	s_cselect_b32 s8, s8, 0
	s_add_u32 s12, s12, 1
	s_addc_u32 s13, s13, 0
	v_cmp_eq_u32_e32 vcc, s12, v2
	s_or_b64 s[10:11], vcc, s[10:11]
	v_mov_b64_e32 v[24:25], s[8:9]
	s_andn2_b64 exec, exec, s[10:11]
	s_cbranch_execnz .LBB28_4
; %bb.5:
	s_or_b64 exec, exec, s[10:11]
	v_mov_b32_e32 v26, s14
.LBB28_6:
	s_or_b64 exec, exec, s[6:7]
.LBB28_7:
	s_or_b64 exec, exec, s[2:3]
	s_lshl_b32 s2, s4, 1
	s_abs_i32 s3, s2
	v_cvt_f32_u32_e32 v2, s3
	s_sub_i32 s8, 0, s3
	s_abs_i32 s7, s23
	s_ashr_i32 s6, s23, 31
	v_rcp_iflag_f32_e32 v2, v2
	s_nop 0
	v_mul_f32_e32 v2, 0x4f7ffffe, v2
	v_cvt_u32_f32_e32 v2, v2
	s_nop 0
	v_readfirstlane_b32 s9, v2
	s_mul_i32 s8, s8, s9
	s_mul_hi_u32 s8, s9, s8
	s_add_i32 s9, s9, s8
	s_mul_hi_u32 s8, s7, s9
	s_mul_i32 s8, s8, s3
	s_sub_i32 s7, s7, s8
	s_sub_i32 s8, s7, s3
	s_cmp_ge_u32 s7, s3
	s_cselect_b32 s7, s8, s7
	s_sub_i32 s8, s7, s3
	s_cmp_ge_u32 s7, s3
	s_cselect_b32 s3, s8, s7
	s_xor_b32 s3, s3, s6
	s_sub_i32 s3, s3, s6
	s_add_i32 s2, s2, s23
	s_sub_i32 s2, s2, s3
	s_cmp_eq_u32 s3, 0
	s_cselect_b32 s33, s23, s2
	v_cmp_gt_u32_e32 vcc, s33, v26
	s_and_b64 exec, exec, vcc
	s_cbranch_execz .LBB28_44
; %bb.8:
	s_load_dwordx8 s[12:19], s[0:1], 0x18
	s_load_dword s38, s[0:1], 0x10
	s_min_u32 s39, s22, 0x8000
	s_cmp_lg_u32 s20, 0
	s_cselect_b64 s[2:3], -1, 0
	s_cmp_lg_u32 s22, 0
	s_waitcnt lgkmcnt(0)
	v_cvt_f32_u32_e32 v2, s38
	s_mul_i32 s0, s5, s4
	s_cselect_b64 s[6:7], -1, 0
	s_lshl_b32 s40, s4, 9
	v_rcp_iflag_f32_e32 v2, v2
	s_add_i32 s41, s20, -8
	s_add_i32 s42, s23, -1
	s_lshl_b32 s43, s0, 1
	v_mul_f32_e32 v2, 0x4f7ffffe, v2
	v_cvt_u32_f32_e32 v2, v2
	v_and_b32_e32 v0, 0x3ff, v0
	s_cmp_lg_u64 s[16:17], 0
	v_lshlrev_b32_e32 v34, 3, v0
	v_cmp_eq_u32_e64 s[0:1], 63, v0
	s_cselect_b64 s[24:25], -1, 0
	s_sub_i32 s5, 0, s38
	v_lshlrev_b32_e32 v0, 4, v0
	s_add_i32 s44, s23, -2
	v_mul_lo_u32 v3, s5, v2
	v_lshl_add_u32 v36, v1, 10, v0
	v_cndmask_b32_e64 v0, 0, 1, s[2:3]
	v_mul_hi_u32 v3, v2, v3
	s_add_u32 s26, s18, 2
	v_cmp_ne_u32_e64 s[2:3], 1, v0
	v_cndmask_b32_e64 v0, 0, 1, s[6:7]
	s_mov_b64 s[10:11], 0
	v_add_u32_e32 v35, v2, v3
	v_mov_b32_e32 v29, 0
	s_addc_u32 s27, s19, 0
	s_lshl_b32 s45, s4, 10
	v_lshl_add_u32 v37, v1, 9, v34
	v_cmp_ne_u32_e64 s[4:5], 1, v0
	s_branch .LBB28_12
.LBB28_9:                               ;   in Loop: Header=BB28_12 Depth=1
	s_or_b64 exec, exec, s[30:31]
	v_mov_b32_e32 v26, s44
.LBB28_10:                              ;   in Loop: Header=BB28_12 Depth=1
	s_or_b64 exec, exec, s[28:29]
.LBB28_11:                              ;   in Loop: Header=BB28_12 Depth=1
	s_or_b64 exec, exec, s[8:9]
	v_cmp_le_u32_e32 vcc, s33, v26
	s_or_b64 s[10:11], vcc, s[10:11]
	s_andn2_b64 exec, exec, s[10:11]
	s_cbranch_execz .LBB28_44
.LBB28_12:                              ; =>This Loop Header: Depth=1
                                        ;     Child Loop BB28_17 Depth 2
                                        ;       Child Loop BB28_22 Depth 3
                                        ;     Child Loop BB28_42 Depth 2
	s_mov_b32 s34, 0
	s_and_b64 vcc, exec, s[2:3]
	v_mov_b32_e32 v38, v29
	v_mov_b32_e32 v27, v29
	s_cbranch_vccnz .LBB28_29
; %bb.13:                               ;   in Loop: Header=BB28_12 Depth=1
	v_min_u32_e32 v0, s42, v26
	v_mul_lo_u32 v28, v0, s21
	v_add_u32_e32 v0, 1, v26
	v_min_u32_e32 v0, s42, v0
	v_mul_lo_u32 v0, v0, s21
	v_mov_b32_e32 v1, v29
	v_cmp_gt_u32_e64 s[6:7], s23, v26
	v_mov_b32_e32 v27, 0
	v_lshlrev_b64 v[30:31], 1, v[28:29]
	v_lshlrev_b64 v[32:33], 1, v[0:1]
	v_mov_b32_e32 v38, 0
	s_mov_b32 s35, 0
	s_branch .LBB28_17
.LBB28_14:                              ;   in Loop: Header=BB28_17 Depth=2
	s_or_b64 exec, exec, s[30:31]
.LBB28_15:                              ;   in Loop: Header=BB28_17 Depth=2
	s_or_b64 exec, exec, s[28:29]
	s_waitcnt vmcnt(3) lgkmcnt(0)
	;;#ASMSTART
	v_dot2c_f32_f16 v27, v20, v16
	;;#ASMEND
	s_waitcnt vmcnt(2)
	;;#ASMSTART
	v_dot2c_f32_f16 v38, v20, v12
	;;#ASMEND
	;;#ASMSTART
	v_dot2c_f32_f16 v27, v21, v17
	;;#ASMEND
	s_nop 0
	;;#ASMSTART
	v_dot2c_f32_f16 v38, v21, v13
	;;#ASMEND
	;;#ASMSTART
	v_dot2c_f32_f16 v27, v22, v18
	;;#ASMEND
	s_nop 0
	;; [unrolled: 7-line block ×3, first 2 shown]
	;;#ASMSTART
	v_dot2c_f32_f16 v38, v23, v15
	;;#ASMEND
	s_waitcnt vmcnt(1)
	;;#ASMSTART
	v_dot2c_f32_f16 v27, v4, v8
	;;#ASMEND
	s_waitcnt vmcnt(0)
	;;#ASMSTART
	v_dot2c_f32_f16 v38, v4, v0
	;;#ASMEND
	;;#ASMSTART
	v_dot2c_f32_f16 v27, v5, v9
	;;#ASMEND
	s_nop 0
	;;#ASMSTART
	v_dot2c_f32_f16 v38, v5, v1
	;;#ASMEND
	;;#ASMSTART
	v_dot2c_f32_f16 v27, v6, v10
	;;#ASMEND
	s_nop 0
	;; [unrolled: 7-line block ×3, first 2 shown]
	;;#ASMSTART
	v_dot2c_f32_f16 v38, v7, v3
	;;#ASMEND
.LBB28_16:                              ;   in Loop: Header=BB28_17 Depth=2
	s_or_b64 exec, exec, s[8:9]
	s_addk_i32 s35, 0x400
	s_cmp_ge_u32 s35, s20
	s_cbranch_scc1 .LBB28_29
.LBB28_17:                              ;   Parent Loop BB28_12 Depth=1
                                        ; =>  This Loop Header: Depth=2
                                        ;       Child Loop BB28_22 Depth 3
	s_cmp_eq_u32 s35, 0
	s_cselect_b64 s[8:9], -1, 0
	s_add_i32 s28, s34, s39
	s_cmp_eq_u32 s35, s28
	s_cselect_b64 s[30:31], -1, 0
	s_or_b64 s[30:31], s[8:9], s[30:31]
	s_andn2_b64 vcc, exec, s[30:31]
	s_cbranch_vccz .LBB28_19
; %bb.18:                               ;   in Loop: Header=BB28_17 Depth=2
	s_and_saveexec_b64 s[8:9], s[6:7]
	s_cbranch_execz .LBB28_16
	s_branch .LBB28_26
.LBB28_19:                              ;   in Loop: Header=BB28_17 Depth=2
	s_and_b64 s[8:9], s[8:9], exec
	s_cselect_b32 s34, s34, s28
	s_and_b64 vcc, exec, s[4:5]
	s_barrier
	s_cbranch_vccnz .LBB28_25
; %bb.20:                               ;   in Loop: Header=BB28_17 Depth=2
	v_add_u32_e32 v0, s34, v37
	s_mov_b32 s36, 0
	s_mov_b64 s[28:29], 0
	v_mov_b32_e32 v1, v36
                                        ; implicit-def: $sgpr30_sgpr31
	s_branch .LBB28_22
.LBB28_21:                              ;   in Loop: Header=BB28_22 Depth=3
	s_or_b64 exec, exec, s[8:9]
	s_and_b64 s[8:9], exec, s[30:31]
	s_or_b64 s[28:29], s[8:9], s[28:29]
	s_andn2_b64 exec, exec, s[28:29]
	s_cbranch_execz .LBB28_24
.LBB28_22:                              ;   Parent Loop BB28_12 Depth=1
                                        ;     Parent Loop BB28_17 Depth=2
                                        ; =>    This Inner Loop Header: Depth=3
	v_add_u32_e32 v2, s36, v37
	v_add_u32_e32 v28, s36, v0
	v_cmp_gt_u32_e32 vcc, s22, v28
	v_cmp_gt_u32_e64 s[8:9], s39, v2
	s_and_b64 s[46:47], s[8:9], vcc
	s_or_b64 s[30:31], s[30:31], exec
	s_and_saveexec_b64 s[8:9], s[46:47]
	s_cbranch_execz .LBB28_21
; %bb.23:                               ;   in Loop: Header=BB28_22 Depth=3
	v_lshl_add_u64 v[2:3], v[28:29], 1, s[14:15]
	global_load_dwordx4 v[2:5], v[2:3], off
	s_add_i32 s36, s36, s40
	s_cmp_ge_u32 s36, s39
	s_cselect_b64 s[46:47], -1, 0
	s_andn2_b64 s[30:31], s[30:31], exec
	s_and_b64 s[46:47], s[46:47], exec
	s_or_b64 s[30:31], s[30:31], s[46:47]
	s_waitcnt vmcnt(0)
	ds_write_b128 v1, v[2:5]
	v_add_u32_e32 v1, s45, v1
	s_branch .LBB28_21
.LBB28_24:                              ;   in Loop: Header=BB28_17 Depth=2
	s_or_b64 exec, exec, s[28:29]
.LBB28_25:                              ;   in Loop: Header=BB28_17 Depth=2
	s_waitcnt lgkmcnt(0)
	s_barrier
	s_and_saveexec_b64 s[8:9], s[6:7]
	s_cbranch_execz .LBB28_16
.LBB28_26:                              ;   in Loop: Header=BB28_17 Depth=2
	v_add_u32_e32 v39, s35, v34
	v_min_u32_e32 v28, s41, v39
	v_lshl_add_u64 v[0:1], v[28:29], 1, s[12:13]
	v_add_u32_e32 v40, 0x200, v39
	v_lshl_add_u64 v[2:3], v[0:1], 0, v[30:31]
	v_lshl_add_u64 v[0:1], v[0:1], 0, v[32:33]
	v_min_u32_e32 v28, s41, v40
	global_load_dwordx4 v[16:19], v[2:3], off nt
	global_load_dwordx4 v[12:15], v[0:1], off nt
	v_lshl_add_u64 v[0:1], v[28:29], 1, s[12:13]
	s_waitcnt vmcnt(2)
	v_lshl_add_u64 v[4:5], v[0:1], 0, v[30:31]
	v_lshl_add_u64 v[6:7], v[0:1], 0, v[32:33]
	global_load_dwordx4 v[8:11], v[4:5], off nt
	global_load_dwordx4 v[0:3], v[6:7], off nt
	v_cmp_gt_u32_e32 vcc, s20, v39
	v_mov_b32_e32 v22, 0
	v_mov_b32_e32 v23, 0
	;; [unrolled: 1-line block ×8, first 2 shown]
	s_and_saveexec_b64 s[28:29], vcc
	s_cbranch_execz .LBB28_15
; %bb.27:                               ;   in Loop: Header=BB28_17 Depth=2
	v_subrev_u32_e32 v4, s34, v39
	v_lshlrev_b32_e32 v28, 1, v4
	ds_read_b128 v[20:23], v28
	v_cmp_gt_u32_e32 vcc, s20, v40
	v_mov_b32_e32 v7, 0
	v_mov_b32_e32 v6, 0
	;; [unrolled: 1-line block ×4, first 2 shown]
	s_and_saveexec_b64 s[30:31], vcc
	s_cbranch_execz .LBB28_14
; %bb.28:                               ;   in Loop: Header=BB28_17 Depth=2
	ds_read_b128 v[4:7], v28 offset:1024
	s_branch .LBB28_14
.LBB28_29:                              ;   in Loop: Header=BB28_12 Depth=1
	v_cmp_le_u32_e32 vcc, s23, v26
	s_and_saveexec_b64 s[6:7], vcc
	s_xor_b64 s[6:7], exec, s[6:7]
; %bb.30:                               ;   in Loop: Header=BB28_12 Depth=1
	v_add_u32_e32 v26, s43, v26
                                        ; implicit-def: $vgpr27
                                        ; implicit-def: $vgpr38
; %bb.31:                               ;   in Loop: Header=BB28_12 Depth=1
	s_andn2_saveexec_b64 s[8:9], s[6:7]
	s_cbranch_execz .LBB28_11
; %bb.32:                               ;   in Loop: Header=BB28_12 Depth=1
	v_cvt_i32_f32_e32 v0, v27
	v_cvt_i32_f32_e32 v1, v38
	s_nop 0
	v_cvt_f32_i32_dpp v0, v0 row_shr:8 row_mask:0xf bank_mask:0xf bound_ctrl:1
	v_cvt_f32_i32_dpp v1, v1 row_shr:8 row_mask:0xf bank_mask:0xf bound_ctrl:1
	v_add_f32_e32 v0, v27, v0
	v_add_f32_e32 v1, v38, v1
	v_cvt_i32_f32_e32 v2, v0
	v_cvt_i32_f32_e32 v3, v1
	s_nop 0
	v_cvt_f32_i32_dpp v2, v2 row_shr:4 row_mask:0xf bank_mask:0xf bound_ctrl:1
	v_cvt_f32_i32_dpp v3, v3 row_shr:4 row_mask:0xf bank_mask:0xf bound_ctrl:1
	v_add_f32_e32 v0, v0, v2
	v_add_f32_e32 v1, v1, v3
	;; [unrolled: 7-line block ×4, first 2 shown]
	v_cvt_i32_f32_e32 v2, v0
	v_cvt_i32_f32_e32 v3, v1
	s_nop 0
	v_cvt_f32_i32_dpp v2, v2 row_bcast:15 row_mask:0xf bank_mask:0xf bound_ctrl:1
	v_cvt_f32_i32_dpp v3, v3 row_bcast:15 row_mask:0xf bank_mask:0xf bound_ctrl:1
	v_add_f32_e32 v2, v0, v2
	v_add_f32_e32 v0, v1, v3
	v_cvt_i32_f32_e32 v1, v2
	s_waitcnt vmcnt(0)
	v_cvt_i32_f32_e32 v4, v0
	v_mov_b32_dpp v3, v1 row_bcast:31 row_mask:0xf bank_mask:0xf bound_ctrl:1
	s_nop 0
	v_mov_b32_dpp v1, v4 row_bcast:31 row_mask:0xf bank_mask:0xf bound_ctrl:1
	s_and_saveexec_b64 s[6:7], s[0:1]
	s_cbranch_execz .LBB28_39
; %bb.33:                               ;   in Loop: Header=BB28_12 Depth=1
	s_andn2_b64 vcc, exec, s[24:25]
	v_mov_b32_e32 v4, 0
	v_mov_b32_e32 v5, 0
	s_cbranch_vccnz .LBB28_35
; %bb.34:                               ;   in Loop: Header=BB28_12 Depth=1
	v_mul_hi_u32 v4, v26, v35
	v_mul_lo_u32 v4, v4, s38
	v_sub_u32_e32 v4, v26, v4
	v_subrev_u32_e32 v5, s38, v4
	v_cmp_le_u32_e32 vcc, s38, v4
	s_nop 1
	v_cndmask_b32_e32 v4, v4, v5, vcc
	v_subrev_u32_e32 v5, s38, v4
	v_cmp_le_u32_e32 vcc, s38, v4
	s_nop 1
	v_cndmask_b32_e32 v28, v4, v5, vcc
	v_add_u32_e32 v4, 1, v26
	v_mul_hi_u32 v5, v4, v35
	v_mul_lo_u32 v5, v5, s38
	v_sub_u32_e32 v4, v4, v5
	v_subrev_u32_e32 v5, s38, v4
	v_cmp_le_u32_e32 vcc, s38, v4
	v_lshl_add_u64 v[6:7], v[28:29], 1, s[16:17]
	s_nop 0
	v_cndmask_b32_e32 v4, v4, v5, vcc
	v_subrev_u32_e32 v5, s38, v4
	v_cmp_le_u32_e32 vcc, s38, v4
	s_nop 1
	v_cndmask_b32_e32 v28, v4, v5, vcc
	v_lshl_add_u64 v[8:9], v[28:29], 1, s[16:17]
	global_load_ushort v5, v[6:7], off
	global_load_ushort v4, v[8:9], off
.LBB28_35:                              ;   in Loop: Header=BB28_12 Depth=1
	v_cmp_ne_u32_e32 vcc, 0, v24
	s_and_saveexec_b64 s[28:29], vcc
	s_cbranch_execz .LBB28_37
; %bb.36:                               ;   in Loop: Header=BB28_12 Depth=1
	v_cvt_f32_i32_e32 v3, v3
	s_waitcnt vmcnt(1)
	v_cvt_f32_f16_e32 v5, v5
	v_mov_b32_e32 v27, v29
	v_add_f32_e32 v2, v2, v3
	v_add_f32_e32 v2, v2, v5
	v_cvt_f16_f32_e32 v5, v2
	v_lshl_add_u64 v[2:3], v[26:27], 1, s[18:19]
	global_store_short v[2:3], v5, off
.LBB28_37:                              ;   in Loop: Header=BB28_12 Depth=1
	s_or_b64 exec, exec, s[28:29]
	v_cmp_ne_u32_e32 vcc, 0, v25
	s_and_b64 exec, exec, vcc
	s_cbranch_execz .LBB28_39
; %bb.38:                               ;   in Loop: Header=BB28_12 Depth=1
	v_cvt_f32_i32_e32 v1, v1
	s_waitcnt vmcnt(0)
	v_cvt_f32_f16_e32 v2, v4
	v_mov_b32_e32 v27, v29
	v_add_f32_e32 v0, v0, v1
	v_add_f32_e32 v0, v0, v2
	v_cvt_f16_f32_e32 v2, v0
	v_lshl_add_u64 v[0:1], v[26:27], 1, s[26:27]
	global_store_short v[0:1], v2, off
.LBB28_39:                              ;   in Loop: Header=BB28_12 Depth=1
	s_or_b64 exec, exec, s[6:7]
	v_add_u32_e32 v26, s43, v26
	v_add_u32_e32 v0, 2, v26
	v_cmp_gt_u32_e32 vcc, s23, v26
	v_cmp_le_u32_e64 s[6:7], s23, v0
	s_and_b64 s[6:7], vcc, s[6:7]
	s_and_saveexec_b64 s[28:29], s[6:7]
	s_cbranch_execz .LBB28_10
; %bb.40:                               ;   in Loop: Header=BB28_12 Depth=1
	v_cmp_ne_u32_e32 vcc, s44, v26
	s_and_saveexec_b64 s[30:31], vcc
	s_cbranch_execz .LBB28_9
; %bb.41:                               ;   in Loop: Header=BB28_12 Depth=1
	v_subrev_u32_e32 v0, s44, v26
	v_cmp_lt_u32_e32 vcc, 1, v0
	s_mov_b64 s[34:35], 0
	s_mov_b64 s[36:37], 0
	v_cndmask_b32_e32 v0, 1, v0, vcc
.LBB28_42:                              ;   Parent Loop BB28_12 Depth=1
                                        ; =>  This Inner Loop Header: Depth=2
	s_cmp_lg_u32 s36, 1
	s_cselect_b64 vcc, -1, 0
	s_cmp_lg_u32 s36, 0
	v_cndmask_b32_e32 v25, 0, v25, vcc
	s_cselect_b64 vcc, -1, 0
	s_add_u32 s36, s36, 1
	s_addc_u32 s37, s37, 0
	v_cmp_eq_u32_e64 s[6:7], s36, v0
	s_or_b64 s[34:35], s[6:7], s[34:35]
	v_cndmask_b32_e32 v24, 0, v24, vcc
	s_andn2_b64 exec, exec, s[34:35]
	s_cbranch_execnz .LBB28_42
; %bb.43:                               ;   in Loop: Header=BB28_12 Depth=1
	s_or_b64 exec, exec, s[34:35]
	s_branch .LBB28_9
.LBB28_44:
	s_endpgm
	.section	.rodata,"a",@progbits
	.p2align	6, 0x0
	.amdhsa_kernel _Z16wvSplitK_hf_big_I6__halfLi64ELi2ELi16ELi8ELi2ELi1EEviiiiiiPKT_S3_S3_PS1_ii
		.amdhsa_group_segment_fixed_size 65536
		.amdhsa_private_segment_fixed_size 0
		.amdhsa_kernarg_size 64
		.amdhsa_user_sgpr_count 2
		.amdhsa_user_sgpr_dispatch_ptr 0
		.amdhsa_user_sgpr_queue_ptr 0
		.amdhsa_user_sgpr_kernarg_segment_ptr 1
		.amdhsa_user_sgpr_dispatch_id 0
		.amdhsa_user_sgpr_kernarg_preload_length 0
		.amdhsa_user_sgpr_kernarg_preload_offset 0
		.amdhsa_user_sgpr_private_segment_size 0
		.amdhsa_uses_dynamic_stack 0
		.amdhsa_enable_private_segment 0
		.amdhsa_system_sgpr_workgroup_id_x 1
		.amdhsa_system_sgpr_workgroup_id_y 0
		.amdhsa_system_sgpr_workgroup_id_z 0
		.amdhsa_system_sgpr_workgroup_info 0
		.amdhsa_system_vgpr_workitem_id 1
		.amdhsa_next_free_vgpr 41
		.amdhsa_next_free_sgpr 48
		.amdhsa_accum_offset 44
		.amdhsa_reserve_vcc 1
		.amdhsa_float_round_mode_32 0
		.amdhsa_float_round_mode_16_64 0
		.amdhsa_float_denorm_mode_32 3
		.amdhsa_float_denorm_mode_16_64 3
		.amdhsa_dx10_clamp 1
		.amdhsa_ieee_mode 1
		.amdhsa_fp16_overflow 0
		.amdhsa_tg_split 0
		.amdhsa_exception_fp_ieee_invalid_op 0
		.amdhsa_exception_fp_denorm_src 0
		.amdhsa_exception_fp_ieee_div_zero 0
		.amdhsa_exception_fp_ieee_overflow 0
		.amdhsa_exception_fp_ieee_underflow 0
		.amdhsa_exception_fp_ieee_inexact 0
		.amdhsa_exception_int_div_zero 0
	.end_amdhsa_kernel
	.section	.text._Z16wvSplitK_hf_big_I6__halfLi64ELi2ELi16ELi8ELi2ELi1EEviiiiiiPKT_S3_S3_PS1_ii,"axG",@progbits,_Z16wvSplitK_hf_big_I6__halfLi64ELi2ELi16ELi8ELi2ELi1EEviiiiiiPKT_S3_S3_PS1_ii,comdat
.Lfunc_end28:
	.size	_Z16wvSplitK_hf_big_I6__halfLi64ELi2ELi16ELi8ELi2ELi1EEviiiiiiPKT_S3_S3_PS1_ii, .Lfunc_end28-_Z16wvSplitK_hf_big_I6__halfLi64ELi2ELi16ELi8ELi2ELi1EEviiiiiiPKT_S3_S3_PS1_ii
                                        ; -- End function
	.section	.AMDGPU.csdata,"",@progbits
; Kernel info:
; codeLenInByte = 1944
; NumSgprs: 54
; NumVgprs: 41
; NumAgprs: 0
; TotalNumVgprs: 41
; ScratchSize: 0
; MemoryBound: 0
; FloatMode: 240
; IeeeMode: 1
; LDSByteSize: 65536 bytes/workgroup (compile time only)
; SGPRBlocks: 6
; VGPRBlocks: 5
; NumSGPRsForWavesPerEU: 54
; NumVGPRsForWavesPerEU: 41
; AccumOffset: 44
; Occupancy: 4
; WaveLimiterHint : 0
; COMPUTE_PGM_RSRC2:SCRATCH_EN: 0
; COMPUTE_PGM_RSRC2:USER_SGPR: 2
; COMPUTE_PGM_RSRC2:TRAP_HANDLER: 0
; COMPUTE_PGM_RSRC2:TGID_X_EN: 1
; COMPUTE_PGM_RSRC2:TGID_Y_EN: 0
; COMPUTE_PGM_RSRC2:TGID_Z_EN: 0
; COMPUTE_PGM_RSRC2:TIDIG_COMP_CNT: 1
; COMPUTE_PGM_RSRC3_GFX90A:ACCUM_OFFSET: 10
; COMPUTE_PGM_RSRC3_GFX90A:TG_SPLIT: 0
	.section	.text._Z16wvSplitK_hf_sml_I6__halfLi64ELi3ELi16ELi8ELi2ELi1EEviiiiiiPKT_S3_S3_PS1_ii,"axG",@progbits,_Z16wvSplitK_hf_sml_I6__halfLi64ELi3ELi16ELi8ELi2ELi1EEviiiiiiPKT_S3_S3_PS1_ii,comdat
	.protected	_Z16wvSplitK_hf_sml_I6__halfLi64ELi3ELi16ELi8ELi2ELi1EEviiiiiiPKT_S3_S3_PS1_ii ; -- Begin function _Z16wvSplitK_hf_sml_I6__halfLi64ELi3ELi16ELi8ELi2ELi1EEviiiiiiPKT_S3_S3_PS1_ii
	.globl	_Z16wvSplitK_hf_sml_I6__halfLi64ELi3ELi16ELi8ELi2ELi1EEviiiiiiPKT_S3_S3_PS1_ii
	.p2align	8
	.type	_Z16wvSplitK_hf_sml_I6__halfLi64ELi3ELi16ELi8ELi2ELi1EEviiiiiiPKT_S3_S3_PS1_ii,@function
_Z16wvSplitK_hf_sml_I6__halfLi64ELi3ELi16ELi8ELi2ELi1EEviiiiiiPKT_S3_S3_PS1_ii: ; @_Z16wvSplitK_hf_sml_I6__halfLi64ELi3ELi16ELi8ELi2ELi1EEviiiiiiPKT_S3_S3_PS1_ii
; %bb.0:
	s_load_dwordx4 s[4:7], s[0:1], 0x0
	s_load_dword s22, s[0:1], 0x10
	s_load_dwordx2 s[8:9], s[0:1], 0x28
	v_and_b32_e32 v2, 0x3ff, v0
	v_bfe_u32 v3, v0, 10, 10
	v_lshlrev_b32_e32 v46, 3, v2
	v_lshl_add_u32 v4, v3, 9, v46
	s_waitcnt lgkmcnt(0)
	s_min_u32 s3, s6, 0x8000
	v_cmp_gt_u32_e32 vcc, s3, v4
	s_and_saveexec_b64 s[10:11], vcc
	s_cbranch_execz .LBB29_3
; %bb.1:
	s_load_dwordx2 s[12:13], s[0:1], 0x20
	v_mov_b32_e32 v7, 0
	v_lshlrev_b32_e32 v6, 10, v3
	v_lshlrev_b32_e32 v8, 4, v2
	v_mov_b32_e32 v9, v7
	v_lshl_add_u64 v[0:1], v[6:7], 0, v[8:9]
	s_waitcnt lgkmcnt(0)
	v_lshl_add_u64 v[0:1], s[12:13], 0, v[0:1]
	v_add_u32_e32 v5, v6, v8
	s_mov_b64 s[12:13], 0
	s_mov_b64 s[14:15], 0x4000
.LBB29_2:                               ; =>This Inner Loop Header: Depth=1
	global_load_dwordx4 v[6:9], v[0:1], off
	v_add_u32_e32 v4, 0x2000, v4
	v_cmp_le_u32_e32 vcc, s3, v4
	v_lshl_add_u64 v[0:1], v[0:1], 0, s[14:15]
	s_or_b64 s[12:13], vcc, s[12:13]
	s_waitcnt vmcnt(0)
	ds_write_b128 v5, v[6:9]
	v_add_u32_e32 v5, 0x4000, v5
	s_andn2_b64 exec, exec, s[12:13]
	s_cbranch_execnz .LBB29_2
.LBB29_3:
	s_or_b64 exec, exec, s[10:11]
	s_load_dwordx2 s[14:15], s[0:1], 0x38
	s_waitcnt lgkmcnt(0)
	s_barrier
	v_cmp_gt_u32_e32 vcc, s14, v3
	s_and_saveexec_b64 s[10:11], vcc
	s_cbranch_execz .LBB29_20
; %bb.4:
	s_mul_i32 s2, s2, s14
	v_add_u32_e32 v0, s2, v3
	v_lshl_add_u32 v32, v0, 1, v0
	v_cmp_gt_u32_e32 vcc, s7, v32
	s_and_b64 exec, exec, vcc
	s_cbranch_execz .LBB29_20
; %bb.5:
	v_cvt_f32_u32_e32 v0, s22
	s_cmp_lg_u32 s4, 0
	s_cselect_b64 s[2:3], -1, 0
	s_add_i32 s6, s4, -8
	v_rcp_iflag_f32_e32 v0, v0
	s_add_i32 s23, s7, -1
	s_cmp_lg_u64 s[8:9], 0
	s_load_dwordx2 s[10:11], s[0:1], 0x18
	s_load_dwordx2 s[12:13], s[0:1], 0x30
	v_mul_f32_e32 v0, 0x4f7ffffe, v0
	v_cvt_u32_f32_e32 v0, v0
	s_cselect_b64 s[16:17], -1, 0
	s_sub_i32 s18, 0, s22
	s_mul_i32 s24, s14, s15
	v_mul_lo_u32 v1, s18, v0
	v_mul_hi_u32 v1, v0, v1
	v_add_u32_e32 v47, v0, v1
	v_cndmask_b32_e64 v0, 0, 1, s[2:3]
	v_cmp_eq_u32_e64 s[0:1], 63, v2
	s_mov_b64 s[14:15], 0
	s_mul_i32 s24, s24, 3
	v_lshlrev_b32_e32 v48, 4, v2
	v_cmp_ne_u32_e64 s[2:3], 1, v0
	v_mov_b32_e32 v35, 0
	s_branch .LBB29_8
.LBB29_6:                               ;   in Loop: Header=BB29_8 Depth=1
	v_cvt_f32_i32_e32 v5, v5
	s_waitcnt vmcnt(2)
	v_cvt_f32_f16_e32 v8, v8
	v_cvt_f32_i32_e32 v3, v3
	v_cvt_f32_i32_e32 v4, v4
	v_add_f32_e32 v0, v0, v5
	v_add_f32_e32 v0, v0, v8
	;; [unrolled: 1-line block ×3, first 2 shown]
	v_cvt_f16_f32_e32 v3, v0
	s_waitcnt vmcnt(1)
	v_cvt_f32_f16_e32 v5, v7
	s_waitcnt vmcnt(0)
	v_cvt_f32_f16_e32 v6, v6
	v_add_f32_e32 v4, v1, v4
	s_waitcnt lgkmcnt(0)
	v_lshl_add_u64 v[0:1], v[32:33], 1, s[12:13]
	global_store_short v[0:1], v3, off
	v_add_f32_e32 v0, v4, v5
	v_cvt_f16_f32_e32 v3, v0
	v_add_f32_e32 v0, v2, v6
	v_cvt_f16_f32_e32 v2, v0
	v_lshl_add_u64 v[0:1], v[38:39], 1, s[12:13]
	global_store_short v[0:1], v3, off
	v_lshl_add_u64 v[0:1], v[36:37], 1, s[12:13]
	global_store_short v[0:1], v2, off
.LBB29_7:                               ;   in Loop: Header=BB29_8 Depth=1
	s_or_b64 exec, exec, s[18:19]
	v_add_u32_e32 v32, s24, v32
	v_cmp_le_u32_e32 vcc, s7, v32
	s_or_b64 s[14:15], vcc, s[14:15]
	s_andn2_b64 exec, exec, s[14:15]
	s_cbranch_execz .LBB29_20
.LBB29_8:                               ; =>This Loop Header: Depth=1
                                        ;     Child Loop BB29_12 Depth 2
	s_mov_b32 s25, 0
	s_and_b64 vcc, exec, s[2:3]
	v_add_u32_e32 v38, 1, v32
	v_add_u32_e32 v36, 2, v32
	v_mov_b32_e32 v39, v35
	v_mov_b32_e32 v37, v35
	;; [unrolled: 1-line block ×3, first 2 shown]
	s_cbranch_vccnz .LBB29_15
; %bb.9:                                ;   in Loop: Header=BB29_8 Depth=1
	v_min_u32_e32 v0, s23, v32
	v_mul_lo_u32 v34, v0, s5
	v_min_u32_e32 v0, s23, v38
	v_min_u32_e32 v2, s23, v36
	v_mul_lo_u32 v0, v0, s5
	v_mov_b32_e32 v1, v35
	v_mul_lo_u32 v2, v2, s5
	v_mov_b32_e32 v3, v35
	v_mov_b32_e32 v33, 0
	v_lshlrev_b64 v[40:41], 1, v[34:35]
	v_lshlrev_b64 v[42:43], 1, v[0:1]
	v_lshlrev_b64 v[44:45], 1, v[2:3]
	v_mov_b32_e32 v49, v48
	v_mov_b32_e32 v37, 0
	;; [unrolled: 1-line block ×3, first 2 shown]
	s_branch .LBB29_12
.LBB29_10:                              ;   in Loop: Header=BB29_12 Depth=2
	s_or_b64 exec, exec, s[20:21]
.LBB29_11:                              ;   in Loop: Header=BB29_12 Depth=2
	s_or_b64 exec, exec, s[18:19]
	s_waitcnt vmcnt(5) lgkmcnt(0)
	;;#ASMSTART
	v_dot2c_f32_f16 v39, v28, v24
	;;#ASMEND
	s_waitcnt vmcnt(4)
	;;#ASMSTART
	v_dot2c_f32_f16 v37, v28, v20
	;;#ASMEND
	s_waitcnt vmcnt(3)
	;;#ASMSTART
	v_dot2c_f32_f16 v33, v28, v16
	;;#ASMEND
	s_addk_i32 s25, 0x400
	;;#ASMSTART
	v_dot2c_f32_f16 v39, v29, v25
	;;#ASMEND
	;;#ASMSTART
	v_dot2c_f32_f16 v37, v29, v21
	;;#ASMEND
	;; [unrolled: 3-line block ×3, first 2 shown]
	s_cmp_ge_u32 s25, s4
	;;#ASMSTART
	v_dot2c_f32_f16 v39, v30, v26
	;;#ASMEND
	;;#ASMSTART
	v_dot2c_f32_f16 v37, v30, v22
	;;#ASMEND
	;; [unrolled: 3-line block ×3, first 2 shown]
	v_add_u32_e32 v49, 0x800, v49
	;;#ASMSTART
	v_dot2c_f32_f16 v39, v31, v27
	;;#ASMEND
	;;#ASMSTART
	v_dot2c_f32_f16 v37, v31, v23
	;;#ASMEND
	;; [unrolled: 3-line block ×3, first 2 shown]
	s_waitcnt vmcnt(2)
	;;#ASMSTART
	v_dot2c_f32_f16 v39, v8, v12
	;;#ASMEND
	s_waitcnt vmcnt(1)
	;;#ASMSTART
	v_dot2c_f32_f16 v37, v8, v4
	;;#ASMEND
	;; [unrolled: 4-line block ×3, first 2 shown]
	;;#ASMSTART
	v_dot2c_f32_f16 v39, v9, v13
	;;#ASMEND
	;;#ASMSTART
	v_dot2c_f32_f16 v37, v9, v5
	;;#ASMEND
	s_nop 0
	;;#ASMSTART
	v_dot2c_f32_f16 v33, v9, v1
	;;#ASMEND
	;;#ASMSTART
	v_dot2c_f32_f16 v39, v10, v14
	;;#ASMEND
	;;#ASMSTART
	v_dot2c_f32_f16 v37, v10, v6
	;;#ASMEND
	s_nop 0
	;;#ASMSTART
	v_dot2c_f32_f16 v33, v10, v2
	;;#ASMEND
	;; [unrolled: 10-line block ×3, first 2 shown]
	s_cbranch_scc1 .LBB29_15
.LBB29_12:                              ;   Parent Loop BB29_8 Depth=1
                                        ; =>  This Inner Loop Header: Depth=2
	v_add_u32_e32 v28, s25, v46
	v_min_u32_e32 v34, s6, v28
	s_waitcnt lgkmcnt(0)
	v_lshl_add_u64 v[0:1], v[34:35], 1, s[10:11]
	v_add_u32_e32 v50, 0x200, v28
	v_lshl_add_u64 v[2:3], v[0:1], 0, v[40:41]
	v_min_u32_e32 v34, s6, v50
	v_lshl_add_u64 v[4:5], v[0:1], 0, v[42:43]
	global_load_dwordx4 v[24:27], v[2:3], off nt
	global_load_dwordx4 v[20:23], v[4:5], off nt
	v_lshl_add_u64 v[2:3], v[34:35], 1, s[10:11]
	v_lshl_add_u64 v[0:1], v[0:1], 0, v[44:45]
	;; [unrolled: 1-line block ×4, first 2 shown]
	global_load_dwordx4 v[16:19], v[0:1], off nt
	global_load_dwordx4 v[12:15], v[4:5], off nt
	v_lshl_add_u64 v[10:11], v[2:3], 0, v[44:45]
	global_load_dwordx4 v[4:7], v[8:9], off nt
	global_load_dwordx4 v[0:3], v[10:11], off nt
	v_cmp_gt_u32_e32 vcc, s4, v28
	v_mov_b32_e32 v30, 0
	v_mov_b32_e32 v31, 0
	;; [unrolled: 1-line block ×8, first 2 shown]
	s_and_saveexec_b64 s[18:19], vcc
	s_cbranch_execz .LBB29_11
; %bb.13:                               ;   in Loop: Header=BB29_12 Depth=2
	ds_read_b128 v[28:31], v49
	v_cmp_gt_u32_e32 vcc, s4, v50
	v_mov_b32_e32 v11, 0
	v_mov_b32_e32 v10, 0
	;; [unrolled: 1-line block ×4, first 2 shown]
	s_and_saveexec_b64 s[20:21], vcc
	s_cbranch_execz .LBB29_10
; %bb.14:                               ;   in Loop: Header=BB29_12 Depth=2
	ds_read_b128 v[8:11], v49 offset:1024
	s_branch .LBB29_10
.LBB29_15:                              ;   in Loop: Header=BB29_8 Depth=1
	; sched_barrier mask(0x00000000)
	v_cvt_i32_f32_e32 v0, v39
	v_cvt_i32_f32_e32 v1, v37
	v_cvt_i32_f32_e32 v2, v33
	v_cvt_f32_i32_dpp v0, v0 row_shr:8 row_mask:0xf bank_mask:0xf bound_ctrl:1
	v_cvt_f32_i32_dpp v1, v1 row_shr:8 row_mask:0xf bank_mask:0xf bound_ctrl:1
	v_cvt_f32_i32_dpp v2, v2 row_shr:8 row_mask:0xf bank_mask:0xf bound_ctrl:1
	v_add_f32_e32 v0, v39, v0
	v_add_f32_e32 v1, v37, v1
	v_add_f32_e32 v2, v33, v2
	v_cvt_i32_f32_e32 v3, v0
	v_cvt_i32_f32_e32 v4, v1
	v_cvt_i32_f32_e32 v5, v2
	v_cvt_f32_i32_dpp v3, v3 row_shr:4 row_mask:0xf bank_mask:0xf bound_ctrl:1
	v_cvt_f32_i32_dpp v4, v4 row_shr:4 row_mask:0xf bank_mask:0xf bound_ctrl:1
	v_cvt_f32_i32_dpp v5, v5 row_shr:4 row_mask:0xf bank_mask:0xf bound_ctrl:1
	v_add_f32_e32 v0, v0, v3
	v_add_f32_e32 v1, v1, v4
	v_add_f32_e32 v2, v2, v5
	;; [unrolled: 9-line block ×4, first 2 shown]
	v_cvt_i32_f32_e32 v3, v0
	v_cvt_i32_f32_e32 v4, v1
	;; [unrolled: 1-line block ×3, first 2 shown]
	v_cvt_f32_i32_dpp v3, v3 row_bcast:15 row_mask:0xf bank_mask:0xf bound_ctrl:1
	v_cvt_f32_i32_dpp v4, v4 row_bcast:15 row_mask:0xf bank_mask:0xf bound_ctrl:1
	;; [unrolled: 1-line block ×3, first 2 shown]
	v_add_f32_e32 v0, v0, v3
	v_add_f32_e32 v1, v1, v4
	;; [unrolled: 1-line block ×3, first 2 shown]
	v_cvt_i32_f32_e32 v3, v0
	v_cvt_i32_f32_e32 v4, v1
	;; [unrolled: 1-line block ×3, first 2 shown]
	v_mov_b32_dpp v5, v3 row_bcast:31 row_mask:0xf bank_mask:0xf bound_ctrl:1
	v_mov_b32_dpp v4, v4 row_bcast:31 row_mask:0xf bank_mask:0xf bound_ctrl:1
	;; [unrolled: 1-line block ×3, first 2 shown]
	s_and_saveexec_b64 s[18:19], s[0:1]
	s_cbranch_execz .LBB29_7
; %bb.16:                               ;   in Loop: Header=BB29_8 Depth=1
	s_and_b64 vcc, exec, s[16:17]
	s_cbranch_vccz .LBB29_18
; %bb.17:                               ;   in Loop: Header=BB29_8 Depth=1
	v_mul_hi_u32 v6, v32, v47
	v_mul_lo_u32 v6, v6, s22
	v_sub_u32_e32 v6, v32, v6
	v_subrev_u32_e32 v7, s22, v6
	v_cmp_le_u32_e32 vcc, s22, v6
	v_mov_b32_e32 v33, v35
	v_mov_b32_e32 v39, v35
	v_cndmask_b32_e32 v6, v6, v7, vcc
	v_subrev_u32_e32 v7, s22, v6
	v_cmp_le_u32_e32 vcc, s22, v6
	v_mov_b32_e32 v37, v35
	s_nop 0
	v_cndmask_b32_e32 v34, v6, v7, vcc
	v_mul_hi_u32 v6, v38, v47
	v_mul_lo_u32 v6, v6, s22
	v_sub_u32_e32 v6, v38, v6
	v_subrev_u32_e32 v7, s22, v6
	v_cmp_le_u32_e32 vcc, s22, v6
	v_lshl_add_u64 v[10:11], v[34:35], 1, s[8:9]
	s_nop 0
	v_cndmask_b32_e32 v6, v6, v7, vcc
	v_subrev_u32_e32 v7, s22, v6
	v_cmp_le_u32_e32 vcc, s22, v6
	s_nop 1
	v_cndmask_b32_e32 v34, v6, v7, vcc
	v_mul_hi_u32 v6, v36, v47
	v_mul_lo_u32 v6, v6, s22
	v_sub_u32_e32 v6, v36, v6
	v_subrev_u32_e32 v7, s22, v6
	v_cmp_le_u32_e32 vcc, s22, v6
	v_lshl_add_u64 v[12:13], v[34:35], 1, s[8:9]
	s_nop 0
	v_cndmask_b32_e32 v6, v6, v7, vcc
	v_subrev_u32_e32 v7, s22, v6
	v_cmp_le_u32_e32 vcc, s22, v6
	s_nop 1
	v_cndmask_b32_e32 v34, v6, v7, vcc
	v_lshl_add_u64 v[14:15], v[34:35], 1, s[8:9]
	global_load_ushort v8, v[10:11], off
	global_load_ushort v7, v[12:13], off
	;; [unrolled: 1-line block ×3, first 2 shown]
	s_cbranch_execnz .LBB29_6
	s_branch .LBB29_19
.LBB29_18:                              ;   in Loop: Header=BB29_8 Depth=1
                                        ; implicit-def: $vgpr6
                                        ; implicit-def: $vgpr7
                                        ; implicit-def: $vgpr8
.LBB29_19:                              ;   in Loop: Header=BB29_8 Depth=1
	v_mov_b32_e32 v33, v35
	v_mov_b32_e32 v39, v35
	;; [unrolled: 1-line block ×3, first 2 shown]
	s_waitcnt vmcnt(2)
	v_mov_b32_e32 v8, 0
	s_waitcnt vmcnt(1)
	v_mov_b32_e32 v7, 0
	;; [unrolled: 2-line block ×3, first 2 shown]
	s_branch .LBB29_6
.LBB29_20:
	s_endpgm
	.section	.rodata,"a",@progbits
	.p2align	6, 0x0
	.amdhsa_kernel _Z16wvSplitK_hf_sml_I6__halfLi64ELi3ELi16ELi8ELi2ELi1EEviiiiiiPKT_S3_S3_PS1_ii
		.amdhsa_group_segment_fixed_size 65536
		.amdhsa_private_segment_fixed_size 0
		.amdhsa_kernarg_size 64
		.amdhsa_user_sgpr_count 2
		.amdhsa_user_sgpr_dispatch_ptr 0
		.amdhsa_user_sgpr_queue_ptr 0
		.amdhsa_user_sgpr_kernarg_segment_ptr 1
		.amdhsa_user_sgpr_dispatch_id 0
		.amdhsa_user_sgpr_kernarg_preload_length 0
		.amdhsa_user_sgpr_kernarg_preload_offset 0
		.amdhsa_user_sgpr_private_segment_size 0
		.amdhsa_uses_dynamic_stack 0
		.amdhsa_enable_private_segment 0
		.amdhsa_system_sgpr_workgroup_id_x 1
		.amdhsa_system_sgpr_workgroup_id_y 0
		.amdhsa_system_sgpr_workgroup_id_z 0
		.amdhsa_system_sgpr_workgroup_info 0
		.amdhsa_system_vgpr_workitem_id 1
		.amdhsa_next_free_vgpr 51
		.amdhsa_next_free_sgpr 26
		.amdhsa_accum_offset 52
		.amdhsa_reserve_vcc 1
		.amdhsa_float_round_mode_32 0
		.amdhsa_float_round_mode_16_64 0
		.amdhsa_float_denorm_mode_32 3
		.amdhsa_float_denorm_mode_16_64 3
		.amdhsa_dx10_clamp 1
		.amdhsa_ieee_mode 1
		.amdhsa_fp16_overflow 0
		.amdhsa_tg_split 0
		.amdhsa_exception_fp_ieee_invalid_op 0
		.amdhsa_exception_fp_denorm_src 0
		.amdhsa_exception_fp_ieee_div_zero 0
		.amdhsa_exception_fp_ieee_overflow 0
		.amdhsa_exception_fp_ieee_underflow 0
		.amdhsa_exception_fp_ieee_inexact 0
		.amdhsa_exception_int_div_zero 0
	.end_amdhsa_kernel
	.section	.text._Z16wvSplitK_hf_sml_I6__halfLi64ELi3ELi16ELi8ELi2ELi1EEviiiiiiPKT_S3_S3_PS1_ii,"axG",@progbits,_Z16wvSplitK_hf_sml_I6__halfLi64ELi3ELi16ELi8ELi2ELi1EEviiiiiiPKT_S3_S3_PS1_ii,comdat
.Lfunc_end29:
	.size	_Z16wvSplitK_hf_sml_I6__halfLi64ELi3ELi16ELi8ELi2ELi1EEviiiiiiPKT_S3_S3_PS1_ii, .Lfunc_end29-_Z16wvSplitK_hf_sml_I6__halfLi64ELi3ELi16ELi8ELi2ELi1EEviiiiiiPKT_S3_S3_PS1_ii
                                        ; -- End function
	.section	.AMDGPU.csdata,"",@progbits
; Kernel info:
; codeLenInByte = 1696
; NumSgprs: 32
; NumVgprs: 51
; NumAgprs: 0
; TotalNumVgprs: 51
; ScratchSize: 0
; MemoryBound: 0
; FloatMode: 240
; IeeeMode: 1
; LDSByteSize: 65536 bytes/workgroup (compile time only)
; SGPRBlocks: 3
; VGPRBlocks: 6
; NumSGPRsForWavesPerEU: 32
; NumVGPRsForWavesPerEU: 51
; AccumOffset: 52
; Occupancy: 4
; WaveLimiterHint : 0
; COMPUTE_PGM_RSRC2:SCRATCH_EN: 0
; COMPUTE_PGM_RSRC2:USER_SGPR: 2
; COMPUTE_PGM_RSRC2:TRAP_HANDLER: 0
; COMPUTE_PGM_RSRC2:TGID_X_EN: 1
; COMPUTE_PGM_RSRC2:TGID_Y_EN: 0
; COMPUTE_PGM_RSRC2:TGID_Z_EN: 0
; COMPUTE_PGM_RSRC2:TIDIG_COMP_CNT: 1
; COMPUTE_PGM_RSRC3_GFX90A:ACCUM_OFFSET: 12
; COMPUTE_PGM_RSRC3_GFX90A:TG_SPLIT: 0
	.section	.text._Z12wvSplitK_hf_I6__halfLi64ELi3ELi16ELi8ELi2ELi1EEviiiiiiPKT_S3_S3_PS1_ii,"axG",@progbits,_Z12wvSplitK_hf_I6__halfLi64ELi3ELi16ELi8ELi2ELi1EEviiiiiiPKT_S3_S3_PS1_ii,comdat
	.protected	_Z12wvSplitK_hf_I6__halfLi64ELi3ELi16ELi8ELi2ELi1EEviiiiiiPKT_S3_S3_PS1_ii ; -- Begin function _Z12wvSplitK_hf_I6__halfLi64ELi3ELi16ELi8ELi2ELi1EEviiiiiiPKT_S3_S3_PS1_ii
	.globl	_Z12wvSplitK_hf_I6__halfLi64ELi3ELi16ELi8ELi2ELi1EEviiiiiiPKT_S3_S3_PS1_ii
	.p2align	8
	.type	_Z12wvSplitK_hf_I6__halfLi64ELi3ELi16ELi8ELi2ELi1EEviiiiiiPKT_S3_S3_PS1_ii,@function
_Z12wvSplitK_hf_I6__halfLi64ELi3ELi16ELi8ELi2ELi1EEviiiiiiPKT_S3_S3_PS1_ii: ; @_Z12wvSplitK_hf_I6__halfLi64ELi3ELi16ELi8ELi2ELi1EEviiiiiiPKT_S3_S3_PS1_ii
; %bb.0:
	s_load_dwordx2 s[18:19], s[0:1], 0x38
	s_load_dwordx4 s[8:11], s[0:1], 0x0
	s_load_dword s33, s[0:1], 0x10
	v_bfe_u32 v3, v0, 10, 10
	s_mov_b32 s4, 1
	s_waitcnt lgkmcnt(0)
	s_mul_i32 s2, s2, s18
	v_add_u32_e32 v1, s2, v3
	v_lshl_add_u32 v36, v1, 1, v1
	v_add_u32_e32 v1, 3, v36
	s_mov_b32 s6, s4
	v_cmp_gt_u32_e32 vcc, s11, v36
	v_cmp_le_u32_e64 s[2:3], s11, v1
	s_mov_b32 s5, s4
	v_mov_b32_e32 v34, s6
	s_and_b64 s[12:13], vcc, s[2:3]
	v_mov_b32_e32 v33, s5
	v_mov_b32_e32 v32, s4
	s_and_saveexec_b64 s[2:3], s[12:13]
	s_cbranch_execz .LBB30_6
; %bb.1:
	s_add_i32 s7, s11, -3
	v_mov_b32_e32 v34, s6
	v_cmp_ne_u32_e32 vcc, s7, v36
	v_mov_b32_e32 v33, s5
	v_mov_b32_e32 v32, s4
	s_and_saveexec_b64 s[12:13], vcc
	s_cbranch_execz .LBB30_5
; %bb.2:
	v_subrev_u32_e32 v1, s7, v36
	v_cmp_lt_u32_e32 vcc, 1, v1
	s_mov_b64 s[14:15], 0
	s_mov_b64 s[16:17], 0
	v_cndmask_b32_e32 v2, 1, v1, vcc
	s_mov_b32 s5, s4
	s_mov_b32 s6, s4
.LBB30_3:                               ; =>This Inner Loop Header: Depth=1
	s_cmp_lg_u32 s16, 2
	s_cselect_b32 s6, s6, 0
	s_cmp_lg_u32 s16, 1
	s_cselect_b32 s5, s5, 0
	s_cmp_lg_u32 s16, 0
	s_cselect_b32 s4, s4, 0
	s_add_u32 s16, s16, 1
	s_addc_u32 s17, s17, 0
	v_cmp_eq_u32_e32 vcc, s16, v2
	v_mov_b32_e32 v34, s6
	s_or_b64 s[14:15], vcc, s[14:15]
	v_mov_b32_e32 v33, s5
	v_mov_b32_e32 v32, s4
	s_andn2_b64 exec, exec, s[14:15]
	s_cbranch_execnz .LBB30_3
; %bb.4:
	s_or_b64 exec, exec, s[14:15]
	v_mov_b32_e32 v36, s7
.LBB30_5:
	s_or_b64 exec, exec, s[12:13]
.LBB30_6:
	s_or_b64 exec, exec, s[2:3]
	s_load_dwordx4 s[12:15], s[0:1], 0x20
	v_and_b32_e32 v2, 0x3ff, v0
	v_lshlrev_b32_e32 v35, 3, v2
	v_lshl_add_u32 v4, v3, 9, v35
	s_min_u32 s10, s10, 0x8000
	v_cmp_gt_u32_e32 vcc, s10, v4
	s_and_saveexec_b64 s[2:3], vcc
	s_cbranch_execz .LBB30_9
; %bb.7:
	v_mov_b32_e32 v7, 0
	v_lshlrev_b32_e32 v6, 10, v3
	v_lshlrev_b32_e32 v8, 4, v2
	v_mov_b32_e32 v9, v7
	v_lshl_add_u64 v[0:1], v[6:7], 0, v[8:9]
	s_waitcnt lgkmcnt(0)
	v_lshl_add_u64 v[0:1], s[12:13], 0, v[0:1]
	v_add_u32_e32 v5, v6, v8
	s_mov_b64 s[4:5], 0
	s_mov_b64 s[6:7], 0x4000
.LBB30_8:                               ; =>This Inner Loop Header: Depth=1
	global_load_dwordx4 v[6:9], v[0:1], off
	v_add_u32_e32 v4, 0x2000, v4
	v_cmp_le_u32_e32 vcc, s10, v4
	v_lshl_add_u64 v[0:1], v[0:1], 0, s[6:7]
	s_or_b64 s[4:5], vcc, s[4:5]
	s_waitcnt vmcnt(0)
	ds_write_b128 v5, v[6:9]
	v_add_u32_e32 v5, 0x4000, v5
	s_andn2_b64 exec, exec, s[4:5]
	s_cbranch_execnz .LBB30_8
.LBB30_9:
	s_or_b64 exec, exec, s[2:3]
	v_cmp_gt_u32_e32 vcc, s18, v3
	v_cmp_gt_u32_e64 s[2:3], s11, v36
	s_and_b64 s[2:3], vcc, s[2:3]
	s_waitcnt lgkmcnt(0)
	s_barrier
	s_and_saveexec_b64 s[4:5], s[2:3]
	s_cbranch_execz .LBB30_42
; %bb.10:
	v_cvt_f32_u32_e32 v0, s33
	s_cmp_lg_u32 s8, 0
	s_cselect_b64 s[2:3], -1, 0
	s_add_i32 s10, s8, -8
	v_rcp_iflag_f32_e32 v0, v0
	s_add_i32 s34, s11, -1
	s_cmp_lg_u64 s[14:15], 0
	s_load_dwordx2 s[6:7], s[0:1], 0x18
	s_load_dwordx2 s[16:17], s[0:1], 0x30
	v_mul_f32_e32 v0, 0x4f7ffffe, v0
	v_cvt_u32_f32_e32 v0, v0
	s_cselect_b64 s[20:21], -1, 0
	s_sub_i32 s4, 0, s33
	s_mul_i32 s35, s18, s19
	v_mul_lo_u32 v1, s4, v0
	v_mul_hi_u32 v1, v0, v1
	v_add_u32_e32 v54, v0, v1
	v_cndmask_b32_e64 v0, 0, 1, s[2:3]
	v_cmp_eq_u32_e64 s[0:1], 63, v2
	s_mov_b64 s[18:19], 0
	s_mul_i32 s35, s35, 3
	s_add_i32 s36, s11, -3
	v_mov_b32_e32 v39, 0
	v_lshlrev_b32_e32 v55, 4, v2
	v_cmp_ne_u32_e64 s[2:3], 1, v0
	s_movk_i32 s37, 0x7fff
	s_mov_b32 s22, 0
	s_branch .LBB30_13
.LBB30_11:                              ;   in Loop: Header=BB30_13 Depth=1
	s_or_b64 exec, exec, s[26:27]
	v_mov_b32_e32 v36, s36
.LBB30_12:                              ;   in Loop: Header=BB30_13 Depth=1
	s_or_b64 exec, exec, s[24:25]
	v_cmp_le_u32_e32 vcc, s11, v36
	s_or_b64 s[18:19], vcc, s[18:19]
	s_andn2_b64 exec, exec, s[18:19]
	s_cbranch_execz .LBB30_42
.LBB30_13:                              ; =>This Loop Header: Depth=1
                                        ;     Child Loop BB30_18 Depth 2
                                        ;     Child Loop BB30_38 Depth 2
	s_and_b64 vcc, exec, s[2:3]
	v_add_u32_e32 v42, 1, v36
	v_add_u32_e32 v40, 2, v36
	v_mov_b32_e32 v43, v39
	v_mov_b32_e32 v41, v39
	;; [unrolled: 1-line block ×3, first 2 shown]
	s_cbranch_vccnz .LBB30_28
; %bb.14:                               ;   in Loop: Header=BB30_13 Depth=1
	v_min_u32_e32 v0, s34, v36
	v_mul_lo_u32 v38, v0, s9
	v_min_u32_e32 v0, s34, v42
	v_min_u32_e32 v2, s34, v40
	v_mul_lo_u32 v0, v0, s9
	v_mov_b32_e32 v1, v39
	v_mul_lo_u32 v2, v2, s9
	v_mov_b32_e32 v3, v39
	v_mov_b32_e32 v37, 0
	v_lshlrev_b64 v[44:45], 1, v[38:39]
	v_lshlrev_b64 v[46:47], 1, v[0:1]
	;; [unrolled: 1-line block ×3, first 2 shown]
	v_mov_b32_e32 v56, v55
	v_mov_b32_e32 v41, 0
	;; [unrolled: 1-line block ×3, first 2 shown]
	s_mov_b32 s28, s22
	s_branch .LBB30_18
.LBB30_15:                              ;   in Loop: Header=BB30_18 Depth=2
	s_or_b64 exec, exec, s[26:27]
.LBB30_16:                              ;   in Loop: Header=BB30_18 Depth=2
	s_or_b64 exec, exec, s[24:25]
.LBB30_17:                              ;   in Loop: Header=BB30_18 Depth=2
	s_or_b64 exec, exec, s[4:5]
	s_waitcnt vmcnt(0) lgkmcnt(0)
	;;#ASMSTART
	v_dot2c_f32_f16 v43, v24, v20
	;;#ASMEND
	;;#ASMSTART
	v_dot2c_f32_f16 v41, v24, v16
	;;#ASMEND
	;; [unrolled: 3-line block ×3, first 2 shown]
	s_addk_i32 s28, 0x400
	;;#ASMSTART
	v_dot2c_f32_f16 v43, v25, v21
	;;#ASMEND
	;;#ASMSTART
	v_dot2c_f32_f16 v41, v25, v17
	;;#ASMEND
	;; [unrolled: 3-line block ×3, first 2 shown]
	s_cmp_ge_u32 s28, s8
	;;#ASMSTART
	v_dot2c_f32_f16 v43, v26, v22
	;;#ASMEND
	;;#ASMSTART
	v_dot2c_f32_f16 v41, v26, v18
	;;#ASMEND
	;; [unrolled: 3-line block ×3, first 2 shown]
	v_add_u32_e32 v56, 0x800, v56
	;;#ASMSTART
	v_dot2c_f32_f16 v43, v27, v23
	;;#ASMEND
	;;#ASMSTART
	v_dot2c_f32_f16 v41, v27, v19
	;;#ASMEND
	;;#ASMSTART
	v_dot2c_f32_f16 v37, v27, v15
	;;#ASMEND
	s_nop 0
	;;#ASMSTART
	v_dot2c_f32_f16 v43, v28, v8
	;;#ASMEND
	;;#ASMSTART
	v_dot2c_f32_f16 v41, v28, v4
	;;#ASMEND
	;;#ASMSTART
	v_dot2c_f32_f16 v37, v28, v0
	;;#ASMEND
	s_nop 0
	;; [unrolled: 10-line block ×4, first 2 shown]
	;;#ASMSTART
	v_dot2c_f32_f16 v43, v31, v11
	;;#ASMEND
	;;#ASMSTART
	v_dot2c_f32_f16 v41, v31, v7
	;;#ASMEND
	;; [unrolled: 3-line block ×3, first 2 shown]
	s_cbranch_scc1 .LBB30_28
.LBB30_18:                              ;   Parent Loop BB30_13 Depth=1
                                        ; =>  This Inner Loop Header: Depth=2
	v_add_u32_e32 v52, s28, v35
	v_min_u32_e32 v38, s10, v52
	s_waitcnt lgkmcnt(0)
	v_lshl_add_u64 v[0:1], v[38:39], 1, s[6:7]
	v_add_u32_e32 v50, 0x200, v52
	v_lshl_add_u64 v[2:3], v[0:1], 0, v[44:45]
	v_min_u32_e32 v38, s10, v50
	v_lshl_add_u64 v[4:5], v[0:1], 0, v[46:47]
	global_load_dwordx4 v[20:23], v[2:3], off nt
	global_load_dwordx4 v[16:19], v[4:5], off nt
	v_lshl_add_u64 v[2:3], v[38:39], 1, s[6:7]
	v_lshl_add_u64 v[0:1], v[0:1], 0, v[48:49]
	;; [unrolled: 1-line block ×4, first 2 shown]
	global_load_dwordx4 v[12:15], v[0:1], off nt
	global_load_dwordx4 v[8:11], v[4:5], off nt
	v_lshl_add_u64 v[26:27], v[2:3], 0, v[48:49]
	global_load_dwordx4 v[4:7], v[24:25], off nt
	global_load_dwordx4 v[0:3], v[26:27], off nt
	s_mov_b32 s23, s22
	v_cmp_gt_u32_e32 vcc, s8, v52
	v_mov_b64_e32 v[24:25], s[22:23]
	v_mov_b32_e32 v31, 0
	v_mov_b32_e32 v30, 0
	;; [unrolled: 1-line block ×4, first 2 shown]
	v_mov_b64_e32 v[26:27], s[22:23]
	s_and_saveexec_b64 s[4:5], vcc
	s_cbranch_execz .LBB30_17
; %bb.19:                               ;   in Loop: Header=BB30_18 Depth=2
	v_cmp_lt_u32_e32 vcc, s37, v52
                                        ; implicit-def: $vgpr24_vgpr25
	s_and_saveexec_b64 s[24:25], vcc
	s_xor_b64 s[24:25], exec, s[24:25]
	s_cbranch_execz .LBB30_21
; %bb.20:                               ;   in Loop: Header=BB30_18 Depth=2
	v_mov_b32_e32 v53, v39
	v_lshl_add_u64 v[24:25], v[52:53], 1, s[12:13]
	global_load_dwordx4 v[24:27], v[24:25], off
.LBB30_21:                              ;   in Loop: Header=BB30_18 Depth=2
	s_andn2_saveexec_b64 s[24:25], s[24:25]
	s_cbranch_execz .LBB30_23
; %bb.22:                               ;   in Loop: Header=BB30_18 Depth=2
	s_waitcnt vmcnt(0)
	ds_read_b128 v[24:27], v56
.LBB30_23:                              ;   in Loop: Header=BB30_18 Depth=2
	s_or_b64 exec, exec, s[24:25]
	v_cmp_gt_u32_e32 vcc, s8, v50
	v_mov_b32_e32 v31, 0
	v_mov_b32_e32 v30, 0
	;; [unrolled: 1-line block ×4, first 2 shown]
	s_and_saveexec_b64 s[24:25], vcc
	s_cbranch_execz .LBB30_16
; %bb.24:                               ;   in Loop: Header=BB30_18 Depth=2
	v_cmp_lt_u32_e32 vcc, s37, v50
                                        ; implicit-def: $vgpr31
	s_and_saveexec_b64 s[26:27], vcc
	s_xor_b64 s[26:27], exec, s[26:27]
	s_cbranch_execz .LBB30_26
; %bb.25:                               ;   in Loop: Header=BB30_18 Depth=2
	v_mov_b32_e32 v51, v39
	v_lshl_add_u64 v[28:29], v[50:51], 1, s[12:13]
	global_load_dwordx4 v[28:31], v[28:29], off
.LBB30_26:                              ;   in Loop: Header=BB30_18 Depth=2
	s_andn2_saveexec_b64 s[26:27], s[26:27]
	s_cbranch_execz .LBB30_15
; %bb.27:                               ;   in Loop: Header=BB30_18 Depth=2
	s_waitcnt vmcnt(0)
	ds_read_b128 v[28:31], v56 offset:1024
	s_branch .LBB30_15
.LBB30_28:                              ;   in Loop: Header=BB30_13 Depth=1
	v_cvt_i32_f32_e32 v0, v43
	v_cvt_i32_f32_e32 v1, v41
	v_cvt_i32_f32_e32 v2, v37
	v_cvt_f32_i32_dpp v0, v0 row_shr:8 row_mask:0xf bank_mask:0xf bound_ctrl:1
	v_cvt_f32_i32_dpp v1, v1 row_shr:8 row_mask:0xf bank_mask:0xf bound_ctrl:1
	v_cvt_f32_i32_dpp v2, v2 row_shr:8 row_mask:0xf bank_mask:0xf bound_ctrl:1
	v_add_f32_e32 v0, v43, v0
	v_add_f32_e32 v1, v41, v1
	v_add_f32_e32 v2, v37, v2
	v_cvt_i32_f32_e32 v3, v0
	v_cvt_i32_f32_e32 v4, v1
	v_cvt_i32_f32_e32 v5, v2
	v_cvt_f32_i32_dpp v3, v3 row_shr:4 row_mask:0xf bank_mask:0xf bound_ctrl:1
	v_cvt_f32_i32_dpp v4, v4 row_shr:4 row_mask:0xf bank_mask:0xf bound_ctrl:1
	v_cvt_f32_i32_dpp v5, v5 row_shr:4 row_mask:0xf bank_mask:0xf bound_ctrl:1
	v_add_f32_e32 v0, v0, v3
	v_add_f32_e32 v1, v1, v4
	v_add_f32_e32 v2, v2, v5
	v_cvt_i32_f32_e32 v3, v0
	v_cvt_i32_f32_e32 v4, v1
	v_cvt_i32_f32_e32 v5, v2
	v_cvt_f32_i32_dpp v3, v3 row_shr:2 row_mask:0xf bank_mask:0xf bound_ctrl:1
	v_cvt_f32_i32_dpp v4, v4 row_shr:2 row_mask:0xf bank_mask:0xf bound_ctrl:1
	v_cvt_f32_i32_dpp v5, v5 row_shr:2 row_mask:0xf bank_mask:0xf bound_ctrl:1
	v_add_f32_e32 v0, v0, v3
	v_add_f32_e32 v1, v1, v4
	v_add_f32_e32 v2, v2, v5
	v_cvt_i32_f32_e32 v3, v0
	v_cvt_i32_f32_e32 v4, v1
	v_cvt_i32_f32_e32 v5, v2
	v_cvt_f32_i32_dpp v3, v3 row_shr:1 row_mask:0xf bank_mask:0xf bound_ctrl:1
	v_cvt_f32_i32_dpp v4, v4 row_shr:1 row_mask:0xf bank_mask:0xf bound_ctrl:1
	v_cvt_f32_i32_dpp v5, v5 row_shr:1 row_mask:0xf bank_mask:0xf bound_ctrl:1
	v_add_f32_e32 v0, v0, v3
	v_add_f32_e32 v1, v1, v4
	v_add_f32_e32 v3, v2, v5
	v_cvt_i32_f32_e32 v2, v0
	v_cvt_i32_f32_e32 v4, v1
	;; [unrolled: 1-line block ×3, first 2 shown]
	v_cvt_f32_i32_dpp v2, v2 row_bcast:15 row_mask:0xf bank_mask:0xf bound_ctrl:1
	s_waitcnt vmcnt(0)
	v_cvt_f32_i32_dpp v6, v4 row_bcast:15 row_mask:0xf bank_mask:0xf bound_ctrl:1
	v_cvt_f32_i32_dpp v5, v5 row_bcast:15 row_mask:0xf bank_mask:0xf bound_ctrl:1
	v_add_f32_e32 v4, v0, v2
	v_add_f32_e32 v2, v1, v6
	;; [unrolled: 1-line block ×3, first 2 shown]
	v_cvt_i32_f32_e32 v1, v4
	v_cvt_i32_f32_e32 v3, v2
	;; [unrolled: 1-line block ×3, first 2 shown]
	v_mov_b32_dpp v5, v1 row_bcast:31 row_mask:0xf bank_mask:0xf bound_ctrl:1
	v_mov_b32_dpp v3, v3 row_bcast:31 row_mask:0xf bank_mask:0xf bound_ctrl:1
	;; [unrolled: 1-line block ×3, first 2 shown]
	s_and_saveexec_b64 s[4:5], s[0:1]
	s_cbranch_execz .LBB30_35
; %bb.29:                               ;   in Loop: Header=BB30_13 Depth=1
	s_andn2_b64 vcc, exec, s[20:21]
	v_mov_b32_e32 v8, 0
	v_mov_b32_e32 v7, 0
	;; [unrolled: 1-line block ×3, first 2 shown]
	s_cbranch_vccnz .LBB30_31
; %bb.30:                               ;   in Loop: Header=BB30_13 Depth=1
	v_mul_hi_u32 v6, v36, v54
	v_mul_lo_u32 v6, v6, s33
	v_sub_u32_e32 v6, v36, v6
	v_subrev_u32_e32 v7, s33, v6
	v_cmp_le_u32_e32 vcc, s33, v6
	s_nop 1
	v_cndmask_b32_e32 v6, v6, v7, vcc
	v_subrev_u32_e32 v7, s33, v6
	v_cmp_le_u32_e32 vcc, s33, v6
	s_nop 1
	v_cndmask_b32_e32 v38, v6, v7, vcc
	v_mul_hi_u32 v6, v42, v54
	v_mul_lo_u32 v6, v6, s33
	v_sub_u32_e32 v6, v42, v6
	v_subrev_u32_e32 v7, s33, v6
	v_cmp_le_u32_e32 vcc, s33, v6
	v_lshl_add_u64 v[10:11], v[38:39], 1, s[14:15]
	s_nop 0
	v_cndmask_b32_e32 v6, v6, v7, vcc
	v_subrev_u32_e32 v7, s33, v6
	v_cmp_le_u32_e32 vcc, s33, v6
	s_nop 1
	v_cndmask_b32_e32 v38, v6, v7, vcc
	v_mul_hi_u32 v6, v40, v54
	v_mul_lo_u32 v6, v6, s33
	v_sub_u32_e32 v6, v40, v6
	v_subrev_u32_e32 v7, s33, v6
	v_cmp_le_u32_e32 vcc, s33, v6
	v_lshl_add_u64 v[12:13], v[38:39], 1, s[14:15]
	s_nop 0
	v_cndmask_b32_e32 v6, v6, v7, vcc
	v_subrev_u32_e32 v7, s33, v6
	v_cmp_le_u32_e32 vcc, s33, v6
	s_nop 1
	v_cndmask_b32_e32 v38, v6, v7, vcc
	v_lshl_add_u64 v[14:15], v[38:39], 1, s[14:15]
	global_load_ushort v8, v[10:11], off
	global_load_ushort v7, v[12:13], off
	;; [unrolled: 1-line block ×3, first 2 shown]
.LBB30_31:                              ;   in Loop: Header=BB30_13 Depth=1
	v_cmp_ne_u32_e32 vcc, 0, v32
	s_and_saveexec_b64 s[24:25], vcc
	s_cbranch_execnz .LBB30_40
; %bb.32:                               ;   in Loop: Header=BB30_13 Depth=1
	s_or_b64 exec, exec, s[24:25]
	v_cmp_ne_u32_e32 vcc, 0, v33
	s_and_saveexec_b64 s[24:25], vcc
	s_cbranch_execnz .LBB30_41
.LBB30_33:                              ;   in Loop: Header=BB30_13 Depth=1
	s_or_b64 exec, exec, s[24:25]
	v_cmp_ne_u32_e32 vcc, 0, v34
	s_and_b64 exec, exec, vcc
	s_cbranch_execz .LBB30_35
.LBB30_34:                              ;   in Loop: Header=BB30_13 Depth=1
	v_cvt_f32_i32_e32 v1, v1
	s_waitcnt vmcnt(0)
	v_cvt_f32_f16_e32 v2, v6
	v_mov_b32_e32 v41, v39
	v_add_f32_e32 v0, v0, v1
	v_add_f32_e32 v0, v0, v2
	v_cvt_f16_f32_e32 v2, v0
	s_waitcnt lgkmcnt(0)
	v_lshl_add_u64 v[0:1], v[40:41], 1, s[16:17]
	global_store_short v[0:1], v2, off
.LBB30_35:                              ;   in Loop: Header=BB30_13 Depth=1
	s_or_b64 exec, exec, s[4:5]
	v_add_u32_e32 v36, s35, v36
	v_add_u32_e32 v0, 3, v36
	v_cmp_gt_u32_e32 vcc, s11, v36
	v_cmp_le_u32_e64 s[4:5], s11, v0
	s_and_b64 s[4:5], vcc, s[4:5]
	s_and_saveexec_b64 s[24:25], s[4:5]
	s_cbranch_execz .LBB30_12
; %bb.36:                               ;   in Loop: Header=BB30_13 Depth=1
	v_cmp_ne_u32_e32 vcc, s36, v36
	s_and_saveexec_b64 s[26:27], vcc
	s_cbranch_execz .LBB30_11
; %bb.37:                               ;   in Loop: Header=BB30_13 Depth=1
	v_subrev_u32_e32 v0, s36, v36
	v_cmp_lt_u32_e32 vcc, 1, v0
	s_mov_b64 s[28:29], 0
	s_mov_b64 s[30:31], 0
	v_cndmask_b32_e32 v0, 1, v0, vcc
.LBB30_38:                              ;   Parent Loop BB30_13 Depth=1
                                        ; =>  This Inner Loop Header: Depth=2
	s_cmp_lg_u32 s30, 2
	s_cselect_b64 vcc, -1, 0
	s_cmp_lg_u32 s30, 1
	v_cndmask_b32_e32 v34, 0, v34, vcc
	s_cselect_b64 vcc, -1, 0
	s_cmp_lg_u32 s30, 0
	v_cndmask_b32_e32 v33, 0, v33, vcc
	s_cselect_b64 vcc, -1, 0
	s_add_u32 s30, s30, 1
	s_addc_u32 s31, s31, 0
	v_cmp_eq_u32_e64 s[4:5], s30, v0
	s_or_b64 s[28:29], s[4:5], s[28:29]
	v_cndmask_b32_e32 v32, 0, v32, vcc
	s_andn2_b64 exec, exec, s[28:29]
	s_cbranch_execnz .LBB30_38
; %bb.39:                               ;   in Loop: Header=BB30_13 Depth=1
	s_or_b64 exec, exec, s[28:29]
	s_branch .LBB30_11
.LBB30_40:                              ;   in Loop: Header=BB30_13 Depth=1
	v_cvt_f32_i32_e32 v5, v5
	s_waitcnt vmcnt(2)
	v_cvt_f32_f16_e32 v8, v8
	v_mov_b32_e32 v37, v39
	v_add_f32_e32 v4, v4, v5
	v_add_f32_e32 v4, v4, v8
	v_cvt_f16_f32_e32 v8, v4
	s_waitcnt lgkmcnt(0)
	v_lshl_add_u64 v[4:5], v[36:37], 1, s[16:17]
	global_store_short v[4:5], v8, off
	s_or_b64 exec, exec, s[24:25]
	v_cmp_ne_u32_e32 vcc, 0, v33
	s_and_saveexec_b64 s[24:25], vcc
	s_cbranch_execz .LBB30_33
.LBB30_41:                              ;   in Loop: Header=BB30_13 Depth=1
	v_cvt_f32_i32_e32 v3, v3
	s_waitcnt vmcnt(1)
	v_cvt_f32_f16_e32 v4, v7
	v_mov_b32_e32 v43, v39
	v_add_f32_e32 v2, v2, v3
	v_add_f32_e32 v2, v2, v4
	v_cvt_f16_f32_e32 v4, v2
	s_waitcnt lgkmcnt(0)
	v_lshl_add_u64 v[2:3], v[42:43], 1, s[16:17]
	global_store_short v[2:3], v4, off
	s_or_b64 exec, exec, s[24:25]
	v_cmp_ne_u32_e32 vcc, 0, v34
	s_and_b64 exec, exec, vcc
	s_cbranch_execnz .LBB30_34
	s_branch .LBB30_35
.LBB30_42:
	s_endpgm
	.section	.rodata,"a",@progbits
	.p2align	6, 0x0
	.amdhsa_kernel _Z12wvSplitK_hf_I6__halfLi64ELi3ELi16ELi8ELi2ELi1EEviiiiiiPKT_S3_S3_PS1_ii
		.amdhsa_group_segment_fixed_size 65536
		.amdhsa_private_segment_fixed_size 0
		.amdhsa_kernarg_size 64
		.amdhsa_user_sgpr_count 2
		.amdhsa_user_sgpr_dispatch_ptr 0
		.amdhsa_user_sgpr_queue_ptr 0
		.amdhsa_user_sgpr_kernarg_segment_ptr 1
		.amdhsa_user_sgpr_dispatch_id 0
		.amdhsa_user_sgpr_kernarg_preload_length 0
		.amdhsa_user_sgpr_kernarg_preload_offset 0
		.amdhsa_user_sgpr_private_segment_size 0
		.amdhsa_uses_dynamic_stack 0
		.amdhsa_enable_private_segment 0
		.amdhsa_system_sgpr_workgroup_id_x 1
		.amdhsa_system_sgpr_workgroup_id_y 0
		.amdhsa_system_sgpr_workgroup_id_z 0
		.amdhsa_system_sgpr_workgroup_info 0
		.amdhsa_system_vgpr_workitem_id 1
		.amdhsa_next_free_vgpr 57
		.amdhsa_next_free_sgpr 38
		.amdhsa_accum_offset 60
		.amdhsa_reserve_vcc 1
		.amdhsa_float_round_mode_32 0
		.amdhsa_float_round_mode_16_64 0
		.amdhsa_float_denorm_mode_32 3
		.amdhsa_float_denorm_mode_16_64 3
		.amdhsa_dx10_clamp 1
		.amdhsa_ieee_mode 1
		.amdhsa_fp16_overflow 0
		.amdhsa_tg_split 0
		.amdhsa_exception_fp_ieee_invalid_op 0
		.amdhsa_exception_fp_denorm_src 0
		.amdhsa_exception_fp_ieee_div_zero 0
		.amdhsa_exception_fp_ieee_overflow 0
		.amdhsa_exception_fp_ieee_underflow 0
		.amdhsa_exception_fp_ieee_inexact 0
		.amdhsa_exception_int_div_zero 0
	.end_amdhsa_kernel
	.section	.text._Z12wvSplitK_hf_I6__halfLi64ELi3ELi16ELi8ELi2ELi1EEviiiiiiPKT_S3_S3_PS1_ii,"axG",@progbits,_Z12wvSplitK_hf_I6__halfLi64ELi3ELi16ELi8ELi2ELi1EEviiiiiiPKT_S3_S3_PS1_ii,comdat
.Lfunc_end30:
	.size	_Z12wvSplitK_hf_I6__halfLi64ELi3ELi16ELi8ELi2ELi1EEviiiiiiPKT_S3_S3_PS1_ii, .Lfunc_end30-_Z12wvSplitK_hf_I6__halfLi64ELi3ELi16ELi8ELi2ELi1EEviiiiiiPKT_S3_S3_PS1_ii
                                        ; -- End function
	.section	.AMDGPU.csdata,"",@progbits
; Kernel info:
; codeLenInByte = 2172
; NumSgprs: 44
; NumVgprs: 57
; NumAgprs: 0
; TotalNumVgprs: 57
; ScratchSize: 0
; MemoryBound: 1
; FloatMode: 240
; IeeeMode: 1
; LDSByteSize: 65536 bytes/workgroup (compile time only)
; SGPRBlocks: 5
; VGPRBlocks: 7
; NumSGPRsForWavesPerEU: 44
; NumVGPRsForWavesPerEU: 57
; AccumOffset: 60
; Occupancy: 4
; WaveLimiterHint : 0
; COMPUTE_PGM_RSRC2:SCRATCH_EN: 0
; COMPUTE_PGM_RSRC2:USER_SGPR: 2
; COMPUTE_PGM_RSRC2:TRAP_HANDLER: 0
; COMPUTE_PGM_RSRC2:TGID_X_EN: 1
; COMPUTE_PGM_RSRC2:TGID_Y_EN: 0
; COMPUTE_PGM_RSRC2:TGID_Z_EN: 0
; COMPUTE_PGM_RSRC2:TIDIG_COMP_CNT: 1
; COMPUTE_PGM_RSRC3_GFX90A:ACCUM_OFFSET: 14
; COMPUTE_PGM_RSRC3_GFX90A:TG_SPLIT: 0
	.section	.text._Z16wvSplitK_hf_big_I6__halfLi64ELi3ELi16ELi8ELi2ELi1EEviiiiiiPKT_S3_S3_PS1_ii,"axG",@progbits,_Z16wvSplitK_hf_big_I6__halfLi64ELi3ELi16ELi8ELi2ELi1EEviiiiiiPKT_S3_S3_PS1_ii,comdat
	.protected	_Z16wvSplitK_hf_big_I6__halfLi64ELi3ELi16ELi8ELi2ELi1EEviiiiiiPKT_S3_S3_PS1_ii ; -- Begin function _Z16wvSplitK_hf_big_I6__halfLi64ELi3ELi16ELi8ELi2ELi1EEviiiiiiPKT_S3_S3_PS1_ii
	.globl	_Z16wvSplitK_hf_big_I6__halfLi64ELi3ELi16ELi8ELi2ELi1EEviiiiiiPKT_S3_S3_PS1_ii
	.p2align	8
	.type	_Z16wvSplitK_hf_big_I6__halfLi64ELi3ELi16ELi8ELi2ELi1EEviiiiiiPKT_S3_S3_PS1_ii,@function
_Z16wvSplitK_hf_big_I6__halfLi64ELi3ELi16ELi8ELi2ELi1EEviiiiiiPKT_S3_S3_PS1_ii: ; @_Z16wvSplitK_hf_big_I6__halfLi64ELi3ELi16ELi8ELi2ELi1EEviiiiiiPKT_S3_S3_PS1_ii
; %bb.0:
	s_load_dwordx2 s[8:9], s[0:1], 0x38
	v_bfe_u32 v1, v0, 10, 10
	s_waitcnt lgkmcnt(0)
	v_cmp_gt_u32_e32 vcc, s8, v1
	s_and_saveexec_b64 s[4:5], vcc
	s_cbranch_execz .LBB31_46
; %bb.1:
	s_load_dwordx4 s[20:23], s[0:1], 0x0
	s_mul_i32 s2, s2, s8
	v_add_u32_e32 v2, s2, v1
	v_lshl_add_u32 v36, v2, 1, v2
	s_mov_b32 s4, 1
	v_add_u32_e32 v2, 3, v36
	s_mov_b32 s6, s4
	s_waitcnt lgkmcnt(0)
	v_cmp_gt_u32_e32 vcc, s23, v36
	v_cmp_le_u32_e64 s[2:3], s23, v2
	s_mov_b32 s5, s4
	v_mov_b32_e32 v34, s6
	s_and_b64 s[10:11], vcc, s[2:3]
	v_mov_b32_e32 v33, s5
	v_mov_b32_e32 v32, s4
	s_and_saveexec_b64 s[2:3], s[10:11]
	s_cbranch_execz .LBB31_7
; %bb.2:
	s_add_i32 s7, s23, -3
	v_mov_b32_e32 v34, s6
	v_cmp_ne_u32_e32 vcc, s7, v36
	v_mov_b32_e32 v33, s5
	v_mov_b32_e32 v32, s4
	s_and_saveexec_b64 s[10:11], vcc
	s_cbranch_execz .LBB31_6
; %bb.3:
	v_subrev_u32_e32 v2, s7, v36
	v_cmp_lt_u32_e32 vcc, 1, v2
	s_mov_b64 s[12:13], 0
	s_mov_b64 s[14:15], 0
	v_cndmask_b32_e32 v2, 1, v2, vcc
	s_mov_b32 s5, s4
	s_mov_b32 s6, s4
.LBB31_4:                               ; =>This Inner Loop Header: Depth=1
	s_cmp_lg_u32 s14, 2
	s_cselect_b32 s6, s6, 0
	s_cmp_lg_u32 s14, 1
	s_cselect_b32 s5, s5, 0
	;; [unrolled: 2-line block ×3, first 2 shown]
	s_add_u32 s14, s14, 1
	s_addc_u32 s15, s15, 0
	v_cmp_eq_u32_e32 vcc, s14, v2
	v_mov_b32_e32 v34, s6
	s_or_b64 s[12:13], vcc, s[12:13]
	v_mov_b32_e32 v33, s5
	v_mov_b32_e32 v32, s4
	s_andn2_b64 exec, exec, s[12:13]
	s_cbranch_execnz .LBB31_4
; %bb.5:
	s_or_b64 exec, exec, s[12:13]
	v_mov_b32_e32 v36, s7
.LBB31_6:
	s_or_b64 exec, exec, s[10:11]
.LBB31_7:
	s_or_b64 exec, exec, s[2:3]
	s_mul_i32 s43, s8, 3
	s_abs_i32 s2, s43
	v_cvt_f32_u32_e32 v2, s2
	s_sub_i32 s5, 0, s2
	s_abs_i32 s4, s23
	s_ashr_i32 s3, s23, 31
	v_rcp_iflag_f32_e32 v2, v2
	s_nop 0
	v_mul_f32_e32 v2, 0x4f7ffffe, v2
	v_cvt_u32_f32_e32 v2, v2
	s_nop 0
	v_readfirstlane_b32 s6, v2
	s_mul_i32 s5, s5, s6
	s_mul_hi_u32 s5, s6, s5
	s_add_i32 s6, s6, s5
	s_mul_hi_u32 s5, s4, s6
	s_mul_i32 s5, s5, s2
	s_sub_i32 s4, s4, s5
	s_sub_i32 s5, s4, s2
	s_cmp_ge_u32 s4, s2
	s_cselect_b32 s4, s5, s4
	s_sub_i32 s5, s4, s2
	s_cmp_ge_u32 s4, s2
	s_cselect_b32 s2, s5, s4
	s_xor_b32 s2, s2, s3
	s_sub_i32 s2, s2, s3
	s_add_i32 s3, s43, s23
	s_sub_i32 s3, s3, s2
	s_cmp_eq_u32 s2, 0
	s_cselect_b32 s33, s23, s3
	v_cmp_gt_u32_e32 vcc, s33, v36
	s_and_b64 exec, exec, vcc
	s_cbranch_execz .LBB31_46
; %bb.8:
	s_load_dwordx8 s[12:19], s[0:1], 0x18
	s_load_dword s38, s[0:1], 0x10
	s_min_u32 s39, s22, 0x8000
	s_cmp_lg_u32 s20, 0
	s_cselect_b64 s[2:3], -1, 0
	s_cmp_lg_u32 s22, 0
	s_waitcnt lgkmcnt(0)
	v_cvt_f32_u32_e32 v2, s38
	s_cselect_b64 s[4:5], -1, 0
	s_lshl_b32 s40, s8, 9
	s_add_i32 s41, s20, -8
	v_rcp_iflag_f32_e32 v2, v2
	s_add_i32 s42, s23, -1
	v_and_b32_e32 v0, 0x3ff, v0
	s_cmp_lg_u64 s[16:17], 0
	v_mul_f32_e32 v2, 0x4f7ffffe, v2
	v_cvt_u32_f32_e32 v2, v2
	v_lshlrev_b32_e32 v35, 3, v0
	v_cmp_eq_u32_e64 s[0:1], 63, v0
	s_cselect_b64 s[24:25], -1, 0
	s_sub_i32 s6, 0, s38
	v_lshlrev_b32_e32 v0, 4, v0
	s_add_i32 s44, s23, -3
	v_mul_lo_u32 v3, s6, v2
	v_lshl_add_u32 v47, v1, 10, v0
	v_cndmask_b32_e64 v0, 0, 1, s[2:3]
	v_mul_hi_u32 v3, v2, v3
	s_add_u32 s26, s18, 2
	v_cmp_ne_u32_e64 s[2:3], 1, v0
	v_cndmask_b32_e64 v0, 0, 1, s[4:5]
	s_mul_i32 s43, s43, s9
	s_mov_b64 s[10:11], 0
	v_add_u32_e32 v46, v2, v3
	v_mov_b32_e32 v39, 0
	s_addc_u32 s27, s19, 0
	s_lshl_b32 s45, s8, 10
	v_lshl_add_u32 v48, v1, 9, v35
	v_cmp_ne_u32_e64 s[4:5], 1, v0
	s_branch .LBB31_12
.LBB31_9:                               ;   in Loop: Header=BB31_12 Depth=1
	s_or_b64 exec, exec, s[30:31]
	v_mov_b32_e32 v36, s44
.LBB31_10:                              ;   in Loop: Header=BB31_12 Depth=1
	s_or_b64 exec, exec, s[28:29]
.LBB31_11:                              ;   in Loop: Header=BB31_12 Depth=1
	s_or_b64 exec, exec, s[8:9]
	v_cmp_le_u32_e32 vcc, s33, v36
	s_or_b64 s[10:11], vcc, s[10:11]
	s_andn2_b64 exec, exec, s[10:11]
	s_cbranch_execz .LBB31_46
.LBB31_12:                              ; =>This Loop Header: Depth=1
                                        ;     Child Loop BB31_17 Depth 2
                                        ;       Child Loop BB31_22 Depth 3
                                        ;     Child Loop BB31_42 Depth 2
	s_mov_b32 s34, 0
	s_and_b64 vcc, exec, s[2:3]
	v_mov_b32_e32 v50, v39
	v_mov_b32_e32 v49, v39
	;; [unrolled: 1-line block ×3, first 2 shown]
	s_cbranch_vccnz .LBB31_29
; %bb.13:                               ;   in Loop: Header=BB31_12 Depth=1
	v_min_u32_e32 v0, s42, v36
	v_mul_lo_u32 v38, v0, s21
	v_add_u32_e32 v0, 1, v36
	v_add_u32_e32 v2, 2, v36
	v_min_u32_e32 v0, s42, v0
	v_min_u32_e32 v2, s42, v2
	v_mul_lo_u32 v0, v0, s21
	v_mov_b32_e32 v1, v39
	v_mul_lo_u32 v2, v2, s21
	v_mov_b32_e32 v3, v39
	v_cmp_gt_u32_e64 s[6:7], s23, v36
	v_mov_b32_e32 v37, 0
	v_lshlrev_b64 v[40:41], 1, v[38:39]
	v_lshlrev_b64 v[42:43], 1, v[0:1]
	;; [unrolled: 1-line block ×3, first 2 shown]
	v_mov_b32_e32 v49, 0
	v_mov_b32_e32 v50, 0
	s_mov_b32 s35, 0
	s_branch .LBB31_17
.LBB31_14:                              ;   in Loop: Header=BB31_17 Depth=2
	s_or_b64 exec, exec, s[30:31]
.LBB31_15:                              ;   in Loop: Header=BB31_17 Depth=2
	s_or_b64 exec, exec, s[28:29]
	s_waitcnt vmcnt(5) lgkmcnt(0)
	;;#ASMSTART
	v_dot2c_f32_f16 v50, v24, v28
	;;#ASMEND
	s_waitcnt vmcnt(4)
	;;#ASMSTART
	v_dot2c_f32_f16 v49, v24, v20
	;;#ASMEND
	s_waitcnt vmcnt(3)
	;;#ASMSTART
	v_dot2c_f32_f16 v37, v24, v16
	;;#ASMEND
	;;#ASMSTART
	v_dot2c_f32_f16 v50, v25, v29
	;;#ASMEND
	;;#ASMSTART
	v_dot2c_f32_f16 v49, v25, v21
	;;#ASMEND
	s_nop 0
	;;#ASMSTART
	v_dot2c_f32_f16 v37, v25, v17
	;;#ASMEND
	;;#ASMSTART
	v_dot2c_f32_f16 v50, v26, v30
	;;#ASMEND
	;;#ASMSTART
	v_dot2c_f32_f16 v49, v26, v22
	;;#ASMEND
	s_nop 0
	;; [unrolled: 10-line block ×3, first 2 shown]
	;;#ASMSTART
	v_dot2c_f32_f16 v37, v27, v19
	;;#ASMEND
	s_waitcnt vmcnt(2)
	;;#ASMSTART
	v_dot2c_f32_f16 v50, v4, v12
	;;#ASMEND
	s_waitcnt vmcnt(1)
	;; [unrolled: 4-line block ×3, first 2 shown]
	;;#ASMSTART
	v_dot2c_f32_f16 v37, v4, v0
	;;#ASMEND
	;;#ASMSTART
	v_dot2c_f32_f16 v50, v5, v13
	;;#ASMEND
	;;#ASMSTART
	v_dot2c_f32_f16 v49, v5, v9
	;;#ASMEND
	s_nop 0
	;;#ASMSTART
	v_dot2c_f32_f16 v37, v5, v1
	;;#ASMEND
	;;#ASMSTART
	v_dot2c_f32_f16 v50, v6, v14
	;;#ASMEND
	;;#ASMSTART
	v_dot2c_f32_f16 v49, v6, v10
	;;#ASMEND
	s_nop 0
	;;#ASMSTART
	v_dot2c_f32_f16 v37, v6, v2
	;;#ASMEND
	;;#ASMSTART
	v_dot2c_f32_f16 v50, v7, v15
	;;#ASMEND
	;;#ASMSTART
	v_dot2c_f32_f16 v49, v7, v11
	;;#ASMEND
	s_nop 0
	;;#ASMSTART
	v_dot2c_f32_f16 v37, v7, v3
	;;#ASMEND
.LBB31_16:                              ;   in Loop: Header=BB31_17 Depth=2
	s_or_b64 exec, exec, s[8:9]
	s_addk_i32 s35, 0x400
	s_cmp_ge_u32 s35, s20
	s_cbranch_scc1 .LBB31_29
.LBB31_17:                              ;   Parent Loop BB31_12 Depth=1
                                        ; =>  This Loop Header: Depth=2
                                        ;       Child Loop BB31_22 Depth 3
	s_cmp_eq_u32 s35, 0
	s_cselect_b64 s[8:9], -1, 0
	s_add_i32 s28, s34, s39
	s_cmp_eq_u32 s35, s28
	s_cselect_b64 s[30:31], -1, 0
	s_or_b64 s[30:31], s[8:9], s[30:31]
	s_andn2_b64 vcc, exec, s[30:31]
	s_cbranch_vccz .LBB31_19
; %bb.18:                               ;   in Loop: Header=BB31_17 Depth=2
	s_and_saveexec_b64 s[8:9], s[6:7]
	s_cbranch_execz .LBB31_16
	s_branch .LBB31_26
.LBB31_19:                              ;   in Loop: Header=BB31_17 Depth=2
	s_and_b64 s[8:9], s[8:9], exec
	s_cselect_b32 s34, s34, s28
	s_and_b64 vcc, exec, s[4:5]
	s_barrier
	s_cbranch_vccnz .LBB31_25
; %bb.20:                               ;   in Loop: Header=BB31_17 Depth=2
	v_add_u32_e32 v0, s34, v48
	s_mov_b32 s36, 0
	s_mov_b64 s[28:29], 0
	v_mov_b32_e32 v1, v47
                                        ; implicit-def: $sgpr30_sgpr31
	s_branch .LBB31_22
.LBB31_21:                              ;   in Loop: Header=BB31_22 Depth=3
	s_or_b64 exec, exec, s[8:9]
	s_and_b64 s[8:9], exec, s[30:31]
	s_or_b64 s[28:29], s[8:9], s[28:29]
	s_andn2_b64 exec, exec, s[28:29]
	s_cbranch_execz .LBB31_24
.LBB31_22:                              ;   Parent Loop BB31_12 Depth=1
                                        ;     Parent Loop BB31_17 Depth=2
                                        ; =>    This Inner Loop Header: Depth=3
	v_add_u32_e32 v2, s36, v48
	v_add_u32_e32 v38, s36, v0
	v_cmp_gt_u32_e32 vcc, s22, v38
	v_cmp_gt_u32_e64 s[8:9], s39, v2
	s_and_b64 s[46:47], s[8:9], vcc
	s_or_b64 s[30:31], s[30:31], exec
	s_and_saveexec_b64 s[8:9], s[46:47]
	s_cbranch_execz .LBB31_21
; %bb.23:                               ;   in Loop: Header=BB31_22 Depth=3
	v_lshl_add_u64 v[2:3], v[38:39], 1, s[14:15]
	global_load_dwordx4 v[2:5], v[2:3], off
	s_add_i32 s36, s36, s40
	s_cmp_ge_u32 s36, s39
	s_cselect_b64 s[46:47], -1, 0
	s_andn2_b64 s[30:31], s[30:31], exec
	s_and_b64 s[46:47], s[46:47], exec
	s_or_b64 s[30:31], s[30:31], s[46:47]
	s_waitcnt vmcnt(0)
	ds_write_b128 v1, v[2:5]
	v_add_u32_e32 v1, s45, v1
	s_branch .LBB31_21
.LBB31_24:                              ;   in Loop: Header=BB31_17 Depth=2
	s_or_b64 exec, exec, s[28:29]
.LBB31_25:                              ;   in Loop: Header=BB31_17 Depth=2
	s_waitcnt lgkmcnt(0)
	s_barrier
	s_and_saveexec_b64 s[8:9], s[6:7]
	s_cbranch_execz .LBB31_16
.LBB31_26:                              ;   in Loop: Header=BB31_17 Depth=2
	v_add_u32_e32 v51, s35, v35
	v_min_u32_e32 v38, s41, v51
	v_lshl_add_u64 v[0:1], v[38:39], 1, s[12:13]
	v_add_u32_e32 v52, 0x200, v51
	v_lshl_add_u64 v[2:3], v[0:1], 0, v[40:41]
	v_min_u32_e32 v38, s41, v52
	v_lshl_add_u64 v[4:5], v[0:1], 0, v[42:43]
	global_load_dwordx4 v[28:31], v[2:3], off nt
	global_load_dwordx4 v[20:23], v[4:5], off nt
	v_lshl_add_u64 v[2:3], v[38:39], 1, s[12:13]
	v_lshl_add_u64 v[0:1], v[0:1], 0, v[44:45]
	;; [unrolled: 1-line block ×3, first 2 shown]
	global_load_dwordx4 v[16:19], v[0:1], off nt
	global_load_dwordx4 v[12:15], v[4:5], off nt
	v_lshl_add_u64 v[4:5], v[2:3], 0, v[42:43]
	s_waitcnt vmcnt(4)
	v_lshl_add_u64 v[6:7], v[2:3], 0, v[44:45]
	global_load_dwordx4 v[8:11], v[4:5], off nt
	global_load_dwordx4 v[0:3], v[6:7], off nt
	v_cmp_gt_u32_e32 vcc, s20, v51
	v_mov_b32_e32 v26, 0
	v_mov_b32_e32 v27, 0
	;; [unrolled: 1-line block ×8, first 2 shown]
	s_and_saveexec_b64 s[28:29], vcc
	s_cbranch_execz .LBB31_15
; %bb.27:                               ;   in Loop: Header=BB31_17 Depth=2
	v_subrev_u32_e32 v4, s34, v51
	v_lshlrev_b32_e32 v38, 1, v4
	ds_read_b128 v[24:27], v38
	v_cmp_gt_u32_e32 vcc, s20, v52
	v_mov_b32_e32 v7, 0
	v_mov_b32_e32 v6, 0
	;; [unrolled: 1-line block ×4, first 2 shown]
	s_and_saveexec_b64 s[30:31], vcc
	s_cbranch_execz .LBB31_14
; %bb.28:                               ;   in Loop: Header=BB31_17 Depth=2
	ds_read_b128 v[4:7], v38 offset:1024
	s_branch .LBB31_14
.LBB31_29:                              ;   in Loop: Header=BB31_12 Depth=1
	v_cmp_le_u32_e32 vcc, s23, v36
	s_and_saveexec_b64 s[6:7], vcc
	s_xor_b64 s[6:7], exec, s[6:7]
; %bb.30:                               ;   in Loop: Header=BB31_12 Depth=1
	v_add_u32_e32 v36, s43, v36
                                        ; implicit-def: $vgpr50
                                        ; implicit-def: $vgpr49
                                        ; implicit-def: $vgpr37
; %bb.31:                               ;   in Loop: Header=BB31_12 Depth=1
	s_andn2_saveexec_b64 s[8:9], s[6:7]
	s_cbranch_execz .LBB31_11
; %bb.32:                               ;   in Loop: Header=BB31_12 Depth=1
	v_cvt_i32_f32_e32 v0, v50
	v_cvt_i32_f32_e32 v1, v49
	v_cvt_i32_f32_e32 v2, v37
	v_cvt_f32_i32_dpp v0, v0 row_shr:8 row_mask:0xf bank_mask:0xf bound_ctrl:1
	v_cvt_f32_i32_dpp v1, v1 row_shr:8 row_mask:0xf bank_mask:0xf bound_ctrl:1
	v_cvt_f32_i32_dpp v2, v2 row_shr:8 row_mask:0xf bank_mask:0xf bound_ctrl:1
	v_add_f32_e32 v0, v50, v0
	v_add_f32_e32 v1, v49, v1
	v_add_f32_e32 v2, v37, v2
	v_cvt_i32_f32_e32 v3, v0
	v_cvt_i32_f32_e32 v4, v1
	v_cvt_i32_f32_e32 v5, v2
	v_cvt_f32_i32_dpp v3, v3 row_shr:4 row_mask:0xf bank_mask:0xf bound_ctrl:1
	v_cvt_f32_i32_dpp v4, v4 row_shr:4 row_mask:0xf bank_mask:0xf bound_ctrl:1
	v_cvt_f32_i32_dpp v5, v5 row_shr:4 row_mask:0xf bank_mask:0xf bound_ctrl:1
	v_add_f32_e32 v0, v0, v3
	v_add_f32_e32 v1, v1, v4
	v_add_f32_e32 v2, v2, v5
	;; [unrolled: 9-line block ×4, first 2 shown]
	v_cvt_i32_f32_e32 v3, v0
	v_cvt_i32_f32_e32 v4, v1
	;; [unrolled: 1-line block ×3, first 2 shown]
	v_cvt_f32_i32_dpp v3, v3 row_bcast:15 row_mask:0xf bank_mask:0xf bound_ctrl:1
	v_cvt_f32_i32_dpp v4, v4 row_bcast:15 row_mask:0xf bank_mask:0xf bound_ctrl:1
	;; [unrolled: 1-line block ×3, first 2 shown]
	v_add_f32_e32 v5, v0, v3
	v_add_f32_e32 v3, v1, v4
	;; [unrolled: 1-line block ×3, first 2 shown]
	v_cvt_i32_f32_e32 v0, v5
	v_cvt_i32_f32_e32 v2, v3
	s_waitcnt vmcnt(0)
	v_cvt_i32_f32_e32 v7, v1
	v_mov_b32_dpp v6, v0 row_bcast:31 row_mask:0xf bank_mask:0xf bound_ctrl:1
	v_mov_b32_dpp v4, v2 row_bcast:31 row_mask:0xf bank_mask:0xf bound_ctrl:1
	;; [unrolled: 1-line block ×3, first 2 shown]
	s_and_saveexec_b64 s[6:7], s[0:1]
	s_cbranch_execz .LBB31_39
; %bb.33:                               ;   in Loop: Header=BB31_12 Depth=1
	s_andn2_b64 vcc, exec, s[24:25]
	v_mov_b32_e32 v9, 0
	v_add_u32_e32 v0, 2, v36
	v_mov_b32_e32 v8, 0
	v_mov_b32_e32 v7, 0
	s_cbranch_vccnz .LBB31_35
; %bb.34:                               ;   in Loop: Header=BB31_12 Depth=1
	v_mul_hi_u32 v7, v36, v46
	v_mul_lo_u32 v7, v7, s38
	v_sub_u32_e32 v7, v36, v7
	v_subrev_u32_e32 v8, s38, v7
	v_cmp_le_u32_e32 vcc, s38, v7
	s_nop 1
	v_cndmask_b32_e32 v7, v7, v8, vcc
	v_subrev_u32_e32 v8, s38, v7
	v_cmp_le_u32_e32 vcc, s38, v7
	s_nop 1
	v_cndmask_b32_e32 v38, v7, v8, vcc
	v_add_u32_e32 v7, 1, v36
	v_mul_hi_u32 v8, v7, v46
	v_mul_lo_u32 v8, v8, s38
	v_sub_u32_e32 v7, v7, v8
	v_subrev_u32_e32 v8, s38, v7
	v_cmp_le_u32_e32 vcc, s38, v7
	v_lshl_add_u64 v[10:11], v[38:39], 1, s[16:17]
	s_nop 0
	v_cndmask_b32_e32 v7, v7, v8, vcc
	v_subrev_u32_e32 v8, s38, v7
	v_cmp_le_u32_e32 vcc, s38, v7
	s_nop 1
	v_cndmask_b32_e32 v38, v7, v8, vcc
	v_mul_hi_u32 v7, v0, v46
	v_mul_lo_u32 v7, v7, s38
	v_sub_u32_e32 v7, v0, v7
	v_subrev_u32_e32 v8, s38, v7
	v_cmp_le_u32_e32 vcc, s38, v7
	v_lshl_add_u64 v[12:13], v[38:39], 1, s[16:17]
	s_nop 0
	v_cndmask_b32_e32 v7, v7, v8, vcc
	v_subrev_u32_e32 v8, s38, v7
	v_cmp_le_u32_e32 vcc, s38, v7
	s_nop 1
	v_cndmask_b32_e32 v38, v7, v8, vcc
	v_lshl_add_u64 v[14:15], v[38:39], 1, s[16:17]
	global_load_ushort v9, v[10:11], off
	global_load_ushort v8, v[12:13], off
	;; [unrolled: 1-line block ×3, first 2 shown]
.LBB31_35:                              ;   in Loop: Header=BB31_12 Depth=1
	v_cmp_ne_u32_e32 vcc, 0, v32
	s_and_saveexec_b64 s[28:29], vcc
	s_cbranch_execnz .LBB31_44
; %bb.36:                               ;   in Loop: Header=BB31_12 Depth=1
	s_or_b64 exec, exec, s[28:29]
	v_cmp_ne_u32_e32 vcc, 0, v33
	s_and_saveexec_b64 s[28:29], vcc
	s_cbranch_execnz .LBB31_45
.LBB31_37:                              ;   in Loop: Header=BB31_12 Depth=1
	s_or_b64 exec, exec, s[28:29]
	v_cmp_ne_u32_e32 vcc, 0, v34
	s_and_b64 exec, exec, vcc
	s_cbranch_execz .LBB31_39
.LBB31_38:                              ;   in Loop: Header=BB31_12 Depth=1
	v_cvt_f32_i32_e32 v2, v2
	s_waitcnt vmcnt(0)
	v_cvt_f32_f16_e32 v3, v7
	v_add_f32_e32 v1, v1, v2
	v_add_f32_e32 v1, v1, v3
	v_cvt_f16_f32_e32 v2, v1
	v_mov_b32_e32 v1, v39
	v_lshl_add_u64 v[0:1], v[0:1], 1, s[18:19]
	global_store_short v[0:1], v2, off
.LBB31_39:                              ;   in Loop: Header=BB31_12 Depth=1
	s_or_b64 exec, exec, s[6:7]
	v_add_u32_e32 v36, s43, v36
	v_add_u32_e32 v0, 3, v36
	v_cmp_gt_u32_e32 vcc, s23, v36
	v_cmp_le_u32_e64 s[6:7], s23, v0
	s_and_b64 s[6:7], vcc, s[6:7]
	s_and_saveexec_b64 s[28:29], s[6:7]
	s_cbranch_execz .LBB31_10
; %bb.40:                               ;   in Loop: Header=BB31_12 Depth=1
	v_cmp_ne_u32_e32 vcc, s44, v36
	s_and_saveexec_b64 s[30:31], vcc
	s_cbranch_execz .LBB31_9
; %bb.41:                               ;   in Loop: Header=BB31_12 Depth=1
	v_subrev_u32_e32 v0, s44, v36
	v_cmp_lt_u32_e32 vcc, 1, v0
	s_mov_b64 s[34:35], 0
	s_mov_b64 s[36:37], 0
	v_cndmask_b32_e32 v0, 1, v0, vcc
.LBB31_42:                              ;   Parent Loop BB31_12 Depth=1
                                        ; =>  This Inner Loop Header: Depth=2
	s_cmp_lg_u32 s36, 2
	s_cselect_b64 vcc, -1, 0
	s_cmp_lg_u32 s36, 1
	v_cndmask_b32_e32 v34, 0, v34, vcc
	s_cselect_b64 vcc, -1, 0
	s_cmp_lg_u32 s36, 0
	v_cndmask_b32_e32 v33, 0, v33, vcc
	s_cselect_b64 vcc, -1, 0
	s_add_u32 s36, s36, 1
	s_addc_u32 s37, s37, 0
	v_cmp_eq_u32_e64 s[6:7], s36, v0
	s_or_b64 s[34:35], s[6:7], s[34:35]
	v_cndmask_b32_e32 v32, 0, v32, vcc
	s_andn2_b64 exec, exec, s[34:35]
	s_cbranch_execnz .LBB31_42
; %bb.43:                               ;   in Loop: Header=BB31_12 Depth=1
	s_or_b64 exec, exec, s[34:35]
	s_branch .LBB31_9
.LBB31_44:                              ;   in Loop: Header=BB31_12 Depth=1
	v_cvt_f32_i32_e32 v6, v6
	s_waitcnt vmcnt(2)
	v_cvt_f32_f16_e32 v9, v9
	v_mov_b32_e32 v37, v39
	v_lshl_add_u64 v[10:11], v[36:37], 1, s[18:19]
	v_add_f32_e32 v5, v5, v6
	v_add_f32_e32 v5, v5, v9
	v_cvt_f16_f32_e32 v5, v5
	global_store_short v[10:11], v5, off
	s_or_b64 exec, exec, s[28:29]
	v_cmp_ne_u32_e32 vcc, 0, v33
	s_and_saveexec_b64 s[28:29], vcc
	s_cbranch_execz .LBB31_37
.LBB31_45:                              ;   in Loop: Header=BB31_12 Depth=1
	v_cvt_f32_i32_e32 v4, v4
	s_waitcnt vmcnt(1)
	v_cvt_f32_f16_e32 v5, v8
	v_mov_b32_e32 v37, v39
	v_add_f32_e32 v3, v3, v4
	v_add_f32_e32 v3, v3, v5
	v_cvt_f16_f32_e32 v3, v3
	v_lshl_add_u64 v[4:5], v[36:37], 1, s[26:27]
	global_store_short v[4:5], v3, off
	s_or_b64 exec, exec, s[28:29]
	v_cmp_ne_u32_e32 vcc, 0, v34
	s_and_b64 exec, exec, vcc
	s_cbranch_execnz .LBB31_38
	s_branch .LBB31_39
.LBB31_46:
	s_endpgm
	.section	.rodata,"a",@progbits
	.p2align	6, 0x0
	.amdhsa_kernel _Z16wvSplitK_hf_big_I6__halfLi64ELi3ELi16ELi8ELi2ELi1EEviiiiiiPKT_S3_S3_PS1_ii
		.amdhsa_group_segment_fixed_size 65536
		.amdhsa_private_segment_fixed_size 0
		.amdhsa_kernarg_size 64
		.amdhsa_user_sgpr_count 2
		.amdhsa_user_sgpr_dispatch_ptr 0
		.amdhsa_user_sgpr_queue_ptr 0
		.amdhsa_user_sgpr_kernarg_segment_ptr 1
		.amdhsa_user_sgpr_dispatch_id 0
		.amdhsa_user_sgpr_kernarg_preload_length 0
		.amdhsa_user_sgpr_kernarg_preload_offset 0
		.amdhsa_user_sgpr_private_segment_size 0
		.amdhsa_uses_dynamic_stack 0
		.amdhsa_enable_private_segment 0
		.amdhsa_system_sgpr_workgroup_id_x 1
		.amdhsa_system_sgpr_workgroup_id_y 0
		.amdhsa_system_sgpr_workgroup_id_z 0
		.amdhsa_system_sgpr_workgroup_info 0
		.amdhsa_system_vgpr_workitem_id 1
		.amdhsa_next_free_vgpr 53
		.amdhsa_next_free_sgpr 48
		.amdhsa_accum_offset 56
		.amdhsa_reserve_vcc 1
		.amdhsa_float_round_mode_32 0
		.amdhsa_float_round_mode_16_64 0
		.amdhsa_float_denorm_mode_32 3
		.amdhsa_float_denorm_mode_16_64 3
		.amdhsa_dx10_clamp 1
		.amdhsa_ieee_mode 1
		.amdhsa_fp16_overflow 0
		.amdhsa_tg_split 0
		.amdhsa_exception_fp_ieee_invalid_op 0
		.amdhsa_exception_fp_denorm_src 0
		.amdhsa_exception_fp_ieee_div_zero 0
		.amdhsa_exception_fp_ieee_overflow 0
		.amdhsa_exception_fp_ieee_underflow 0
		.amdhsa_exception_fp_ieee_inexact 0
		.amdhsa_exception_int_div_zero 0
	.end_amdhsa_kernel
	.section	.text._Z16wvSplitK_hf_big_I6__halfLi64ELi3ELi16ELi8ELi2ELi1EEviiiiiiPKT_S3_S3_PS1_ii,"axG",@progbits,_Z16wvSplitK_hf_big_I6__halfLi64ELi3ELi16ELi8ELi2ELi1EEviiiiiiPKT_S3_S3_PS1_ii,comdat
.Lfunc_end31:
	.size	_Z16wvSplitK_hf_big_I6__halfLi64ELi3ELi16ELi8ELi2ELi1EEviiiiiiPKT_S3_S3_PS1_ii, .Lfunc_end31-_Z16wvSplitK_hf_big_I6__halfLi64ELi3ELi16ELi8ELi2ELi1EEviiiiiiPKT_S3_S3_PS1_ii
                                        ; -- End function
	.section	.AMDGPU.csdata,"",@progbits
; Kernel info:
; codeLenInByte = 2372
; NumSgprs: 54
; NumVgprs: 53
; NumAgprs: 0
; TotalNumVgprs: 53
; ScratchSize: 0
; MemoryBound: 0
; FloatMode: 240
; IeeeMode: 1
; LDSByteSize: 65536 bytes/workgroup (compile time only)
; SGPRBlocks: 6
; VGPRBlocks: 6
; NumSGPRsForWavesPerEU: 54
; NumVGPRsForWavesPerEU: 53
; AccumOffset: 56
; Occupancy: 4
; WaveLimiterHint : 0
; COMPUTE_PGM_RSRC2:SCRATCH_EN: 0
; COMPUTE_PGM_RSRC2:USER_SGPR: 2
; COMPUTE_PGM_RSRC2:TRAP_HANDLER: 0
; COMPUTE_PGM_RSRC2:TGID_X_EN: 1
; COMPUTE_PGM_RSRC2:TGID_Y_EN: 0
; COMPUTE_PGM_RSRC2:TGID_Z_EN: 0
; COMPUTE_PGM_RSRC2:TIDIG_COMP_CNT: 1
; COMPUTE_PGM_RSRC3_GFX90A:ACCUM_OFFSET: 13
; COMPUTE_PGM_RSRC3_GFX90A:TG_SPLIT: 0
	.section	.text._Z16wvSplitK_hf_sml_I6__halfLi64ELi4ELi16ELi8ELi1ELi1EEviiiiiiPKT_S3_S3_PS1_ii,"axG",@progbits,_Z16wvSplitK_hf_sml_I6__halfLi64ELi4ELi16ELi8ELi1ELi1EEviiiiiiPKT_S3_S3_PS1_ii,comdat
	.protected	_Z16wvSplitK_hf_sml_I6__halfLi64ELi4ELi16ELi8ELi1ELi1EEviiiiiiPKT_S3_S3_PS1_ii ; -- Begin function _Z16wvSplitK_hf_sml_I6__halfLi64ELi4ELi16ELi8ELi1ELi1EEviiiiiiPKT_S3_S3_PS1_ii
	.globl	_Z16wvSplitK_hf_sml_I6__halfLi64ELi4ELi16ELi8ELi1ELi1EEviiiiiiPKT_S3_S3_PS1_ii
	.p2align	8
	.type	_Z16wvSplitK_hf_sml_I6__halfLi64ELi4ELi16ELi8ELi1ELi1EEviiiiiiPKT_S3_S3_PS1_ii,@function
_Z16wvSplitK_hf_sml_I6__halfLi64ELi4ELi16ELi8ELi1ELi1EEviiiiiiPKT_S3_S3_PS1_ii: ; @_Z16wvSplitK_hf_sml_I6__halfLi64ELi4ELi16ELi8ELi1ELi1EEviiiiiiPKT_S3_S3_PS1_ii
; %bb.0:
	s_load_dwordx4 s[4:7], s[0:1], 0x0
	s_load_dword s22, s[0:1], 0x10
	s_load_dwordx2 s[8:9], s[0:1], 0x28
	v_and_b32_e32 v2, 0x3ff, v0
	v_bfe_u32 v3, v0, 10, 10
	v_lshlrev_b32_e32 v38, 3, v2
	v_lshl_add_u32 v4, v3, 9, v38
	s_waitcnt lgkmcnt(0)
	s_min_u32 s3, s6, 0x8000
	v_cmp_gt_u32_e32 vcc, s3, v4
	s_and_saveexec_b64 s[10:11], vcc
	s_cbranch_execz .LBB32_3
; %bb.1:
	s_load_dwordx2 s[12:13], s[0:1], 0x20
	v_mov_b32_e32 v7, 0
	v_lshlrev_b32_e32 v6, 10, v3
	v_lshlrev_b32_e32 v8, 4, v2
	v_mov_b32_e32 v9, v7
	v_lshl_add_u64 v[0:1], v[6:7], 0, v[8:9]
	s_waitcnt lgkmcnt(0)
	v_lshl_add_u64 v[0:1], s[12:13], 0, v[0:1]
	v_add_u32_e32 v5, v6, v8
	s_mov_b64 s[12:13], 0
	s_mov_b64 s[14:15], 0x4000
.LBB32_2:                               ; =>This Inner Loop Header: Depth=1
	global_load_dwordx4 v[6:9], v[0:1], off
	v_add_u32_e32 v4, 0x2000, v4
	v_cmp_le_u32_e32 vcc, s3, v4
	v_lshl_add_u64 v[0:1], v[0:1], 0, s[14:15]
	s_or_b64 s[12:13], vcc, s[12:13]
	s_waitcnt vmcnt(0)
	ds_write_b128 v5, v[6:9]
	v_add_u32_e32 v5, 0x4000, v5
	s_andn2_b64 exec, exec, s[12:13]
	s_cbranch_execnz .LBB32_2
.LBB32_3:
	s_or_b64 exec, exec, s[10:11]
	s_load_dwordx2 s[14:15], s[0:1], 0x38
	s_waitcnt lgkmcnt(0)
	s_barrier
	v_cmp_gt_u32_e32 vcc, s14, v3
	s_and_saveexec_b64 s[10:11], vcc
	s_cbranch_execz .LBB32_18
; %bb.4:
	s_mul_i32 s2, s2, s14
	v_add_lshl_u32 v20, s2, v3, 2
	v_cmp_gt_u32_e32 vcc, s7, v20
	s_and_b64 exec, exec, vcc
	s_cbranch_execz .LBB32_18
; %bb.5:
	v_cvt_f32_u32_e32 v0, s22
	s_cmp_lg_u32 s4, 0
	s_cselect_b64 s[2:3], -1, 0
	s_add_i32 s6, s4, -8
	v_rcp_iflag_f32_e32 v0, v0
	s_add_i32 s23, s7, -1
	s_mul_i32 s18, s14, s15
	s_cmp_lg_u64 s[8:9], 0
	v_mul_f32_e32 v0, 0x4f7ffffe, v0
	v_cvt_u32_f32_e32 v0, v0
	s_load_dwordx2 s[10:11], s[0:1], 0x18
	s_load_dwordx2 s[12:13], s[0:1], 0x30
	s_cselect_b64 s[16:17], -1, 0
	s_lshl_b32 s24, s18, 2
	s_sub_i32 s18, 0, s22
	v_mul_lo_u32 v1, s18, v0
	v_mul_hi_u32 v1, v0, v1
	v_add_u32_e32 v39, v0, v1
	v_cndmask_b32_e64 v0, 0, 1, s[2:3]
	v_cmp_eq_u32_e64 s[0:1], 63, v2
	s_mov_b64 s[14:15], 0
	v_mov_b32_e32 v23, 0
	v_lshlrev_b32_e32 v40, 4, v2
	v_cmp_ne_u32_e64 s[2:3], 1, v0
	s_branch .LBB32_8
.LBB32_6:                               ;   in Loop: Header=BB32_8 Depth=1
	v_cvt_f32_i32_e32 v7, v7
	s_waitcnt vmcnt(3)
	v_cvt_f32_f16_e32 v11, v11
	v_cvt_f32_i32_e32 v6, v6
	v_cvt_f32_i32_e32 v5, v5
	v_add_f32_e32 v0, v0, v7
	v_cvt_f32_i32_e32 v4, v4
	v_add_f32_e32 v0, v0, v11
	v_add_f32_e32 v2, v2, v6
	;; [unrolled: 1-line block ×3, first 2 shown]
	v_cvt_f16_f32_e32 v5, v0
	s_waitcnt vmcnt(2)
	v_cvt_f32_f16_e32 v6, v10
	v_add_f32_e32 v4, v1, v4
	s_waitcnt lgkmcnt(0)
	v_lshl_add_u64 v[0:1], v[20:21], 1, s[12:13]
	global_store_short v[0:1], v5, off
	v_add_f32_e32 v0, v2, v6
	v_cvt_f16_f32_e32 v2, v0
	s_waitcnt vmcnt(2)
	v_cvt_f32_f16_e32 v5, v9
	s_waitcnt vmcnt(1)
	v_cvt_f32_f16_e32 v6, v8
	v_lshl_add_u64 v[0:1], v[28:29], 1, s[12:13]
	global_store_short v[0:1], v2, off
	v_add_f32_e32 v0, v3, v5
	v_cvt_f16_f32_e32 v2, v0
	v_add_f32_e32 v0, v4, v6
	v_cvt_f16_f32_e32 v3, v0
	v_lshl_add_u64 v[0:1], v[26:27], 1, s[12:13]
	global_store_short v[0:1], v2, off
	v_lshl_add_u64 v[0:1], v[24:25], 1, s[12:13]
	global_store_short v[0:1], v3, off
.LBB32_7:                               ;   in Loop: Header=BB32_8 Depth=1
	s_or_b64 exec, exec, s[18:19]
	v_add_u32_e32 v20, s24, v20
	v_cmp_le_u32_e32 vcc, s7, v20
	s_or_b64 s[14:15], vcc, s[14:15]
	s_andn2_b64 exec, exec, s[14:15]
	s_cbranch_execz .LBB32_18
.LBB32_8:                               ; =>This Loop Header: Depth=1
                                        ;     Child Loop BB32_11 Depth 2
	s_mov_b32 s20, 0
	s_and_b64 vcc, exec, s[2:3]
	v_or_b32_e32 v28, 1, v20
	v_or_b32_e32 v26, 2, v20
	v_or_b32_e32 v24, 3, v20
	v_mov_b32_e32 v29, v23
	v_mov_b32_e32 v27, v23
	;; [unrolled: 1-line block ×4, first 2 shown]
	s_cbranch_vccnz .LBB32_13
; %bb.9:                                ;   in Loop: Header=BB32_8 Depth=1
	v_min_u32_e32 v0, s23, v20
	v_mul_lo_u32 v30, v0, s5
	v_min_u32_e32 v0, s23, v28
	v_mul_lo_u32 v32, v0, s5
	;; [unrolled: 2-line block ×3, first 2 shown]
	v_min_u32_e32 v0, s23, v24
	v_mov_b32_e32 v31, v23
	v_mov_b32_e32 v33, v23
	;; [unrolled: 1-line block ×3, first 2 shown]
	v_mul_lo_u32 v36, v0, s5
	v_mov_b32_e32 v37, v23
	v_mov_b32_e32 v21, 0
	;; [unrolled: 1-line block ×6, first 2 shown]
	s_branch .LBB32_11
.LBB32_10:                              ;   in Loop: Header=BB32_11 Depth=2
	s_or_b64 exec, exec, s[18:19]
	s_waitcnt vmcnt(3) lgkmcnt(0)
	;;#ASMSTART
	v_dot2c_f32_f16 v29, v4, v16
	;;#ASMEND
	s_waitcnt vmcnt(2)
	;;#ASMSTART
	v_dot2c_f32_f16 v27, v4, v12
	;;#ASMEND
	s_waitcnt vmcnt(1)
	;;#ASMSTART
	v_dot2c_f32_f16 v25, v4, v8
	;;#ASMEND
	s_waitcnt vmcnt(0)
	;;#ASMSTART
	v_dot2c_f32_f16 v21, v4, v0
	;;#ASMEND
	s_addk_i32 s20, 0x200
	;;#ASMSTART
	v_dot2c_f32_f16 v29, v5, v17
	;;#ASMEND
	;;#ASMSTART
	v_dot2c_f32_f16 v27, v5, v13
	;;#ASMEND
	;;#ASMSTART
	v_dot2c_f32_f16 v25, v5, v9
	;;#ASMEND
	;;#ASMSTART
	v_dot2c_f32_f16 v21, v5, v1
	;;#ASMEND
	s_cmp_ge_u32 s20, s4
	;;#ASMSTART
	v_dot2c_f32_f16 v29, v6, v18
	;;#ASMEND
	;;#ASMSTART
	v_dot2c_f32_f16 v27, v6, v14
	;;#ASMEND
	;; [unrolled: 3-line block ×4, first 2 shown]
	v_add_u32_e32 v41, 0x400, v41
	;;#ASMSTART
	v_dot2c_f32_f16 v29, v7, v19
	;;#ASMEND
	;;#ASMSTART
	v_dot2c_f32_f16 v27, v7, v15
	;;#ASMEND
	;; [unrolled: 3-line block ×4, first 2 shown]
	s_cbranch_scc1 .LBB32_13
.LBB32_11:                              ;   Parent Loop BB32_8 Depth=1
                                        ; =>  This Inner Loop Header: Depth=2
	v_add_u32_e32 v42, s20, v38
	v_min_u32_e32 v22, s6, v42
	s_waitcnt lgkmcnt(0)
	v_lshl_add_u64 v[0:1], v[22:23], 1, s[10:11]
	v_lshl_add_u64 v[2:3], v[30:31], 1, v[0:1]
	;; [unrolled: 1-line block ×3, first 2 shown]
	global_load_dwordx4 v[16:19], v[2:3], off nt
	global_load_dwordx4 v[12:15], v[4:5], off nt
	v_lshl_add_u64 v[4:5], v[34:35], 1, v[0:1]
	v_lshl_add_u64 v[6:7], v[36:37], 1, v[0:1]
	global_load_dwordx4 v[8:11], v[4:5], off nt
	global_load_dwordx4 v[0:3], v[6:7], off nt
	v_cmp_gt_u32_e32 vcc, s4, v42
	v_mov_b32_e32 v4, 0
	v_mov_b32_e32 v5, 0
	;; [unrolled: 1-line block ×4, first 2 shown]
	s_and_saveexec_b64 s[18:19], vcc
	s_cbranch_execz .LBB32_10
; %bb.12:                               ;   in Loop: Header=BB32_11 Depth=2
	ds_read_b128 v[4:7], v41
	s_branch .LBB32_10
.LBB32_13:                              ;   in Loop: Header=BB32_8 Depth=1
	; sched_barrier mask(0x00000000)
	v_cvt_i32_f32_e32 v0, v29
	v_cvt_i32_f32_e32 v1, v27
	;; [unrolled: 1-line block ×4, first 2 shown]
	v_cvt_f32_i32_dpp v0, v0 row_shr:8 row_mask:0xf bank_mask:0xf bound_ctrl:1
	v_cvt_f32_i32_dpp v1, v1 row_shr:8 row_mask:0xf bank_mask:0xf bound_ctrl:1
	;; [unrolled: 1-line block ×4, first 2 shown]
	v_add_f32_e32 v0, v29, v0
	v_cvt_i32_f32_e32 v4, v0
	v_add_f32_e32 v1, v27, v1
	v_cvt_i32_f32_e32 v5, v1
	v_add_f32_e32 v2, v25, v2
	v_cvt_f32_i32_dpp v4, v4 row_shr:4 row_mask:0xf bank_mask:0xf bound_ctrl:1
	v_add_f32_e32 v3, v21, v3
	v_cvt_f32_i32_dpp v5, v5 row_shr:4 row_mask:0xf bank_mask:0xf bound_ctrl:1
	v_cvt_i32_f32_e32 v6, v2
	v_add_f32_e32 v0, v0, v4
	v_cvt_i32_f32_e32 v4, v0
	v_cvt_i32_f32_e32 v7, v3
	v_add_f32_e32 v1, v1, v5
	v_cvt_i32_f32_e32 v5, v1
	v_cvt_f32_i32_dpp v4, v4 row_shr:2 row_mask:0xf bank_mask:0xf bound_ctrl:1
	v_cvt_f32_i32_dpp v6, v6 row_shr:4 row_mask:0xf bank_mask:0xf bound_ctrl:1
	;; [unrolled: 1-line block ×4, first 2 shown]
	v_add_f32_e32 v0, v0, v4
	v_cvt_i32_f32_e32 v4, v0
	v_add_f32_e32 v2, v2, v6
	v_add_f32_e32 v3, v3, v7
	v_cvt_i32_f32_e32 v6, v2
	v_cvt_f32_i32_dpp v4, v4 row_shr:1 row_mask:0xf bank_mask:0xf bound_ctrl:1
	v_add_f32_e32 v1, v1, v5
	v_cvt_i32_f32_e32 v7, v3
	v_cvt_i32_f32_e32 v5, v1
	v_add_f32_e32 v0, v0, v4
	v_cvt_f32_i32_dpp v6, v6 row_shr:2 row_mask:0xf bank_mask:0xf bound_ctrl:1
	v_cvt_f32_i32_dpp v7, v7 row_shr:2 row_mask:0xf bank_mask:0xf bound_ctrl:1
	v_cvt_i32_f32_e32 v4, v0
	v_cvt_f32_i32_dpp v5, v5 row_shr:1 row_mask:0xf bank_mask:0xf bound_ctrl:1
	v_add_f32_e32 v2, v2, v6
	v_add_f32_e32 v3, v3, v7
	v_cvt_f32_i32_dpp v4, v4 row_bcast:15 row_mask:0xf bank_mask:0xf bound_ctrl:1
	v_add_f32_e32 v1, v1, v5
	v_cvt_i32_f32_e32 v5, v2
	v_cvt_i32_f32_e32 v6, v3
	v_add_f32_e32 v0, v0, v4
	v_cvt_i32_f32_e32 v7, v1
	v_cvt_f32_i32_dpp v5, v5 row_shr:1 row_mask:0xf bank_mask:0xf bound_ctrl:1
	v_cvt_f32_i32_dpp v4, v6 row_shr:1 row_mask:0xf bank_mask:0xf bound_ctrl:1
	v_cvt_f32_i32_dpp v6, v7 row_bcast:15 row_mask:0xf bank_mask:0xf bound_ctrl:1
	v_add_f32_e32 v5, v2, v5
	v_add_f32_e32 v4, v3, v4
	v_cvt_i32_f32_e32 v2, v5
	v_cvt_i32_f32_e32 v3, v4
	v_cvt_i32_f32_e32 v7, v0
	v_cvt_f32_i32_dpp v8, v2 row_bcast:15 row_mask:0xf bank_mask:0xf bound_ctrl:1
	v_add_f32_e32 v2, v1, v6
	v_cvt_f32_i32_dpp v1, v3 row_bcast:15 row_mask:0xf bank_mask:0xf bound_ctrl:1
	v_cvt_i32_f32_e32 v6, v2
	v_add_f32_e32 v3, v5, v8
	v_cvt_i32_f32_e32 v5, v3
	v_add_f32_e32 v1, v4, v1
	v_cvt_i32_f32_e32 v4, v1
	v_mov_b32_dpp v7, v7 row_bcast:31 row_mask:0xf bank_mask:0xf bound_ctrl:1
	v_mov_b32_dpp v6, v6 row_bcast:31 row_mask:0xf bank_mask:0xf bound_ctrl:1
	;; [unrolled: 1-line block ×4, first 2 shown]
	s_and_saveexec_b64 s[18:19], s[0:1]
	s_cbranch_execz .LBB32_7
; %bb.14:                               ;   in Loop: Header=BB32_8 Depth=1
	s_and_b64 vcc, exec, s[16:17]
	s_cbranch_vccz .LBB32_16
; %bb.15:                               ;   in Loop: Header=BB32_8 Depth=1
	v_mul_hi_u32 v8, v20, v39
	v_mul_lo_u32 v8, v8, s22
	v_sub_u32_e32 v8, v20, v8
	v_subrev_u32_e32 v9, s22, v8
	v_cmp_le_u32_e32 vcc, s22, v8
	v_mov_b32_e32 v21, v23
	v_mov_b32_e32 v29, v23
	v_cndmask_b32_e32 v8, v8, v9, vcc
	v_subrev_u32_e32 v9, s22, v8
	v_cmp_le_u32_e32 vcc, s22, v8
	v_mov_b32_e32 v27, v23
	v_mov_b32_e32 v25, v23
	v_cndmask_b32_e32 v22, v8, v9, vcc
	v_mul_hi_u32 v8, v28, v39
	v_mul_lo_u32 v8, v8, s22
	v_sub_u32_e32 v8, v28, v8
	v_subrev_u32_e32 v9, s22, v8
	v_cmp_le_u32_e32 vcc, s22, v8
	v_lshl_add_u64 v[12:13], v[22:23], 1, s[8:9]
	s_nop 0
	v_cndmask_b32_e32 v8, v8, v9, vcc
	v_subrev_u32_e32 v9, s22, v8
	v_cmp_le_u32_e32 vcc, s22, v8
	s_nop 1
	v_cndmask_b32_e32 v22, v8, v9, vcc
	v_mul_hi_u32 v8, v26, v39
	v_mul_lo_u32 v8, v8, s22
	v_sub_u32_e32 v8, v26, v8
	v_subrev_u32_e32 v9, s22, v8
	v_cmp_le_u32_e32 vcc, s22, v8
	v_lshl_add_u64 v[14:15], v[22:23], 1, s[8:9]
	s_nop 0
	v_cndmask_b32_e32 v8, v8, v9, vcc
	v_subrev_u32_e32 v9, s22, v8
	v_cmp_le_u32_e32 vcc, s22, v8
	s_nop 1
	;; [unrolled: 12-line block ×3, first 2 shown]
	v_cndmask_b32_e32 v22, v8, v9, vcc
	v_lshl_add_u64 v[18:19], v[22:23], 1, s[8:9]
	global_load_ushort v11, v[12:13], off
	global_load_ushort v10, v[14:15], off
	;; [unrolled: 1-line block ×4, first 2 shown]
	s_cbranch_execnz .LBB32_6
	s_branch .LBB32_17
.LBB32_16:                              ;   in Loop: Header=BB32_8 Depth=1
                                        ; implicit-def: $vgpr11
                                        ; implicit-def: $vgpr10
                                        ; implicit-def: $vgpr9
                                        ; implicit-def: $vgpr8
.LBB32_17:                              ;   in Loop: Header=BB32_8 Depth=1
	v_mov_b32_e32 v21, v23
	v_mov_b32_e32 v29, v23
	;; [unrolled: 1-line block ×4, first 2 shown]
	s_waitcnt vmcnt(0)
	v_mov_b32_e32 v8, 0
	v_mov_b32_e32 v9, 0
	v_mov_b32_e32 v10, 0
	v_mov_b32_e32 v11, 0
	s_branch .LBB32_6
.LBB32_18:
	s_endpgm
	.section	.rodata,"a",@progbits
	.p2align	6, 0x0
	.amdhsa_kernel _Z16wvSplitK_hf_sml_I6__halfLi64ELi4ELi16ELi8ELi1ELi1EEviiiiiiPKT_S3_S3_PS1_ii
		.amdhsa_group_segment_fixed_size 65536
		.amdhsa_private_segment_fixed_size 0
		.amdhsa_kernarg_size 64
		.amdhsa_user_sgpr_count 2
		.amdhsa_user_sgpr_dispatch_ptr 0
		.amdhsa_user_sgpr_queue_ptr 0
		.amdhsa_user_sgpr_kernarg_segment_ptr 1
		.amdhsa_user_sgpr_dispatch_id 0
		.amdhsa_user_sgpr_kernarg_preload_length 0
		.amdhsa_user_sgpr_kernarg_preload_offset 0
		.amdhsa_user_sgpr_private_segment_size 0
		.amdhsa_uses_dynamic_stack 0
		.amdhsa_enable_private_segment 0
		.amdhsa_system_sgpr_workgroup_id_x 1
		.amdhsa_system_sgpr_workgroup_id_y 0
		.amdhsa_system_sgpr_workgroup_id_z 0
		.amdhsa_system_sgpr_workgroup_info 0
		.amdhsa_system_vgpr_workitem_id 1
		.amdhsa_next_free_vgpr 43
		.amdhsa_next_free_sgpr 25
		.amdhsa_accum_offset 44
		.amdhsa_reserve_vcc 1
		.amdhsa_float_round_mode_32 0
		.amdhsa_float_round_mode_16_64 0
		.amdhsa_float_denorm_mode_32 3
		.amdhsa_float_denorm_mode_16_64 3
		.amdhsa_dx10_clamp 1
		.amdhsa_ieee_mode 1
		.amdhsa_fp16_overflow 0
		.amdhsa_tg_split 0
		.amdhsa_exception_fp_ieee_invalid_op 0
		.amdhsa_exception_fp_denorm_src 0
		.amdhsa_exception_fp_ieee_div_zero 0
		.amdhsa_exception_fp_ieee_overflow 0
		.amdhsa_exception_fp_ieee_underflow 0
		.amdhsa_exception_fp_ieee_inexact 0
		.amdhsa_exception_int_div_zero 0
	.end_amdhsa_kernel
	.section	.text._Z16wvSplitK_hf_sml_I6__halfLi64ELi4ELi16ELi8ELi1ELi1EEviiiiiiPKT_S3_S3_PS1_ii,"axG",@progbits,_Z16wvSplitK_hf_sml_I6__halfLi64ELi4ELi16ELi8ELi1ELi1EEviiiiiiPKT_S3_S3_PS1_ii,comdat
.Lfunc_end32:
	.size	_Z16wvSplitK_hf_sml_I6__halfLi64ELi4ELi16ELi8ELi1ELi1EEviiiiiiPKT_S3_S3_PS1_ii, .Lfunc_end32-_Z16wvSplitK_hf_sml_I6__halfLi64ELi4ELi16ELi8ELi1ELi1EEviiiiiiPKT_S3_S3_PS1_ii
                                        ; -- End function
	.section	.AMDGPU.csdata,"",@progbits
; Kernel info:
; codeLenInByte = 1708
; NumSgprs: 31
; NumVgprs: 43
; NumAgprs: 0
; TotalNumVgprs: 43
; ScratchSize: 0
; MemoryBound: 0
; FloatMode: 240
; IeeeMode: 1
; LDSByteSize: 65536 bytes/workgroup (compile time only)
; SGPRBlocks: 3
; VGPRBlocks: 5
; NumSGPRsForWavesPerEU: 31
; NumVGPRsForWavesPerEU: 43
; AccumOffset: 44
; Occupancy: 4
; WaveLimiterHint : 0
; COMPUTE_PGM_RSRC2:SCRATCH_EN: 0
; COMPUTE_PGM_RSRC2:USER_SGPR: 2
; COMPUTE_PGM_RSRC2:TRAP_HANDLER: 0
; COMPUTE_PGM_RSRC2:TGID_X_EN: 1
; COMPUTE_PGM_RSRC2:TGID_Y_EN: 0
; COMPUTE_PGM_RSRC2:TGID_Z_EN: 0
; COMPUTE_PGM_RSRC2:TIDIG_COMP_CNT: 1
; COMPUTE_PGM_RSRC3_GFX90A:ACCUM_OFFSET: 10
; COMPUTE_PGM_RSRC3_GFX90A:TG_SPLIT: 0
	.section	.text._Z12wvSplitK_hf_I6__halfLi64ELi4ELi16ELi8ELi1ELi1EEviiiiiiPKT_S3_S3_PS1_ii,"axG",@progbits,_Z12wvSplitK_hf_I6__halfLi64ELi4ELi16ELi8ELi1ELi1EEviiiiiiPKT_S3_S3_PS1_ii,comdat
	.protected	_Z12wvSplitK_hf_I6__halfLi64ELi4ELi16ELi8ELi1ELi1EEviiiiiiPKT_S3_S3_PS1_ii ; -- Begin function _Z12wvSplitK_hf_I6__halfLi64ELi4ELi16ELi8ELi1ELi1EEviiiiiiPKT_S3_S3_PS1_ii
	.globl	_Z12wvSplitK_hf_I6__halfLi64ELi4ELi16ELi8ELi1ELi1EEviiiiiiPKT_S3_S3_PS1_ii
	.p2align	8
	.type	_Z12wvSplitK_hf_I6__halfLi64ELi4ELi16ELi8ELi1ELi1EEviiiiiiPKT_S3_S3_PS1_ii,@function
_Z12wvSplitK_hf_I6__halfLi64ELi4ELi16ELi8ELi1ELi1EEviiiiiiPKT_S3_S3_PS1_ii: ; @_Z12wvSplitK_hf_I6__halfLi64ELi4ELi16ELi8ELi1ELi1EEviiiiiiPKT_S3_S3_PS1_ii
; %bb.0:
	s_load_dwordx2 s[20:21], s[0:1], 0x38
	s_load_dwordx4 s[8:11], s[0:1], 0x0
	s_load_dword s30, s[0:1], 0x10
	v_bfe_u32 v7, v0, 10, 10
	s_mov_b32 s4, 1
	s_waitcnt lgkmcnt(0)
	s_mul_i32 s2, s2, s20
	v_add_lshl_u32 v26, s2, v7, 2
	v_add_u32_e32 v1, 4, v26
	s_mov_b32 s5, s4
	v_cmp_gt_u32_e32 vcc, s11, v26
	v_cmp_le_u32_e64 s[2:3], s11, v1
	s_mov_b32 s6, s4
	s_mov_b32 s7, s4
	v_mov_b64_e32 v[2:3], s[4:5]
	s_and_b64 s[12:13], vcc, s[2:3]
	v_mov_b64_e32 v[4:5], s[6:7]
	s_and_saveexec_b64 s[2:3], s[12:13]
	s_cbranch_execz .LBB33_6
; %bb.1:
	s_add_i32 s18, s11, -4
	v_mov_b64_e32 v[2:3], s[4:5]
	v_cmp_ne_u32_e32 vcc, s18, v26
	v_mov_b64_e32 v[4:5], s[6:7]
	s_and_saveexec_b64 s[12:13], vcc
	s_cbranch_execz .LBB33_5
; %bb.2:
	v_subrev_u32_e32 v1, s18, v26
	v_cmp_lt_u32_e32 vcc, 1, v1
	s_mov_b64 s[14:15], 0
	s_mov_b64 s[16:17], 0
	v_cndmask_b32_e32 v6, 1, v1, vcc
	s_mov_b32 s5, s4
	s_mov_b32 s6, s4
	;; [unrolled: 1-line block ×3, first 2 shown]
.LBB33_3:                               ; =>This Inner Loop Header: Depth=1
	s_cmp_lg_u32 s16, 3
	s_cselect_b32 s7, s7, 0
	s_cmp_lg_u32 s16, 2
	s_cselect_b32 s6, s6, 0
	s_cmp_lg_u32 s16, 1
	s_cselect_b32 s5, s5, 0
	s_cmp_lg_u32 s16, 0
	s_cselect_b32 s4, s4, 0
	s_add_u32 s16, s16, 1
	s_addc_u32 s17, s17, 0
	v_cmp_eq_u32_e32 vcc, s16, v6
	v_mov_b64_e32 v[2:3], s[4:5]
	s_or_b64 s[14:15], vcc, s[14:15]
	v_mov_b64_e32 v[4:5], s[6:7]
	s_andn2_b64 exec, exec, s[14:15]
	s_cbranch_execnz .LBB33_3
; %bb.4:
	s_or_b64 exec, exec, s[14:15]
	v_mov_b32_e32 v26, s18
.LBB33_5:
	s_or_b64 exec, exec, s[12:13]
.LBB33_6:
	s_or_b64 exec, exec, s[2:3]
	s_load_dwordx4 s[12:15], s[0:1], 0x20
	v_and_b32_e32 v6, 0x3ff, v0
	v_lshlrev_b32_e32 v44, 3, v6
	v_lshl_add_u32 v8, v7, 9, v44
	s_min_u32 s10, s10, 0x8000
	v_cmp_gt_u32_e32 vcc, s10, v8
	s_and_saveexec_b64 s[2:3], vcc
	s_cbranch_execz .LBB33_9
; %bb.7:
	v_mov_b32_e32 v11, 0
	v_lshlrev_b32_e32 v10, 10, v7
	v_lshlrev_b32_e32 v12, 4, v6
	v_mov_b32_e32 v13, v11
	v_lshl_add_u64 v[0:1], v[10:11], 0, v[12:13]
	s_waitcnt lgkmcnt(0)
	v_lshl_add_u64 v[0:1], s[12:13], 0, v[0:1]
	v_add_u32_e32 v9, v10, v12
	s_mov_b64 s[4:5], 0
	s_mov_b64 s[6:7], 0x4000
.LBB33_8:                               ; =>This Inner Loop Header: Depth=1
	global_load_dwordx4 v[10:13], v[0:1], off
	v_add_u32_e32 v8, 0x2000, v8
	v_cmp_le_u32_e32 vcc, s10, v8
	v_lshl_add_u64 v[0:1], v[0:1], 0, s[6:7]
	s_or_b64 s[4:5], vcc, s[4:5]
	s_waitcnt vmcnt(0)
	ds_write_b128 v9, v[10:13]
	v_add_u32_e32 v9, 0x4000, v9
	s_andn2_b64 exec, exec, s[4:5]
	s_cbranch_execnz .LBB33_8
.LBB33_9:
	s_or_b64 exec, exec, s[2:3]
	v_cmp_gt_u32_e32 vcc, s20, v7
	v_cmp_gt_u32_e64 s[2:3], s11, v26
	s_and_b64 s[2:3], vcc, s[2:3]
	s_waitcnt lgkmcnt(0)
	s_barrier
	s_and_saveexec_b64 s[4:5], s[2:3]
	s_cbranch_execz .LBB33_38
; %bb.10:
	v_cvt_f32_u32_e32 v0, s30
	s_cmp_lg_u32 s8, 0
	s_cselect_b64 s[2:3], -1, 0
	s_add_i32 s10, s8, -8
	v_rcp_iflag_f32_e32 v0, v0
	s_add_i32 s31, s11, -1
	s_mul_i32 s6, s20, s21
	s_cmp_lg_u64 s[14:15], 0
	v_mul_f32_e32 v0, 0x4f7ffffe, v0
	v_cvt_u32_f32_e32 v0, v0
	s_cselect_b64 s[4:5], -1, 0
	s_lshl_b32 s33, s6, 2
	s_sub_i32 s6, 0, s30
	s_load_dwordx2 s[16:17], s[0:1], 0x18
	s_load_dwordx2 s[18:19], s[0:1], 0x30
	v_mul_lo_u32 v1, s6, v0
	v_mul_hi_u32 v1, v0, v1
	v_add_u32_e32 v45, v0, v1
	v_cndmask_b32_e64 v0, 0, 1, s[2:3]
	v_cmp_ne_u32_e64 s[2:3], 1, v0
	v_cndmask_b32_e64 v0, 0, 1, s[4:5]
	v_cmp_eq_u32_e64 s[0:1], 63, v6
	s_mov_b64 s[20:21], 0
	s_add_i32 s34, s11, -4
	v_mov_b32_e32 v1, 0
	v_lshlrev_b32_e32 v46, 4, v6
	s_movk_i32 s35, 0x7fff
	v_cmp_ne_u32_e64 s[4:5], 1, v0
	s_branch .LBB33_13
.LBB33_11:                              ;   in Loop: Header=BB33_13 Depth=1
	s_or_b64 exec, exec, s[24:25]
	v_mov_b32_e32 v26, s34
.LBB33_12:                              ;   in Loop: Header=BB33_13 Depth=1
	s_or_b64 exec, exec, s[22:23]
	v_cmp_le_u32_e32 vcc, s11, v26
	s_or_b64 s[20:21], vcc, s[20:21]
	s_andn2_b64 exec, exec, s[20:21]
	s_cbranch_execz .LBB33_38
.LBB33_13:                              ; =>This Loop Header: Depth=1
                                        ;     Child Loop BB33_17 Depth 2
                                        ;     Child Loop BB33_33 Depth 2
	s_mov_b32 s24, 0
	s_and_b64 vcc, exec, s[2:3]
	v_add_u32_e32 v32, 1, v26
	v_add_u32_e32 v30, 2, v26
	;; [unrolled: 1-line block ×3, first 2 shown]
	v_mov_b32_e32 v33, v1
	v_mov_b32_e32 v31, v1
	;; [unrolled: 1-line block ×4, first 2 shown]
	s_cbranch_vccnz .LBB33_22
; %bb.14:                               ;   in Loop: Header=BB33_13 Depth=1
	v_min_u32_e32 v0, s31, v26
	v_mul_lo_u32 v34, v0, s9
	v_min_u32_e32 v0, s31, v32
	v_mul_lo_u32 v36, v0, s9
	;; [unrolled: 2-line block ×3, first 2 shown]
	v_min_u32_e32 v0, s31, v28
	v_mov_b32_e32 v35, v1
	v_mov_b32_e32 v37, v1
	;; [unrolled: 1-line block ×3, first 2 shown]
	v_mul_lo_u32 v40, v0, s9
	v_mov_b32_e32 v41, v1
	v_mov_b32_e32 v27, 0
	;; [unrolled: 1-line block ×6, first 2 shown]
	s_branch .LBB33_17
.LBB33_15:                              ;   in Loop: Header=BB33_17 Depth=2
	s_or_b64 exec, exec, s[22:23]
.LBB33_16:                              ;   in Loop: Header=BB33_17 Depth=2
	s_or_b64 exec, exec, s[6:7]
	s_waitcnt vmcnt(0) lgkmcnt(0)
	;;#ASMSTART
	v_dot2c_f32_f16 v33, v10, v22
	;;#ASMEND
	;;#ASMSTART
	v_dot2c_f32_f16 v31, v10, v18
	;;#ASMEND
	;; [unrolled: 3-line block ×4, first 2 shown]
	s_addk_i32 s24, 0x200
	;;#ASMSTART
	v_dot2c_f32_f16 v33, v11, v23
	;;#ASMEND
	;;#ASMSTART
	v_dot2c_f32_f16 v31, v11, v19
	;;#ASMEND
	;; [unrolled: 3-line block ×4, first 2 shown]
	s_cmp_ge_u32 s24, s8
	;;#ASMSTART
	v_dot2c_f32_f16 v33, v12, v24
	;;#ASMEND
	;;#ASMSTART
	v_dot2c_f32_f16 v31, v12, v20
	;;#ASMEND
	;; [unrolled: 3-line block ×4, first 2 shown]
	v_add_u32_e32 v47, 0x400, v47
	;;#ASMSTART
	v_dot2c_f32_f16 v33, v13, v25
	;;#ASMEND
	;;#ASMSTART
	v_dot2c_f32_f16 v31, v13, v21
	;;#ASMEND
	;; [unrolled: 3-line block ×4, first 2 shown]
	s_cbranch_scc1 .LBB33_22
.LBB33_17:                              ;   Parent Loop BB33_13 Depth=1
                                        ; =>  This Inner Loop Header: Depth=2
	v_add_u32_e32 v42, s24, v44
	v_min_u32_e32 v0, s10, v42
	s_waitcnt lgkmcnt(0)
	v_lshl_add_u64 v[6:7], v[0:1], 1, s[16:17]
	v_lshl_add_u64 v[8:9], v[34:35], 1, v[6:7]
	;; [unrolled: 1-line block ×3, first 2 shown]
	global_load_dwordx4 v[22:25], v[8:9], off nt
	global_load_dwordx4 v[18:21], v[10:11], off nt
	v_lshl_add_u64 v[10:11], v[38:39], 1, v[6:7]
	v_lshl_add_u64 v[12:13], v[40:41], 1, v[6:7]
	global_load_dwordx4 v[14:17], v[10:11], off nt
	global_load_dwordx4 v[6:9], v[12:13], off nt
	v_cmp_gt_u32_e32 vcc, s8, v42
	v_mov_b32_e32 v10, 0
	v_mov_b32_e32 v11, 0
	v_mov_b32_e32 v12, 0
	v_mov_b32_e32 v13, 0
	s_and_saveexec_b64 s[6:7], vcc
	s_cbranch_execz .LBB33_16
; %bb.18:                               ;   in Loop: Header=BB33_17 Depth=2
	v_cmp_lt_u32_e32 vcc, s35, v42
                                        ; implicit-def: $vgpr13
	s_and_saveexec_b64 s[22:23], vcc
	s_xor_b64 s[22:23], exec, s[22:23]
	s_cbranch_execz .LBB33_20
; %bb.19:                               ;   in Loop: Header=BB33_17 Depth=2
	v_mov_b32_e32 v43, v1
	v_lshl_add_u64 v[10:11], v[42:43], 1, s[12:13]
	global_load_dwordx4 v[10:13], v[10:11], off
.LBB33_20:                              ;   in Loop: Header=BB33_17 Depth=2
	s_andn2_saveexec_b64 s[22:23], s[22:23]
	s_cbranch_execz .LBB33_15
; %bb.21:                               ;   in Loop: Header=BB33_17 Depth=2
	s_waitcnt vmcnt(0)
	ds_read_b128 v[10:13], v47
	s_branch .LBB33_15
.LBB33_22:                              ;   in Loop: Header=BB33_13 Depth=1
	v_cvt_i32_f32_e32 v0, v33
	v_cvt_i32_f32_e32 v6, v31
	;; [unrolled: 1-line block ×4, first 2 shown]
	v_cvt_f32_i32_dpp v0, v0 row_shr:8 row_mask:0xf bank_mask:0xf bound_ctrl:1
	v_cvt_f32_i32_dpp v6, v6 row_shr:8 row_mask:0xf bank_mask:0xf bound_ctrl:1
	;; [unrolled: 1-line block ×4, first 2 shown]
	v_add_f32_e32 v0, v33, v0
	v_cvt_i32_f32_e32 v9, v0
	v_add_f32_e32 v6, v31, v6
	v_cvt_i32_f32_e32 v10, v6
	v_add_f32_e32 v7, v29, v7
	v_cvt_f32_i32_dpp v9, v9 row_shr:4 row_mask:0xf bank_mask:0xf bound_ctrl:1
	v_add_f32_e32 v8, v27, v8
	v_cvt_f32_i32_dpp v10, v10 row_shr:4 row_mask:0xf bank_mask:0xf bound_ctrl:1
	v_cvt_i32_f32_e32 v11, v7
	v_add_f32_e32 v0, v0, v9
	v_cvt_i32_f32_e32 v9, v0
	v_cvt_i32_f32_e32 v12, v8
	v_add_f32_e32 v6, v6, v10
	v_cvt_i32_f32_e32 v10, v6
	v_cvt_f32_i32_dpp v9, v9 row_shr:2 row_mask:0xf bank_mask:0xf bound_ctrl:1
	v_cvt_f32_i32_dpp v11, v11 row_shr:4 row_mask:0xf bank_mask:0xf bound_ctrl:1
	;; [unrolled: 1-line block ×4, first 2 shown]
	v_add_f32_e32 v0, v0, v9
	v_cvt_i32_f32_e32 v9, v0
	v_add_f32_e32 v7, v7, v11
	v_add_f32_e32 v8, v8, v12
	v_cvt_i32_f32_e32 v11, v7
	v_cvt_f32_i32_dpp v9, v9 row_shr:1 row_mask:0xf bank_mask:0xf bound_ctrl:1
	v_add_f32_e32 v6, v6, v10
	v_cvt_i32_f32_e32 v12, v8
	v_cvt_i32_f32_e32 v10, v6
	v_add_f32_e32 v0, v0, v9
	v_cvt_f32_i32_dpp v11, v11 row_shr:2 row_mask:0xf bank_mask:0xf bound_ctrl:1
	v_cvt_f32_i32_dpp v12, v12 row_shr:2 row_mask:0xf bank_mask:0xf bound_ctrl:1
	v_cvt_i32_f32_e32 v9, v0
	v_cvt_f32_i32_dpp v10, v10 row_shr:1 row_mask:0xf bank_mask:0xf bound_ctrl:1
	v_add_f32_e32 v7, v7, v11
	v_add_f32_e32 v8, v8, v12
	v_cvt_f32_i32_dpp v9, v9 row_bcast:15 row_mask:0xf bank_mask:0xf bound_ctrl:1
	v_add_f32_e32 v6, v6, v10
	v_cvt_i32_f32_e32 v10, v7
	v_cvt_i32_f32_e32 v12, v8
	v_add_f32_e32 v11, v0, v9
	v_cvt_i32_f32_e32 v13, v6
	v_cvt_f32_i32_dpp v10, v10 row_shr:1 row_mask:0xf bank_mask:0xf bound_ctrl:1
	v_cvt_f32_i32_dpp v0, v12 row_shr:1 row_mask:0xf bank_mask:0xf bound_ctrl:1
	v_cvt_i32_f32_e32 v12, v11
	v_cvt_f32_i32_dpp v9, v13 row_bcast:15 row_mask:0xf bank_mask:0xf bound_ctrl:1
	v_add_f32_e32 v7, v7, v10
	v_add_f32_e32 v0, v8, v0
	v_cvt_i32_f32_e32 v10, v7
	v_cvt_i32_f32_e32 v8, v0
	s_nop 0
	v_cvt_f32_i32_dpp v13, v10 row_bcast:15 row_mask:0xf bank_mask:0xf bound_ctrl:1
	v_add_f32_e32 v10, v6, v9
	v_cvt_f32_i32_dpp v6, v8 row_bcast:15 row_mask:0xf bank_mask:0xf bound_ctrl:1
	v_cvt_i32_f32_e32 v9, v10
	v_add_f32_e32 v8, v7, v13
	v_cvt_i32_f32_e32 v7, v8
	v_add_f32_e32 v6, v0, v6
	v_cvt_i32_f32_e32 v0, v6
	v_mov_b32_dpp v13, v12 row_bcast:31 row_mask:0xf bank_mask:0xf bound_ctrl:1
	v_mov_b32_dpp v12, v9 row_bcast:31 row_mask:0xf bank_mask:0xf bound_ctrl:1
	;; [unrolled: 1-line block ×4, first 2 shown]
	s_and_saveexec_b64 s[6:7], s[0:1]
	s_cbranch_execz .LBB33_30
; %bb.23:                               ;   in Loop: Header=BB33_13 Depth=1
	s_and_b64 vcc, exec, s[4:5]
	v_mov_b32_e32 v0, 0
	v_mov_b32_e32 v14, 0
	;; [unrolled: 1-line block ×4, first 2 shown]
	s_cbranch_vccnz .LBB33_25
; %bb.24:                               ;   in Loop: Header=BB33_13 Depth=1
	v_mul_hi_u32 v0, v26, v45
	v_mul_lo_u32 v0, v0, s30
	v_sub_u32_e32 v0, v26, v0
	v_subrev_u32_e32 v14, s30, v0
	v_cmp_le_u32_e32 vcc, s30, v0
	s_nop 1
	v_cndmask_b32_e32 v0, v0, v14, vcc
	v_subrev_u32_e32 v14, s30, v0
	v_cmp_le_u32_e32 vcc, s30, v0
	s_nop 1
	v_cndmask_b32_e32 v0, v0, v14, vcc
	v_lshl_add_u64 v[18:19], v[0:1], 1, s[14:15]
	v_mul_hi_u32 v0, v32, v45
	v_mul_lo_u32 v0, v0, s30
	v_sub_u32_e32 v0, v32, v0
	v_subrev_u32_e32 v14, s30, v0
	v_cmp_le_u32_e32 vcc, s30, v0
	s_nop 1
	v_cndmask_b32_e32 v0, v0, v14, vcc
	v_subrev_u32_e32 v14, s30, v0
	v_cmp_le_u32_e32 vcc, s30, v0
	s_nop 1
	v_cndmask_b32_e32 v0, v0, v14, vcc
	v_lshl_add_u64 v[20:21], v[0:1], 1, s[14:15]
	;; [unrolled: 12-line block ×4, first 2 shown]
	global_load_ushort v16, v[18:19], off
	global_load_ushort v15, v[20:21], off
	;; [unrolled: 1-line block ×4, first 2 shown]
.LBB33_25:                              ;   in Loop: Header=BB33_13 Depth=1
	v_cmp_ne_u32_e32 vcc, 0, v2
	s_and_saveexec_b64 s[22:23], vcc
	s_cbranch_execnz .LBB33_35
; %bb.26:                               ;   in Loop: Header=BB33_13 Depth=1
	s_or_b64 exec, exec, s[22:23]
	v_cmp_ne_u32_e32 vcc, 0, v3
	s_and_saveexec_b64 s[22:23], vcc
	s_cbranch_execnz .LBB33_36
.LBB33_27:                              ;   in Loop: Header=BB33_13 Depth=1
	s_or_b64 exec, exec, s[22:23]
	v_cmp_ne_u32_e32 vcc, 0, v4
	s_and_saveexec_b64 s[22:23], vcc
	s_cbranch_execnz .LBB33_37
.LBB33_28:                              ;   in Loop: Header=BB33_13 Depth=1
	s_or_b64 exec, exec, s[22:23]
	v_cmp_ne_u32_e32 vcc, 0, v5
	s_and_b64 exec, exec, vcc
	s_cbranch_execz .LBB33_30
.LBB33_29:                              ;   in Loop: Header=BB33_13 Depth=1
	v_cvt_f32_i32_e32 v7, v7
	s_waitcnt vmcnt(0)
	v_cvt_f32_f16_e32 v0, v0
	v_mov_b32_e32 v29, v1
	v_add_f32_e32 v6, v6, v7
	v_add_f32_e32 v0, v6, v0
	v_cvt_f16_f32_e32 v0, v0
	s_waitcnt lgkmcnt(0)
	v_lshl_add_u64 v[6:7], v[28:29], 1, s[18:19]
	global_store_short v[6:7], v0, off
.LBB33_30:                              ;   in Loop: Header=BB33_13 Depth=1
	s_or_b64 exec, exec, s[6:7]
	v_add_u32_e32 v26, s33, v26
	s_waitcnt vmcnt(0)
	v_add_u32_e32 v0, 4, v26
	v_cmp_gt_u32_e32 vcc, s11, v26
	v_cmp_le_u32_e64 s[6:7], s11, v0
	s_and_b64 s[6:7], vcc, s[6:7]
	s_and_saveexec_b64 s[22:23], s[6:7]
	s_cbranch_execz .LBB33_12
; %bb.31:                               ;   in Loop: Header=BB33_13 Depth=1
	v_cmp_ne_u32_e32 vcc, s34, v26
	s_and_saveexec_b64 s[24:25], vcc
	s_cbranch_execz .LBB33_11
; %bb.32:                               ;   in Loop: Header=BB33_13 Depth=1
	v_subrev_u32_e32 v0, s34, v26
	v_cmp_lt_u32_e32 vcc, 1, v0
	s_mov_b64 s[26:27], 0
	s_mov_b64 s[28:29], 0
	v_cndmask_b32_e32 v0, 1, v0, vcc
.LBB33_33:                              ;   Parent Loop BB33_13 Depth=1
                                        ; =>  This Inner Loop Header: Depth=2
	s_cmp_lg_u32 s28, 3
	s_cselect_b64 vcc, -1, 0
	s_cmp_lg_u32 s28, 2
	v_cndmask_b32_e32 v5, 0, v5, vcc
	s_cselect_b64 vcc, -1, 0
	s_cmp_lg_u32 s28, 1
	v_cndmask_b32_e32 v4, 0, v4, vcc
	;; [unrolled: 3-line block ×3, first 2 shown]
	s_cselect_b64 vcc, -1, 0
	s_add_u32 s28, s28, 1
	s_addc_u32 s29, s29, 0
	v_cmp_eq_u32_e64 s[6:7], s28, v0
	s_or_b64 s[26:27], s[6:7], s[26:27]
	v_cndmask_b32_e32 v2, 0, v2, vcc
	s_andn2_b64 exec, exec, s[26:27]
	s_cbranch_execnz .LBB33_33
; %bb.34:                               ;   in Loop: Header=BB33_13 Depth=1
	s_or_b64 exec, exec, s[26:27]
	s_branch .LBB33_11
.LBB33_35:                              ;   in Loop: Header=BB33_13 Depth=1
	v_cvt_f32_i32_e32 v13, v13
	s_waitcnt vmcnt(3)
	v_cvt_f32_f16_e32 v16, v16
	v_mov_b32_e32 v27, v1
	v_add_f32_e32 v11, v11, v13
	v_add_f32_e32 v11, v11, v16
	v_cvt_f16_f32_e32 v11, v11
	s_waitcnt lgkmcnt(0)
	v_lshl_add_u64 v[16:17], v[26:27], 1, s[18:19]
	global_store_short v[16:17], v11, off
	s_or_b64 exec, exec, s[22:23]
	v_cmp_ne_u32_e32 vcc, 0, v3
	s_and_saveexec_b64 s[22:23], vcc
	s_cbranch_execz .LBB33_27
.LBB33_36:                              ;   in Loop: Header=BB33_13 Depth=1
	v_cvt_f32_i32_e32 v11, v12
	s_waitcnt vmcnt(2)
	v_cvt_f32_f16_e32 v12, v15
	v_mov_b32_e32 v33, v1
	v_add_f32_e32 v10, v10, v11
	v_add_f32_e32 v10, v10, v12
	v_cvt_f16_f32_e32 v12, v10
	s_waitcnt lgkmcnt(0)
	v_lshl_add_u64 v[10:11], v[32:33], 1, s[18:19]
	global_store_short v[10:11], v12, off
	s_or_b64 exec, exec, s[22:23]
	v_cmp_ne_u32_e32 vcc, 0, v4
	s_and_saveexec_b64 s[22:23], vcc
	s_cbranch_execz .LBB33_28
.LBB33_37:                              ;   in Loop: Header=BB33_13 Depth=1
	v_cvt_f32_i32_e32 v9, v9
	s_waitcnt vmcnt(1)
	v_cvt_f32_f16_e32 v10, v14
	v_mov_b32_e32 v31, v1
	v_add_f32_e32 v8, v8, v9
	v_add_f32_e32 v8, v8, v10
	v_cvt_f16_f32_e32 v10, v8
	s_waitcnt lgkmcnt(0)
	v_lshl_add_u64 v[8:9], v[30:31], 1, s[18:19]
	global_store_short v[8:9], v10, off
	s_or_b64 exec, exec, s[22:23]
	v_cmp_ne_u32_e32 vcc, 0, v5
	s_and_b64 exec, exec, vcc
	s_cbranch_execnz .LBB33_29
	s_branch .LBB33_30
.LBB33_38:
	s_endpgm
	.section	.rodata,"a",@progbits
	.p2align	6, 0x0
	.amdhsa_kernel _Z12wvSplitK_hf_I6__halfLi64ELi4ELi16ELi8ELi1ELi1EEviiiiiiPKT_S3_S3_PS1_ii
		.amdhsa_group_segment_fixed_size 65536
		.amdhsa_private_segment_fixed_size 0
		.amdhsa_kernarg_size 64
		.amdhsa_user_sgpr_count 2
		.amdhsa_user_sgpr_dispatch_ptr 0
		.amdhsa_user_sgpr_queue_ptr 0
		.amdhsa_user_sgpr_kernarg_segment_ptr 1
		.amdhsa_user_sgpr_dispatch_id 0
		.amdhsa_user_sgpr_kernarg_preload_length 0
		.amdhsa_user_sgpr_kernarg_preload_offset 0
		.amdhsa_user_sgpr_private_segment_size 0
		.amdhsa_uses_dynamic_stack 0
		.amdhsa_enable_private_segment 0
		.amdhsa_system_sgpr_workgroup_id_x 1
		.amdhsa_system_sgpr_workgroup_id_y 0
		.amdhsa_system_sgpr_workgroup_id_z 0
		.amdhsa_system_sgpr_workgroup_info 0
		.amdhsa_system_vgpr_workitem_id 1
		.amdhsa_next_free_vgpr 48
		.amdhsa_next_free_sgpr 36
		.amdhsa_accum_offset 48
		.amdhsa_reserve_vcc 1
		.amdhsa_float_round_mode_32 0
		.amdhsa_float_round_mode_16_64 0
		.amdhsa_float_denorm_mode_32 3
		.amdhsa_float_denorm_mode_16_64 3
		.amdhsa_dx10_clamp 1
		.amdhsa_ieee_mode 1
		.amdhsa_fp16_overflow 0
		.amdhsa_tg_split 0
		.amdhsa_exception_fp_ieee_invalid_op 0
		.amdhsa_exception_fp_denorm_src 0
		.amdhsa_exception_fp_ieee_div_zero 0
		.amdhsa_exception_fp_ieee_overflow 0
		.amdhsa_exception_fp_ieee_underflow 0
		.amdhsa_exception_fp_ieee_inexact 0
		.amdhsa_exception_int_div_zero 0
	.end_amdhsa_kernel
	.section	.text._Z12wvSplitK_hf_I6__halfLi64ELi4ELi16ELi8ELi1ELi1EEviiiiiiPKT_S3_S3_PS1_ii,"axG",@progbits,_Z12wvSplitK_hf_I6__halfLi64ELi4ELi16ELi8ELi1ELi1EEviiiiiiPKT_S3_S3_PS1_ii,comdat
.Lfunc_end33:
	.size	_Z12wvSplitK_hf_I6__halfLi64ELi4ELi16ELi8ELi1ELi1EEviiiiiiPKT_S3_S3_PS1_ii, .Lfunc_end33-_Z12wvSplitK_hf_I6__halfLi64ELi4ELi16ELi8ELi1ELi1EEviiiiiiPKT_S3_S3_PS1_ii
                                        ; -- End function
	.section	.AMDGPU.csdata,"",@progbits
; Kernel info:
; codeLenInByte = 2216
; NumSgprs: 42
; NumVgprs: 48
; NumAgprs: 0
; TotalNumVgprs: 48
; ScratchSize: 0
; MemoryBound: 0
; FloatMode: 240
; IeeeMode: 1
; LDSByteSize: 65536 bytes/workgroup (compile time only)
; SGPRBlocks: 5
; VGPRBlocks: 5
; NumSGPRsForWavesPerEU: 42
; NumVGPRsForWavesPerEU: 48
; AccumOffset: 48
; Occupancy: 4
; WaveLimiterHint : 0
; COMPUTE_PGM_RSRC2:SCRATCH_EN: 0
; COMPUTE_PGM_RSRC2:USER_SGPR: 2
; COMPUTE_PGM_RSRC2:TRAP_HANDLER: 0
; COMPUTE_PGM_RSRC2:TGID_X_EN: 1
; COMPUTE_PGM_RSRC2:TGID_Y_EN: 0
; COMPUTE_PGM_RSRC2:TGID_Z_EN: 0
; COMPUTE_PGM_RSRC2:TIDIG_COMP_CNT: 1
; COMPUTE_PGM_RSRC3_GFX90A:ACCUM_OFFSET: 11
; COMPUTE_PGM_RSRC3_GFX90A:TG_SPLIT: 0
	.section	.text._Z16wvSplitK_hf_big_I6__halfLi64ELi4ELi16ELi8ELi1ELi1EEviiiiiiPKT_S3_S3_PS1_ii,"axG",@progbits,_Z16wvSplitK_hf_big_I6__halfLi64ELi4ELi16ELi8ELi1ELi1EEviiiiiiPKT_S3_S3_PS1_ii,comdat
	.protected	_Z16wvSplitK_hf_big_I6__halfLi64ELi4ELi16ELi8ELi1ELi1EEviiiiiiPKT_S3_S3_PS1_ii ; -- Begin function _Z16wvSplitK_hf_big_I6__halfLi64ELi4ELi16ELi8ELi1ELi1EEviiiiiiPKT_S3_S3_PS1_ii
	.globl	_Z16wvSplitK_hf_big_I6__halfLi64ELi4ELi16ELi8ELi1ELi1EEviiiiiiPKT_S3_S3_PS1_ii
	.p2align	8
	.type	_Z16wvSplitK_hf_big_I6__halfLi64ELi4ELi16ELi8ELi1ELi1EEviiiiiiPKT_S3_S3_PS1_ii,@function
_Z16wvSplitK_hf_big_I6__halfLi64ELi4ELi16ELi8ELi1ELi1EEviiiiiiPKT_S3_S3_PS1_ii: ; @_Z16wvSplitK_hf_big_I6__halfLi64ELi4ELi16ELi8ELi1ELi1EEviiiiiiPKT_S3_S3_PS1_ii
; %bb.0:
	s_load_dwordx2 s[8:9], s[0:1], 0x38
	v_bfe_u32 v7, v0, 10, 10
	s_waitcnt lgkmcnt(0)
	v_cmp_gt_u32_e32 vcc, s8, v7
	s_and_saveexec_b64 s[4:5], vcc
	s_cbranch_execz .LBB34_46
; %bb.1:
	s_load_dwordx4 s[20:23], s[0:1], 0x0
	s_mul_i32 s2, s2, s8
	v_add_lshl_u32 v26, s2, v7, 2
	s_mov_b32 s4, 1
	v_add_u32_e32 v1, 4, v26
	s_mov_b32 s5, s4
	s_waitcnt lgkmcnt(0)
	v_cmp_gt_u32_e32 vcc, s23, v26
	v_cmp_le_u32_e64 s[2:3], s23, v1
	s_mov_b32 s6, s4
	s_mov_b32 s7, s4
	v_mov_b64_e32 v[2:3], s[4:5]
	s_and_b64 s[10:11], vcc, s[2:3]
	v_mov_b64_e32 v[4:5], s[6:7]
	s_and_saveexec_b64 s[2:3], s[10:11]
	s_cbranch_execz .LBB34_7
; %bb.2:
	s_add_i32 s16, s23, -4
	v_mov_b64_e32 v[2:3], s[4:5]
	v_cmp_ne_u32_e32 vcc, s16, v26
	v_mov_b64_e32 v[4:5], s[6:7]
	s_and_saveexec_b64 s[10:11], vcc
	s_cbranch_execz .LBB34_6
; %bb.3:
	v_subrev_u32_e32 v1, s16, v26
	v_cmp_lt_u32_e32 vcc, 1, v1
	s_mov_b64 s[12:13], 0
	s_mov_b64 s[14:15], 0
	v_cndmask_b32_e32 v6, 1, v1, vcc
	s_mov_b32 s5, s4
	s_mov_b32 s6, s4
	;; [unrolled: 1-line block ×3, first 2 shown]
.LBB34_4:                               ; =>This Inner Loop Header: Depth=1
	s_cmp_lg_u32 s14, 3
	s_cselect_b32 s7, s7, 0
	s_cmp_lg_u32 s14, 2
	s_cselect_b32 s6, s6, 0
	;; [unrolled: 2-line block ×4, first 2 shown]
	s_add_u32 s14, s14, 1
	s_addc_u32 s15, s15, 0
	v_cmp_eq_u32_e32 vcc, s14, v6
	v_mov_b64_e32 v[2:3], s[4:5]
	s_or_b64 s[12:13], vcc, s[12:13]
	v_mov_b64_e32 v[4:5], s[6:7]
	s_andn2_b64 exec, exec, s[12:13]
	s_cbranch_execnz .LBB34_4
; %bb.5:
	s_or_b64 exec, exec, s[12:13]
	v_mov_b32_e32 v26, s16
.LBB34_6:
	s_or_b64 exec, exec, s[10:11]
.LBB34_7:
	s_or_b64 exec, exec, s[2:3]
	s_lshl_b32 s2, s8, 2
	s_abs_i32 s3, s2
	v_cvt_f32_u32_e32 v1, s3
	s_sub_i32 s6, 0, s3
	s_abs_i32 s5, s23
	s_ashr_i32 s4, s23, 31
	v_rcp_iflag_f32_e32 v1, v1
	s_nop 0
	v_mul_f32_e32 v1, 0x4f7ffffe, v1
	v_cvt_u32_f32_e32 v1, v1
	s_nop 0
	v_readfirstlane_b32 s7, v1
	s_mul_i32 s6, s6, s7
	s_mul_hi_u32 s6, s7, s6
	s_add_i32 s7, s7, s6
	s_mul_hi_u32 s6, s5, s7
	s_mul_i32 s6, s6, s3
	s_sub_i32 s5, s5, s6
	s_sub_i32 s6, s5, s3
	s_cmp_ge_u32 s5, s3
	s_cselect_b32 s5, s6, s5
	s_sub_i32 s6, s5, s3
	s_cmp_ge_u32 s5, s3
	s_cselect_b32 s3, s6, s5
	s_xor_b32 s3, s3, s4
	s_sub_i32 s3, s3, s4
	s_add_i32 s2, s2, s23
	s_sub_i32 s2, s2, s3
	s_cmp_eq_u32 s3, 0
	s_cselect_b32 s33, s23, s2
	v_cmp_gt_u32_e32 vcc, s33, v26
	s_and_b64 exec, exec, vcc
	s_cbranch_execz .LBB34_46
; %bb.8:
	s_load_dwordx8 s[12:19], s[0:1], 0x18
	s_load_dword s38, s[0:1], 0x10
	s_min_u32 s39, s22, 0x8000
	s_cmp_lg_u32 s20, 0
	s_cselect_b64 s[2:3], -1, 0
	s_cmp_lg_u32 s22, 0
	s_waitcnt lgkmcnt(0)
	v_cvt_f32_u32_e32 v1, s38
	s_mul_i32 s0, s9, s8
	s_cselect_b64 s[4:5], -1, 0
	s_lshl_b32 s40, s8, 9
	v_rcp_iflag_f32_e32 v1, v1
	s_add_i32 s41, s20, -8
	s_add_i32 s42, s23, -1
	s_lshl_b32 s43, s0, 2
	v_mul_f32_e32 v1, 0x4f7ffffe, v1
	v_cvt_u32_f32_e32 v1, v1
	v_and_b32_e32 v0, 0x3ff, v0
	s_cmp_lg_u64 s[16:17], 0
	v_lshlrev_b32_e32 v36, 3, v0
	v_cmp_eq_u32_e64 s[0:1], 63, v0
	s_cselect_b64 s[24:25], -1, 0
	s_sub_i32 s6, 0, s38
	v_lshlrev_b32_e32 v0, 4, v0
	s_add_i32 s44, s23, -4
	v_mul_lo_u32 v6, s6, v1
	v_lshl_add_u32 v38, v7, 10, v0
	v_cndmask_b32_e64 v0, 0, 1, s[2:3]
	v_mul_hi_u32 v6, v1, v6
	s_add_u32 s26, s18, 2
	v_cmp_ne_u32_e64 s[2:3], 1, v0
	v_cndmask_b32_e64 v0, 0, 1, s[4:5]
	s_mov_b64 s[10:11], 0
	v_add_u32_e32 v37, v1, v6
	v_mov_b32_e32 v1, 0
	s_addc_u32 s27, s19, 0
	s_lshl_b32 s45, s8, 10
	v_lshl_add_u32 v39, v7, 9, v36
	v_cmp_ne_u32_e64 s[4:5], 1, v0
	s_branch .LBB34_12
.LBB34_9:                               ;   in Loop: Header=BB34_12 Depth=1
	s_or_b64 exec, exec, s[30:31]
	v_mov_b32_e32 v26, s44
.LBB34_10:                              ;   in Loop: Header=BB34_12 Depth=1
	s_or_b64 exec, exec, s[28:29]
.LBB34_11:                              ;   in Loop: Header=BB34_12 Depth=1
	s_or_b64 exec, exec, s[8:9]
	v_cmp_le_u32_e32 vcc, s33, v26
	s_or_b64 s[10:11], vcc, s[10:11]
	s_andn2_b64 exec, exec, s[10:11]
	s_cbranch_execz .LBB34_46
.LBB34_12:                              ; =>This Loop Header: Depth=1
                                        ;     Child Loop BB34_16 Depth 2
                                        ;       Child Loop BB34_21 Depth 3
                                        ;     Child Loop BB34_41 Depth 2
	s_mov_b32 s34, 0
	s_and_b64 vcc, exec, s[2:3]
	v_mov_b32_e32 v42, v1
	v_mov_b32_e32 v41, v1
	;; [unrolled: 1-line block ×4, first 2 shown]
	s_cbranch_vccnz .LBB34_27
; %bb.13:                               ;   in Loop: Header=BB34_12 Depth=1
	v_min_u32_e32 v0, s42, v26
	v_mul_lo_u32 v28, v0, s21
	v_add_u32_e32 v0, 1, v26
	v_min_u32_e32 v0, s42, v0
	v_mul_lo_u32 v30, v0, s21
	v_add_u32_e32 v0, 2, v26
	;; [unrolled: 3-line block ×3, first 2 shown]
	v_min_u32_e32 v0, s42, v0
	v_cmp_gt_u32_e64 s[6:7], s23, v26
	v_mov_b32_e32 v29, v1
	v_mov_b32_e32 v31, v1
	v_mov_b32_e32 v33, v1
	v_mul_lo_u32 v34, v0, s21
	v_mov_b32_e32 v35, v1
	v_mov_b32_e32 v27, 0
	;; [unrolled: 1-line block ×5, first 2 shown]
	s_mov_b32 s35, 0
	s_branch .LBB34_16
.LBB34_14:                              ;   in Loop: Header=BB34_16 Depth=2
	s_or_b64 exec, exec, s[28:29]
	s_waitcnt vmcnt(3) lgkmcnt(0)
	;;#ASMSTART
	v_dot2c_f32_f16 v42, v10, v22
	;;#ASMEND
	s_waitcnt vmcnt(2)
	;;#ASMSTART
	v_dot2c_f32_f16 v41, v10, v18
	;;#ASMEND
	s_waitcnt vmcnt(1)
	;; [unrolled: 4-line block ×3, first 2 shown]
	;;#ASMSTART
	v_dot2c_f32_f16 v27, v10, v6
	;;#ASMEND
	;;#ASMSTART
	v_dot2c_f32_f16 v42, v11, v23
	;;#ASMEND
	;;#ASMSTART
	v_dot2c_f32_f16 v41, v11, v19
	;;#ASMEND
	;;#ASMSTART
	v_dot2c_f32_f16 v40, v11, v15
	;;#ASMEND
	s_nop 0
	;;#ASMSTART
	v_dot2c_f32_f16 v27, v11, v7
	;;#ASMEND
	;;#ASMSTART
	v_dot2c_f32_f16 v42, v12, v24
	;;#ASMEND
	;;#ASMSTART
	v_dot2c_f32_f16 v41, v12, v20
	;;#ASMEND
	;;#ASMSTART
	v_dot2c_f32_f16 v40, v12, v16
	;;#ASMEND
	s_nop 0
	;;#ASMSTART
	v_dot2c_f32_f16 v27, v12, v8
	;;#ASMEND
	;;#ASMSTART
	v_dot2c_f32_f16 v42, v13, v25
	;;#ASMEND
	;;#ASMSTART
	v_dot2c_f32_f16 v41, v13, v21
	;;#ASMEND
	;;#ASMSTART
	v_dot2c_f32_f16 v40, v13, v17
	;;#ASMEND
	s_nop 0
	;;#ASMSTART
	v_dot2c_f32_f16 v27, v13, v9
	;;#ASMEND
.LBB34_15:                              ;   in Loop: Header=BB34_16 Depth=2
	s_or_b64 exec, exec, s[8:9]
	s_addk_i32 s35, 0x200
	s_cmp_ge_u32 s35, s20
	s_cbranch_scc1 .LBB34_27
.LBB34_16:                              ;   Parent Loop BB34_12 Depth=1
                                        ; =>  This Loop Header: Depth=2
                                        ;       Child Loop BB34_21 Depth 3
	s_cmp_eq_u32 s35, 0
	s_cselect_b64 s[8:9], -1, 0
	s_add_i32 s28, s34, s39
	s_cmp_eq_u32 s35, s28
	s_cselect_b64 s[30:31], -1, 0
	s_or_b64 s[30:31], s[8:9], s[30:31]
	s_andn2_b64 vcc, exec, s[30:31]
	s_cbranch_vccz .LBB34_18
; %bb.17:                               ;   in Loop: Header=BB34_16 Depth=2
	s_and_saveexec_b64 s[8:9], s[6:7]
	s_cbranch_execz .LBB34_15
	s_branch .LBB34_25
.LBB34_18:                              ;   in Loop: Header=BB34_16 Depth=2
	s_and_b64 s[8:9], s[8:9], exec
	s_cselect_b32 s34, s34, s28
	s_and_b64 vcc, exec, s[4:5]
	s_barrier
	s_cbranch_vccnz .LBB34_24
; %bb.19:                               ;   in Loop: Header=BB34_16 Depth=2
	v_add_u32_e32 v6, s34, v39
	s_mov_b32 s36, 0
	s_mov_b64 s[28:29], 0
	v_mov_b32_e32 v7, v38
                                        ; implicit-def: $sgpr30_sgpr31
	s_branch .LBB34_21
.LBB34_20:                              ;   in Loop: Header=BB34_21 Depth=3
	s_or_b64 exec, exec, s[8:9]
	s_and_b64 s[8:9], exec, s[30:31]
	s_or_b64 s[28:29], s[8:9], s[28:29]
	s_andn2_b64 exec, exec, s[28:29]
	s_cbranch_execz .LBB34_23
.LBB34_21:                              ;   Parent Loop BB34_12 Depth=1
                                        ;     Parent Loop BB34_16 Depth=2
                                        ; =>    This Inner Loop Header: Depth=3
	v_add_u32_e32 v8, s36, v39
	v_add_u32_e32 v0, s36, v6
	v_cmp_gt_u32_e32 vcc, s22, v0
	v_cmp_gt_u32_e64 s[8:9], s39, v8
	s_and_b64 s[46:47], s[8:9], vcc
	s_or_b64 s[30:31], s[30:31], exec
	s_and_saveexec_b64 s[8:9], s[46:47]
	s_cbranch_execz .LBB34_20
; %bb.22:                               ;   in Loop: Header=BB34_21 Depth=3
	v_lshl_add_u64 v[8:9], v[0:1], 1, s[14:15]
	global_load_dwordx4 v[8:11], v[8:9], off
	s_add_i32 s36, s36, s40
	s_cmp_ge_u32 s36, s39
	s_cselect_b64 s[46:47], -1, 0
	s_andn2_b64 s[30:31], s[30:31], exec
	s_and_b64 s[46:47], s[46:47], exec
	s_or_b64 s[30:31], s[30:31], s[46:47]
	s_waitcnt vmcnt(0)
	ds_write_b128 v7, v[8:11]
	v_add_u32_e32 v7, s45, v7
	s_branch .LBB34_20
.LBB34_23:                              ;   in Loop: Header=BB34_16 Depth=2
	s_or_b64 exec, exec, s[28:29]
.LBB34_24:                              ;   in Loop: Header=BB34_16 Depth=2
	s_waitcnt lgkmcnt(0)
	s_barrier
	s_and_saveexec_b64 s[8:9], s[6:7]
	s_cbranch_execz .LBB34_15
.LBB34_25:                              ;   in Loop: Header=BB34_16 Depth=2
	v_add_u32_e32 v43, s35, v36
	v_min_u32_e32 v0, s41, v43
	v_lshl_add_u64 v[6:7], v[0:1], 1, s[12:13]
	v_lshl_add_u64 v[8:9], v[28:29], 1, v[6:7]
	;; [unrolled: 1-line block ×3, first 2 shown]
	global_load_dwordx4 v[22:25], v[8:9], off nt
	global_load_dwordx4 v[18:21], v[10:11], off nt
	v_lshl_add_u64 v[10:11], v[32:33], 1, v[6:7]
	v_lshl_add_u64 v[12:13], v[34:35], 1, v[6:7]
	global_load_dwordx4 v[14:17], v[10:11], off nt
	global_load_dwordx4 v[6:9], v[12:13], off nt
	v_cmp_gt_u32_e32 vcc, s20, v43
	v_mov_b32_e32 v10, 0
	v_mov_b32_e32 v11, 0
	;; [unrolled: 1-line block ×4, first 2 shown]
	s_and_saveexec_b64 s[28:29], vcc
	s_cbranch_execz .LBB34_14
; %bb.26:                               ;   in Loop: Header=BB34_16 Depth=2
	v_subrev_u32_e32 v0, s34, v43
	v_lshlrev_b32_e32 v0, 1, v0
	ds_read_b128 v[10:13], v0
	s_branch .LBB34_14
.LBB34_27:                              ;   in Loop: Header=BB34_12 Depth=1
	v_cmp_le_u32_e32 vcc, s23, v26
	s_and_saveexec_b64 s[6:7], vcc
	s_xor_b64 s[6:7], exec, s[6:7]
; %bb.28:                               ;   in Loop: Header=BB34_12 Depth=1
	v_add_u32_e32 v26, s43, v26
                                        ; implicit-def: $vgpr42
                                        ; implicit-def: $vgpr41
                                        ; implicit-def: $vgpr40
                                        ; implicit-def: $vgpr27
; %bb.29:                               ;   in Loop: Header=BB34_12 Depth=1
	s_andn2_saveexec_b64 s[8:9], s[6:7]
	s_cbranch_execz .LBB34_11
; %bb.30:                               ;   in Loop: Header=BB34_12 Depth=1
	v_cvt_i32_f32_e32 v0, v42
	v_cvt_i32_f32_e32 v6, v41
	;; [unrolled: 1-line block ×4, first 2 shown]
	v_cvt_f32_i32_dpp v0, v0 row_shr:8 row_mask:0xf bank_mask:0xf bound_ctrl:1
	v_cvt_f32_i32_dpp v6, v6 row_shr:8 row_mask:0xf bank_mask:0xf bound_ctrl:1
	;; [unrolled: 1-line block ×4, first 2 shown]
	v_add_f32_e32 v0, v42, v0
	v_cvt_i32_f32_e32 v9, v0
	v_add_f32_e32 v6, v41, v6
	v_cvt_i32_f32_e32 v10, v6
	v_add_f32_e32 v7, v40, v7
	v_cvt_f32_i32_dpp v9, v9 row_shr:4 row_mask:0xf bank_mask:0xf bound_ctrl:1
	v_add_f32_e32 v8, v27, v8
	v_cvt_f32_i32_dpp v10, v10 row_shr:4 row_mask:0xf bank_mask:0xf bound_ctrl:1
	v_cvt_i32_f32_e32 v11, v7
	v_add_f32_e32 v0, v0, v9
	v_cvt_i32_f32_e32 v9, v0
	v_cvt_i32_f32_e32 v12, v8
	v_add_f32_e32 v6, v6, v10
	v_cvt_i32_f32_e32 v10, v6
	v_cvt_f32_i32_dpp v9, v9 row_shr:2 row_mask:0xf bank_mask:0xf bound_ctrl:1
	v_cvt_f32_i32_dpp v11, v11 row_shr:4 row_mask:0xf bank_mask:0xf bound_ctrl:1
	;; [unrolled: 1-line block ×4, first 2 shown]
	v_add_f32_e32 v0, v0, v9
	v_cvt_i32_f32_e32 v9, v0
	v_add_f32_e32 v7, v7, v11
	v_add_f32_e32 v8, v8, v12
	v_cvt_i32_f32_e32 v11, v7
	v_cvt_f32_i32_dpp v9, v9 row_shr:1 row_mask:0xf bank_mask:0xf bound_ctrl:1
	v_add_f32_e32 v6, v6, v10
	v_cvt_i32_f32_e32 v12, v8
	v_cvt_i32_f32_e32 v10, v6
	v_add_f32_e32 v0, v0, v9
	v_cvt_f32_i32_dpp v11, v11 row_shr:2 row_mask:0xf bank_mask:0xf bound_ctrl:1
	v_cvt_f32_i32_dpp v12, v12 row_shr:2 row_mask:0xf bank_mask:0xf bound_ctrl:1
	v_cvt_i32_f32_e32 v9, v0
	v_cvt_f32_i32_dpp v10, v10 row_shr:1 row_mask:0xf bank_mask:0xf bound_ctrl:1
	v_add_f32_e32 v7, v7, v11
	v_add_f32_e32 v8, v8, v12
	v_cvt_f32_i32_dpp v9, v9 row_bcast:15 row_mask:0xf bank_mask:0xf bound_ctrl:1
	v_add_f32_e32 v6, v6, v10
	v_cvt_i32_f32_e32 v10, v7
	v_cvt_i32_f32_e32 v11, v8
	v_add_f32_e32 v13, v0, v9
	v_cvt_i32_f32_e32 v12, v6
	v_cvt_f32_i32_dpp v10, v10 row_shr:1 row_mask:0xf bank_mask:0xf bound_ctrl:1
	v_cvt_f32_i32_dpp v0, v11 row_shr:1 row_mask:0xf bank_mask:0xf bound_ctrl:1
	v_cvt_i32_f32_e32 v11, v13
	v_cvt_f32_i32_dpp v9, v12 row_bcast:15 row_mask:0xf bank_mask:0xf bound_ctrl:1
	v_add_f32_e32 v7, v7, v10
	v_add_f32_e32 v0, v8, v0
	v_cvt_i32_f32_e32 v10, v7
	v_cvt_i32_f32_e32 v8, v0
	v_add_f32_e32 v12, v6, v9
	v_mov_b32_dpp v15, v11 row_bcast:31 row_mask:0xf bank_mask:0xf bound_ctrl:1
	v_cvt_f32_i32_dpp v10, v10 row_bcast:15 row_mask:0xf bank_mask:0xf bound_ctrl:1
	v_cvt_f32_i32_dpp v6, v8 row_bcast:15 row_mask:0xf bank_mask:0xf bound_ctrl:1
	v_cvt_i32_f32_e32 v8, v12
	v_add_f32_e32 v9, v7, v10
	v_add_f32_e32 v7, v0, v6
	v_cvt_i32_f32_e32 v10, v9
	v_cvt_i32_f32_e32 v0, v7
	v_mov_b32_dpp v14, v8 row_bcast:31 row_mask:0xf bank_mask:0xf bound_ctrl:1
	v_mov_b32_dpp v11, v10 row_bcast:31 row_mask:0xf bank_mask:0xf bound_ctrl:1
	;; [unrolled: 1-line block ×3, first 2 shown]
	s_and_saveexec_b64 s[6:7], s[0:1]
	s_cbranch_execz .LBB34_38
; %bb.31:                               ;   in Loop: Header=BB34_12 Depth=1
	s_andn2_b64 vcc, exec, s[24:25]
	v_mov_b32_e32 v0, 0
	v_add_u32_e32 v8, 2, v26
	v_add_u32_e32 v6, 3, v26
	v_mov_b32_e32 v16, 0
	v_mov_b32_e32 v17, 0
	;; [unrolled: 1-line block ×3, first 2 shown]
	s_cbranch_vccnz .LBB34_33
; %bb.32:                               ;   in Loop: Header=BB34_12 Depth=1
	v_mul_hi_u32 v0, v26, v37
	v_mul_lo_u32 v0, v0, s38
	v_sub_u32_e32 v0, v26, v0
	v_subrev_u32_e32 v16, s38, v0
	v_cmp_le_u32_e32 vcc, s38, v0
	s_nop 1
	v_cndmask_b32_e32 v0, v0, v16, vcc
	v_subrev_u32_e32 v16, s38, v0
	v_cmp_le_u32_e32 vcc, s38, v0
	s_nop 1
	v_cndmask_b32_e32 v0, v0, v16, vcc
	v_lshl_add_u64 v[20:21], v[0:1], 1, s[16:17]
	v_add_u32_e32 v0, 1, v26
	v_mul_hi_u32 v16, v0, v37
	v_mul_lo_u32 v16, v16, s38
	v_sub_u32_e32 v0, v0, v16
	v_subrev_u32_e32 v16, s38, v0
	v_cmp_le_u32_e32 vcc, s38, v0
	s_nop 1
	v_cndmask_b32_e32 v0, v0, v16, vcc
	v_subrev_u32_e32 v16, s38, v0
	v_cmp_le_u32_e32 vcc, s38, v0
	s_nop 1
	v_cndmask_b32_e32 v0, v0, v16, vcc
	v_lshl_add_u64 v[22:23], v[0:1], 1, s[16:17]
	v_mul_hi_u32 v0, v8, v37
	v_mul_lo_u32 v0, v0, s38
	v_sub_u32_e32 v0, v8, v0
	v_subrev_u32_e32 v16, s38, v0
	v_cmp_le_u32_e32 vcc, s38, v0
	s_nop 1
	v_cndmask_b32_e32 v0, v0, v16, vcc
	v_subrev_u32_e32 v16, s38, v0
	v_cmp_le_u32_e32 vcc, s38, v0
	s_nop 1
	v_cndmask_b32_e32 v0, v0, v16, vcc
	v_lshl_add_u64 v[24:25], v[0:1], 1, s[16:17]
	;; [unrolled: 12-line block ×3, first 2 shown]
	global_load_ushort v18, v[20:21], off
	global_load_ushort v17, v[22:23], off
	;; [unrolled: 1-line block ×4, first 2 shown]
.LBB34_33:                              ;   in Loop: Header=BB34_12 Depth=1
	v_cmp_ne_u32_e32 vcc, 0, v2
	s_and_saveexec_b64 s[28:29], vcc
	s_cbranch_execnz .LBB34_43
; %bb.34:                               ;   in Loop: Header=BB34_12 Depth=1
	s_or_b64 exec, exec, s[28:29]
	v_cmp_ne_u32_e32 vcc, 0, v3
	s_and_saveexec_b64 s[28:29], vcc
	s_cbranch_execnz .LBB34_44
.LBB34_35:                              ;   in Loop: Header=BB34_12 Depth=1
	s_or_b64 exec, exec, s[28:29]
	v_cmp_ne_u32_e32 vcc, 0, v4
	s_and_saveexec_b64 s[28:29], vcc
	s_cbranch_execnz .LBB34_45
.LBB34_36:                              ;   in Loop: Header=BB34_12 Depth=1
	s_or_b64 exec, exec, s[28:29]
	v_cmp_ne_u32_e32 vcc, 0, v5
	s_and_b64 exec, exec, vcc
	s_cbranch_execz .LBB34_38
.LBB34_37:                              ;   in Loop: Header=BB34_12 Depth=1
	v_cvt_f32_i32_e32 v8, v10
	s_waitcnt vmcnt(0)
	v_cvt_f32_f16_e32 v0, v0
	v_add_f32_e32 v7, v7, v8
	v_add_f32_e32 v0, v7, v0
	v_cvt_f16_f32_e32 v0, v0
	v_mov_b32_e32 v7, v1
	v_lshl_add_u64 v[6:7], v[6:7], 1, s[18:19]
	global_store_short v[6:7], v0, off
.LBB34_38:                              ;   in Loop: Header=BB34_12 Depth=1
	s_or_b64 exec, exec, s[6:7]
	v_add_u32_e32 v26, s43, v26
	s_waitcnt vmcnt(0)
	v_add_u32_e32 v0, 4, v26
	v_cmp_gt_u32_e32 vcc, s23, v26
	v_cmp_le_u32_e64 s[6:7], s23, v0
	s_and_b64 s[6:7], vcc, s[6:7]
	s_and_saveexec_b64 s[28:29], s[6:7]
	s_cbranch_execz .LBB34_10
; %bb.39:                               ;   in Loop: Header=BB34_12 Depth=1
	v_cmp_ne_u32_e32 vcc, s44, v26
	s_and_saveexec_b64 s[30:31], vcc
	s_cbranch_execz .LBB34_9
; %bb.40:                               ;   in Loop: Header=BB34_12 Depth=1
	v_subrev_u32_e32 v0, s44, v26
	v_cmp_lt_u32_e32 vcc, 1, v0
	s_mov_b64 s[34:35], 0
	s_mov_b64 s[36:37], 0
	v_cndmask_b32_e32 v0, 1, v0, vcc
.LBB34_41:                              ;   Parent Loop BB34_12 Depth=1
                                        ; =>  This Inner Loop Header: Depth=2
	s_cmp_lg_u32 s36, 3
	s_cselect_b64 vcc, -1, 0
	s_cmp_lg_u32 s36, 2
	v_cndmask_b32_e32 v5, 0, v5, vcc
	s_cselect_b64 vcc, -1, 0
	s_cmp_lg_u32 s36, 1
	v_cndmask_b32_e32 v4, 0, v4, vcc
	;; [unrolled: 3-line block ×3, first 2 shown]
	s_cselect_b64 vcc, -1, 0
	s_add_u32 s36, s36, 1
	s_addc_u32 s37, s37, 0
	v_cmp_eq_u32_e64 s[6:7], s36, v0
	s_or_b64 s[34:35], s[6:7], s[34:35]
	v_cndmask_b32_e32 v2, 0, v2, vcc
	s_andn2_b64 exec, exec, s[34:35]
	s_cbranch_execnz .LBB34_41
; %bb.42:                               ;   in Loop: Header=BB34_12 Depth=1
	s_or_b64 exec, exec, s[34:35]
	s_branch .LBB34_9
.LBB34_43:                              ;   in Loop: Header=BB34_12 Depth=1
	v_cvt_f32_i32_e32 v15, v15
	s_waitcnt vmcnt(3)
	v_cvt_f32_f16_e32 v18, v18
	v_mov_b32_e32 v27, v1
	v_add_f32_e32 v13, v13, v15
	v_add_f32_e32 v13, v13, v18
	v_cvt_f16_f32_e32 v13, v13
	v_lshl_add_u64 v[18:19], v[26:27], 1, s[18:19]
	global_store_short v[18:19], v13, off
	s_or_b64 exec, exec, s[28:29]
	v_cmp_ne_u32_e32 vcc, 0, v3
	s_and_saveexec_b64 s[28:29], vcc
	s_cbranch_execz .LBB34_35
.LBB34_44:                              ;   in Loop: Header=BB34_12 Depth=1
	v_cvt_f32_i32_e32 v13, v14
	s_waitcnt vmcnt(2)
	v_cvt_f32_f16_e32 v14, v17
	v_mov_b32_e32 v27, v1
	v_add_f32_e32 v12, v12, v13
	v_add_f32_e32 v12, v12, v14
	v_cvt_f16_f32_e32 v14, v12
	v_lshl_add_u64 v[12:13], v[26:27], 1, s[26:27]
	global_store_short v[12:13], v14, off
	s_or_b64 exec, exec, s[28:29]
	v_cmp_ne_u32_e32 vcc, 0, v4
	s_and_saveexec_b64 s[28:29], vcc
	s_cbranch_execz .LBB34_36
.LBB34_45:                              ;   in Loop: Header=BB34_12 Depth=1
	v_cvt_f32_i32_e32 v11, v11
	s_waitcnt vmcnt(1)
	v_cvt_f32_f16_e32 v12, v16
	v_add_f32_e32 v9, v9, v11
	v_add_f32_e32 v9, v9, v12
	v_cvt_f16_f32_e32 v11, v9
	v_mov_b32_e32 v9, v1
	v_lshl_add_u64 v[8:9], v[8:9], 1, s[18:19]
	global_store_short v[8:9], v11, off
	s_or_b64 exec, exec, s[28:29]
	v_cmp_ne_u32_e32 vcc, 0, v5
	s_and_b64 exec, exec, vcc
	s_cbranch_execnz .LBB34_37
	s_branch .LBB34_38
.LBB34_46:
	s_endpgm
	.section	.rodata,"a",@progbits
	.p2align	6, 0x0
	.amdhsa_kernel _Z16wvSplitK_hf_big_I6__halfLi64ELi4ELi16ELi8ELi1ELi1EEviiiiiiPKT_S3_S3_PS1_ii
		.amdhsa_group_segment_fixed_size 65536
		.amdhsa_private_segment_fixed_size 0
		.amdhsa_kernarg_size 64
		.amdhsa_user_sgpr_count 2
		.amdhsa_user_sgpr_dispatch_ptr 0
		.amdhsa_user_sgpr_queue_ptr 0
		.amdhsa_user_sgpr_kernarg_segment_ptr 1
		.amdhsa_user_sgpr_dispatch_id 0
		.amdhsa_user_sgpr_kernarg_preload_length 0
		.amdhsa_user_sgpr_kernarg_preload_offset 0
		.amdhsa_user_sgpr_private_segment_size 0
		.amdhsa_uses_dynamic_stack 0
		.amdhsa_enable_private_segment 0
		.amdhsa_system_sgpr_workgroup_id_x 1
		.amdhsa_system_sgpr_workgroup_id_y 0
		.amdhsa_system_sgpr_workgroup_id_z 0
		.amdhsa_system_sgpr_workgroup_info 0
		.amdhsa_system_vgpr_workitem_id 1
		.amdhsa_next_free_vgpr 44
		.amdhsa_next_free_sgpr 48
		.amdhsa_accum_offset 44
		.amdhsa_reserve_vcc 1
		.amdhsa_float_round_mode_32 0
		.amdhsa_float_round_mode_16_64 0
		.amdhsa_float_denorm_mode_32 3
		.amdhsa_float_denorm_mode_16_64 3
		.amdhsa_dx10_clamp 1
		.amdhsa_ieee_mode 1
		.amdhsa_fp16_overflow 0
		.amdhsa_tg_split 0
		.amdhsa_exception_fp_ieee_invalid_op 0
		.amdhsa_exception_fp_denorm_src 0
		.amdhsa_exception_fp_ieee_div_zero 0
		.amdhsa_exception_fp_ieee_overflow 0
		.amdhsa_exception_fp_ieee_underflow 0
		.amdhsa_exception_fp_ieee_inexact 0
		.amdhsa_exception_int_div_zero 0
	.end_amdhsa_kernel
	.section	.text._Z16wvSplitK_hf_big_I6__halfLi64ELi4ELi16ELi8ELi1ELi1EEviiiiiiPKT_S3_S3_PS1_ii,"axG",@progbits,_Z16wvSplitK_hf_big_I6__halfLi64ELi4ELi16ELi8ELi1ELi1EEviiiiiiPKT_S3_S3_PS1_ii,comdat
.Lfunc_end34:
	.size	_Z16wvSplitK_hf_big_I6__halfLi64ELi4ELi16ELi8ELi1ELi1EEviiiiiiPKT_S3_S3_PS1_ii, .Lfunc_end34-_Z16wvSplitK_hf_big_I6__halfLi64ELi4ELi16ELi8ELi1ELi1EEviiiiiiPKT_S3_S3_PS1_ii
                                        ; -- End function
	.section	.AMDGPU.csdata,"",@progbits
; Kernel info:
; codeLenInByte = 2444
; NumSgprs: 54
; NumVgprs: 44
; NumAgprs: 0
; TotalNumVgprs: 44
; ScratchSize: 0
; MemoryBound: 0
; FloatMode: 240
; IeeeMode: 1
; LDSByteSize: 65536 bytes/workgroup (compile time only)
; SGPRBlocks: 6
; VGPRBlocks: 5
; NumSGPRsForWavesPerEU: 54
; NumVGPRsForWavesPerEU: 44
; AccumOffset: 44
; Occupancy: 4
; WaveLimiterHint : 0
; COMPUTE_PGM_RSRC2:SCRATCH_EN: 0
; COMPUTE_PGM_RSRC2:USER_SGPR: 2
; COMPUTE_PGM_RSRC2:TRAP_HANDLER: 0
; COMPUTE_PGM_RSRC2:TGID_X_EN: 1
; COMPUTE_PGM_RSRC2:TGID_Y_EN: 0
; COMPUTE_PGM_RSRC2:TGID_Z_EN: 0
; COMPUTE_PGM_RSRC2:TIDIG_COMP_CNT: 1
; COMPUTE_PGM_RSRC3_GFX90A:ACCUM_OFFSET: 10
; COMPUTE_PGM_RSRC3_GFX90A:TG_SPLIT: 0
	.section	.text._Z16wvSplitK_hf_sml_I6__halfLi64ELi4ELi16ELi8ELi2ELi1EEviiiiiiPKT_S3_S3_PS1_ii,"axG",@progbits,_Z16wvSplitK_hf_sml_I6__halfLi64ELi4ELi16ELi8ELi2ELi1EEviiiiiiPKT_S3_S3_PS1_ii,comdat
	.protected	_Z16wvSplitK_hf_sml_I6__halfLi64ELi4ELi16ELi8ELi2ELi1EEviiiiiiPKT_S3_S3_PS1_ii ; -- Begin function _Z16wvSplitK_hf_sml_I6__halfLi64ELi4ELi16ELi8ELi2ELi1EEviiiiiiPKT_S3_S3_PS1_ii
	.globl	_Z16wvSplitK_hf_sml_I6__halfLi64ELi4ELi16ELi8ELi2ELi1EEviiiiiiPKT_S3_S3_PS1_ii
	.p2align	8
	.type	_Z16wvSplitK_hf_sml_I6__halfLi64ELi4ELi16ELi8ELi2ELi1EEviiiiiiPKT_S3_S3_PS1_ii,@function
_Z16wvSplitK_hf_sml_I6__halfLi64ELi4ELi16ELi8ELi2ELi1EEviiiiiiPKT_S3_S3_PS1_ii: ; @_Z16wvSplitK_hf_sml_I6__halfLi64ELi4ELi16ELi8ELi2ELi1EEviiiiiiPKT_S3_S3_PS1_ii
; %bb.0:
	s_load_dwordx4 s[4:7], s[0:1], 0x0
	s_load_dword s22, s[0:1], 0x10
	s_load_dwordx2 s[8:9], s[0:1], 0x28
	v_and_b32_e32 v2, 0x3ff, v0
	v_bfe_u32 v3, v0, 10, 10
	v_lshlrev_b32_e32 v58, 3, v2
	v_lshl_add_u32 v4, v3, 9, v58
	s_waitcnt lgkmcnt(0)
	s_min_u32 s3, s6, 0x8000
	v_cmp_gt_u32_e32 vcc, s3, v4
	s_and_saveexec_b64 s[10:11], vcc
	s_cbranch_execz .LBB35_3
; %bb.1:
	s_load_dwordx2 s[12:13], s[0:1], 0x20
	v_mov_b32_e32 v7, 0
	v_lshlrev_b32_e32 v6, 10, v3
	v_lshlrev_b32_e32 v8, 4, v2
	v_mov_b32_e32 v9, v7
	v_lshl_add_u64 v[0:1], v[6:7], 0, v[8:9]
	s_waitcnt lgkmcnt(0)
	v_lshl_add_u64 v[0:1], s[12:13], 0, v[0:1]
	v_add_u32_e32 v5, v6, v8
	s_mov_b64 s[12:13], 0
	s_mov_b64 s[14:15], 0x4000
.LBB35_2:                               ; =>This Inner Loop Header: Depth=1
	global_load_dwordx4 v[6:9], v[0:1], off
	v_add_u32_e32 v4, 0x2000, v4
	v_cmp_le_u32_e32 vcc, s3, v4
	v_lshl_add_u64 v[0:1], v[0:1], 0, s[14:15]
	s_or_b64 s[12:13], vcc, s[12:13]
	s_waitcnt vmcnt(0)
	ds_write_b128 v5, v[6:9]
	v_add_u32_e32 v5, 0x4000, v5
	s_andn2_b64 exec, exec, s[12:13]
	s_cbranch_execnz .LBB35_2
.LBB35_3:
	s_or_b64 exec, exec, s[10:11]
	s_load_dwordx2 s[14:15], s[0:1], 0x38
	s_waitcnt lgkmcnt(0)
	s_barrier
	v_cmp_gt_u32_e32 vcc, s14, v3
	s_and_saveexec_b64 s[10:11], vcc
	s_cbranch_execz .LBB35_20
; %bb.4:
	s_mul_i32 s2, s2, s14
	v_add_lshl_u32 v40, s2, v3, 2
	v_cmp_gt_u32_e32 vcc, s7, v40
	s_and_b64 exec, exec, vcc
	s_cbranch_execz .LBB35_20
; %bb.5:
	v_cvt_f32_u32_e32 v0, s22
	s_cmp_lg_u32 s4, 0
	s_cselect_b64 s[2:3], -1, 0
	s_add_i32 s6, s4, -8
	v_rcp_iflag_f32_e32 v0, v0
	s_add_i32 s23, s7, -1
	s_mul_i32 s18, s14, s15
	s_cmp_lg_u64 s[8:9], 0
	v_mul_f32_e32 v0, 0x4f7ffffe, v0
	v_cvt_u32_f32_e32 v0, v0
	s_load_dwordx2 s[10:11], s[0:1], 0x18
	s_load_dwordx2 s[12:13], s[0:1], 0x30
	s_cselect_b64 s[16:17], -1, 0
	s_lshl_b32 s24, s18, 2
	s_sub_i32 s18, 0, s22
	v_mul_lo_u32 v1, s18, v0
	v_mul_hi_u32 v1, v0, v1
	v_add_u32_e32 v59, v0, v1
	v_cndmask_b32_e64 v0, 0, 1, s[2:3]
	v_cmp_eq_u32_e64 s[0:1], 63, v2
	s_mov_b64 s[14:15], 0
	v_lshlrev_b32_e32 v60, 4, v2
	v_cmp_ne_u32_e64 s[2:3], 1, v0
	v_mov_b32_e32 v43, 0
	s_branch .LBB35_8
.LBB35_6:                               ;   in Loop: Header=BB35_8 Depth=1
	v_cvt_f32_i32_e32 v7, v7
	s_waitcnt vmcnt(3)
	v_cvt_f32_f16_e32 v11, v11
	v_cvt_f32_i32_e32 v6, v6
	v_cvt_f32_i32_e32 v5, v5
	v_add_f32_e32 v0, v0, v7
	v_cvt_f32_i32_e32 v4, v4
	v_add_f32_e32 v0, v0, v11
	v_add_f32_e32 v2, v2, v6
	;; [unrolled: 1-line block ×3, first 2 shown]
	v_cvt_f16_f32_e32 v5, v0
	s_waitcnt vmcnt(2)
	v_cvt_f32_f16_e32 v6, v10
	v_add_f32_e32 v4, v1, v4
	s_waitcnt lgkmcnt(0)
	v_lshl_add_u64 v[0:1], v[40:41], 1, s[12:13]
	global_store_short v[0:1], v5, off
	v_add_f32_e32 v0, v2, v6
	v_cvt_f16_f32_e32 v2, v0
	s_waitcnt vmcnt(2)
	v_cvt_f32_f16_e32 v5, v9
	s_waitcnt vmcnt(1)
	v_cvt_f32_f16_e32 v6, v8
	v_lshl_add_u64 v[0:1], v[48:49], 1, s[12:13]
	global_store_short v[0:1], v2, off
	v_add_f32_e32 v0, v3, v5
	v_cvt_f16_f32_e32 v2, v0
	v_add_f32_e32 v0, v4, v6
	v_cvt_f16_f32_e32 v3, v0
	v_lshl_add_u64 v[0:1], v[46:47], 1, s[12:13]
	global_store_short v[0:1], v2, off
	v_lshl_add_u64 v[0:1], v[44:45], 1, s[12:13]
	global_store_short v[0:1], v3, off
.LBB35_7:                               ;   in Loop: Header=BB35_8 Depth=1
	s_or_b64 exec, exec, s[18:19]
	v_add_u32_e32 v40, s24, v40
	v_cmp_le_u32_e32 vcc, s7, v40
	s_or_b64 s[14:15], vcc, s[14:15]
	s_andn2_b64 exec, exec, s[14:15]
	s_cbranch_execz .LBB35_20
.LBB35_8:                               ; =>This Loop Header: Depth=1
                                        ;     Child Loop BB35_12 Depth 2
	s_mov_b32 s25, 0
	s_and_b64 vcc, exec, s[2:3]
	v_or_b32_e32 v48, 1, v40
	v_or_b32_e32 v46, 2, v40
	;; [unrolled: 1-line block ×3, first 2 shown]
	v_mov_b32_e32 v49, v43
	v_mov_b32_e32 v47, v43
	v_mov_b32_e32 v45, v43
	v_mov_b32_e32 v41, v43
	s_cbranch_vccnz .LBB35_15
; %bb.9:                                ;   in Loop: Header=BB35_8 Depth=1
	v_min_u32_e32 v0, s23, v40
	v_mul_lo_u32 v42, v0, s5
	v_min_u32_e32 v0, s23, v48
	v_min_u32_e32 v2, s23, v46
	;; [unrolled: 1-line block ×3, first 2 shown]
	v_mul_lo_u32 v0, v0, s5
	v_mov_b32_e32 v1, v43
	v_mul_lo_u32 v2, v2, s5
	v_mov_b32_e32 v3, v43
	;; [unrolled: 2-line block ×3, first 2 shown]
	v_mov_b32_e32 v41, 0
	v_lshlrev_b64 v[50:51], 1, v[42:43]
	v_lshlrev_b64 v[52:53], 1, v[0:1]
	;; [unrolled: 1-line block ×4, first 2 shown]
	v_mov_b32_e32 v61, v60
	v_mov_b32_e32 v45, 0
	;; [unrolled: 1-line block ×4, first 2 shown]
	s_branch .LBB35_12
.LBB35_10:                              ;   in Loop: Header=BB35_12 Depth=2
	s_or_b64 exec, exec, s[20:21]
.LBB35_11:                              ;   in Loop: Header=BB35_12 Depth=2
	s_or_b64 exec, exec, s[18:19]
	s_waitcnt vmcnt(7) lgkmcnt(0)
	;;#ASMSTART
	v_dot2c_f32_f16 v49, v32, v36
	;;#ASMEND
	s_waitcnt vmcnt(6)
	;;#ASMSTART
	v_dot2c_f32_f16 v47, v32, v28
	;;#ASMEND
	s_waitcnt vmcnt(5)
	;; [unrolled: 4-line block ×3, first 2 shown]
	;;#ASMSTART
	v_dot2c_f32_f16 v41, v32, v20
	;;#ASMEND
	s_addk_i32 s25, 0x400
	;;#ASMSTART
	v_dot2c_f32_f16 v49, v33, v37
	;;#ASMEND
	;;#ASMSTART
	v_dot2c_f32_f16 v47, v33, v29
	;;#ASMEND
	;; [unrolled: 3-line block ×4, first 2 shown]
	s_cmp_ge_u32 s25, s4
	;;#ASMSTART
	v_dot2c_f32_f16 v49, v34, v38
	;;#ASMEND
	;;#ASMSTART
	v_dot2c_f32_f16 v47, v34, v30
	;;#ASMEND
	;; [unrolled: 3-line block ×4, first 2 shown]
	v_add_u32_e32 v61, 0x800, v61
	;;#ASMSTART
	v_dot2c_f32_f16 v49, v35, v39
	;;#ASMEND
	;;#ASMSTART
	v_dot2c_f32_f16 v47, v35, v31
	;;#ASMEND
	;; [unrolled: 3-line block ×4, first 2 shown]
	s_waitcnt vmcnt(3)
	;;#ASMSTART
	v_dot2c_f32_f16 v49, v8, v16
	;;#ASMEND
	s_waitcnt vmcnt(2)
	;;#ASMSTART
	v_dot2c_f32_f16 v47, v8, v12
	;;#ASMEND
	;; [unrolled: 4-line block ×4, first 2 shown]
	;;#ASMSTART
	v_dot2c_f32_f16 v49, v9, v17
	;;#ASMEND
	;;#ASMSTART
	v_dot2c_f32_f16 v47, v9, v13
	;;#ASMEND
	;;#ASMSTART
	v_dot2c_f32_f16 v45, v9, v5
	;;#ASMEND
	s_nop 0
	;;#ASMSTART
	v_dot2c_f32_f16 v41, v9, v1
	;;#ASMEND
	;;#ASMSTART
	v_dot2c_f32_f16 v49, v10, v18
	;;#ASMEND
	;;#ASMSTART
	v_dot2c_f32_f16 v47, v10, v14
	;;#ASMEND
	;;#ASMSTART
	v_dot2c_f32_f16 v45, v10, v6
	;;#ASMEND
	s_nop 0
	;;#ASMSTART
	v_dot2c_f32_f16 v41, v10, v2
	;;#ASMEND
	;; [unrolled: 13-line block ×3, first 2 shown]
	s_cbranch_scc1 .LBB35_15
.LBB35_12:                              ;   Parent Loop BB35_8 Depth=1
                                        ; =>  This Inner Loop Header: Depth=2
	v_add_u32_e32 v32, s25, v58
	v_min_u32_e32 v42, s6, v32
	s_waitcnt lgkmcnt(0)
	v_lshl_add_u64 v[0:1], v[42:43], 1, s[10:11]
	v_lshl_add_u64 v[2:3], v[0:1], 0, v[50:51]
	v_add_u32_e32 v62, 0x200, v32
	v_lshl_add_u64 v[4:5], v[0:1], 0, v[52:53]
	global_load_dwordx4 v[36:39], v[2:3], off nt
	global_load_dwordx4 v[28:31], v[4:5], off nt
	v_lshl_add_u64 v[2:3], v[0:1], 0, v[54:55]
	v_lshl_add_u64 v[0:1], v[0:1], 0, v[56:57]
	v_min_u32_e32 v42, s6, v62
	global_load_dwordx4 v[24:27], v[2:3], off nt
	global_load_dwordx4 v[20:23], v[0:1], off nt
	v_lshl_add_u64 v[0:1], v[42:43], 1, s[10:11]
	v_lshl_add_u64 v[2:3], v[0:1], 0, v[50:51]
	;; [unrolled: 1-line block ×4, first 2 shown]
	global_load_dwordx4 v[16:19], v[2:3], off nt
	global_load_dwordx4 v[12:15], v[4:5], off nt
	v_lshl_add_u64 v[10:11], v[0:1], 0, v[56:57]
	global_load_dwordx4 v[4:7], v[8:9], off nt
	global_load_dwordx4 v[0:3], v[10:11], off nt
	v_cmp_gt_u32_e32 vcc, s4, v32
	v_mov_b32_e32 v34, 0
	v_mov_b32_e32 v35, 0
	;; [unrolled: 1-line block ×8, first 2 shown]
	s_and_saveexec_b64 s[18:19], vcc
	s_cbranch_execz .LBB35_11
; %bb.13:                               ;   in Loop: Header=BB35_12 Depth=2
	ds_read_b128 v[32:35], v61
	v_cmp_gt_u32_e32 vcc, s4, v62
	v_mov_b32_e32 v11, 0
	v_mov_b32_e32 v10, 0
	;; [unrolled: 1-line block ×4, first 2 shown]
	s_and_saveexec_b64 s[20:21], vcc
	s_cbranch_execz .LBB35_10
; %bb.14:                               ;   in Loop: Header=BB35_12 Depth=2
	ds_read_b128 v[8:11], v61 offset:1024
	s_branch .LBB35_10
.LBB35_15:                              ;   in Loop: Header=BB35_8 Depth=1
	; sched_barrier mask(0x00000000)
	v_cvt_i32_f32_e32 v0, v49
	v_cvt_i32_f32_e32 v1, v47
	;; [unrolled: 1-line block ×4, first 2 shown]
	v_cvt_f32_i32_dpp v0, v0 row_shr:8 row_mask:0xf bank_mask:0xf bound_ctrl:1
	v_cvt_f32_i32_dpp v1, v1 row_shr:8 row_mask:0xf bank_mask:0xf bound_ctrl:1
	;; [unrolled: 1-line block ×4, first 2 shown]
	v_add_f32_e32 v0, v49, v0
	v_cvt_i32_f32_e32 v4, v0
	v_add_f32_e32 v1, v47, v1
	v_cvt_i32_f32_e32 v5, v1
	v_add_f32_e32 v2, v45, v2
	v_cvt_f32_i32_dpp v4, v4 row_shr:4 row_mask:0xf bank_mask:0xf bound_ctrl:1
	v_add_f32_e32 v3, v41, v3
	v_cvt_f32_i32_dpp v5, v5 row_shr:4 row_mask:0xf bank_mask:0xf bound_ctrl:1
	v_cvt_i32_f32_e32 v6, v2
	v_add_f32_e32 v0, v0, v4
	v_cvt_i32_f32_e32 v4, v0
	v_cvt_i32_f32_e32 v7, v3
	v_add_f32_e32 v1, v1, v5
	v_cvt_i32_f32_e32 v5, v1
	v_cvt_f32_i32_dpp v4, v4 row_shr:2 row_mask:0xf bank_mask:0xf bound_ctrl:1
	v_cvt_f32_i32_dpp v6, v6 row_shr:4 row_mask:0xf bank_mask:0xf bound_ctrl:1
	;; [unrolled: 1-line block ×4, first 2 shown]
	v_add_f32_e32 v0, v0, v4
	v_cvt_i32_f32_e32 v4, v0
	v_add_f32_e32 v2, v2, v6
	v_add_f32_e32 v3, v3, v7
	v_cvt_i32_f32_e32 v6, v2
	v_cvt_f32_i32_dpp v4, v4 row_shr:1 row_mask:0xf bank_mask:0xf bound_ctrl:1
	v_add_f32_e32 v1, v1, v5
	v_cvt_i32_f32_e32 v7, v3
	v_cvt_i32_f32_e32 v5, v1
	v_add_f32_e32 v0, v0, v4
	v_cvt_f32_i32_dpp v6, v6 row_shr:2 row_mask:0xf bank_mask:0xf bound_ctrl:1
	v_cvt_f32_i32_dpp v7, v7 row_shr:2 row_mask:0xf bank_mask:0xf bound_ctrl:1
	v_cvt_i32_f32_e32 v4, v0
	v_cvt_f32_i32_dpp v5, v5 row_shr:1 row_mask:0xf bank_mask:0xf bound_ctrl:1
	v_add_f32_e32 v2, v2, v6
	v_add_f32_e32 v3, v3, v7
	v_cvt_f32_i32_dpp v4, v4 row_bcast:15 row_mask:0xf bank_mask:0xf bound_ctrl:1
	v_add_f32_e32 v1, v1, v5
	v_cvt_i32_f32_e32 v5, v2
	v_cvt_i32_f32_e32 v6, v3
	v_add_f32_e32 v0, v0, v4
	v_cvt_i32_f32_e32 v7, v1
	v_cvt_f32_i32_dpp v5, v5 row_shr:1 row_mask:0xf bank_mask:0xf bound_ctrl:1
	v_cvt_f32_i32_dpp v4, v6 row_shr:1 row_mask:0xf bank_mask:0xf bound_ctrl:1
	v_cvt_f32_i32_dpp v6, v7 row_bcast:15 row_mask:0xf bank_mask:0xf bound_ctrl:1
	v_add_f32_e32 v5, v2, v5
	v_add_f32_e32 v4, v3, v4
	v_cvt_i32_f32_e32 v2, v5
	v_cvt_i32_f32_e32 v3, v4
	;; [unrolled: 1-line block ×3, first 2 shown]
	v_cvt_f32_i32_dpp v8, v2 row_bcast:15 row_mask:0xf bank_mask:0xf bound_ctrl:1
	v_add_f32_e32 v2, v1, v6
	v_cvt_f32_i32_dpp v1, v3 row_bcast:15 row_mask:0xf bank_mask:0xf bound_ctrl:1
	v_cvt_i32_f32_e32 v6, v2
	v_add_f32_e32 v3, v5, v8
	v_cvt_i32_f32_e32 v5, v3
	v_add_f32_e32 v1, v4, v1
	v_cvt_i32_f32_e32 v4, v1
	v_mov_b32_dpp v7, v7 row_bcast:31 row_mask:0xf bank_mask:0xf bound_ctrl:1
	v_mov_b32_dpp v6, v6 row_bcast:31 row_mask:0xf bank_mask:0xf bound_ctrl:1
	;; [unrolled: 1-line block ×4, first 2 shown]
	s_and_saveexec_b64 s[18:19], s[0:1]
	s_cbranch_execz .LBB35_7
; %bb.16:                               ;   in Loop: Header=BB35_8 Depth=1
	s_and_b64 vcc, exec, s[16:17]
	s_cbranch_vccz .LBB35_18
; %bb.17:                               ;   in Loop: Header=BB35_8 Depth=1
	v_mul_hi_u32 v8, v40, v59
	v_mul_lo_u32 v8, v8, s22
	v_sub_u32_e32 v8, v40, v8
	v_subrev_u32_e32 v9, s22, v8
	v_cmp_le_u32_e32 vcc, s22, v8
	v_mov_b32_e32 v41, v43
	v_mov_b32_e32 v49, v43
	v_cndmask_b32_e32 v8, v8, v9, vcc
	v_subrev_u32_e32 v9, s22, v8
	v_cmp_le_u32_e32 vcc, s22, v8
	v_mov_b32_e32 v47, v43
	v_mov_b32_e32 v45, v43
	v_cndmask_b32_e32 v42, v8, v9, vcc
	v_mul_hi_u32 v8, v48, v59
	v_mul_lo_u32 v8, v8, s22
	v_sub_u32_e32 v8, v48, v8
	v_subrev_u32_e32 v9, s22, v8
	v_cmp_le_u32_e32 vcc, s22, v8
	v_lshl_add_u64 v[12:13], v[42:43], 1, s[8:9]
	s_nop 0
	v_cndmask_b32_e32 v8, v8, v9, vcc
	v_subrev_u32_e32 v9, s22, v8
	v_cmp_le_u32_e32 vcc, s22, v8
	s_nop 1
	v_cndmask_b32_e32 v42, v8, v9, vcc
	v_mul_hi_u32 v8, v46, v59
	v_mul_lo_u32 v8, v8, s22
	v_sub_u32_e32 v8, v46, v8
	v_subrev_u32_e32 v9, s22, v8
	v_cmp_le_u32_e32 vcc, s22, v8
	v_lshl_add_u64 v[14:15], v[42:43], 1, s[8:9]
	s_nop 0
	v_cndmask_b32_e32 v8, v8, v9, vcc
	v_subrev_u32_e32 v9, s22, v8
	v_cmp_le_u32_e32 vcc, s22, v8
	s_nop 1
	;; [unrolled: 12-line block ×3, first 2 shown]
	v_cndmask_b32_e32 v42, v8, v9, vcc
	v_lshl_add_u64 v[18:19], v[42:43], 1, s[8:9]
	global_load_ushort v11, v[12:13], off
	global_load_ushort v10, v[14:15], off
	;; [unrolled: 1-line block ×4, first 2 shown]
	s_cbranch_execnz .LBB35_6
	s_branch .LBB35_19
.LBB35_18:                              ;   in Loop: Header=BB35_8 Depth=1
                                        ; implicit-def: $vgpr11
                                        ; implicit-def: $vgpr10
                                        ; implicit-def: $vgpr9
                                        ; implicit-def: $vgpr8
.LBB35_19:                              ;   in Loop: Header=BB35_8 Depth=1
	v_mov_b32_e32 v41, v43
	v_mov_b32_e32 v49, v43
	;; [unrolled: 1-line block ×4, first 2 shown]
	s_waitcnt vmcnt(0)
	v_mov_b32_e32 v8, 0
	v_mov_b32_e32 v9, 0
	;; [unrolled: 1-line block ×4, first 2 shown]
	s_branch .LBB35_6
.LBB35_20:
	s_endpgm
	.section	.rodata,"a",@progbits
	.p2align	6, 0x0
	.amdhsa_kernel _Z16wvSplitK_hf_sml_I6__halfLi64ELi4ELi16ELi8ELi2ELi1EEviiiiiiPKT_S3_S3_PS1_ii
		.amdhsa_group_segment_fixed_size 65536
		.amdhsa_private_segment_fixed_size 0
		.amdhsa_kernarg_size 64
		.amdhsa_user_sgpr_count 2
		.amdhsa_user_sgpr_dispatch_ptr 0
		.amdhsa_user_sgpr_queue_ptr 0
		.amdhsa_user_sgpr_kernarg_segment_ptr 1
		.amdhsa_user_sgpr_dispatch_id 0
		.amdhsa_user_sgpr_kernarg_preload_length 0
		.amdhsa_user_sgpr_kernarg_preload_offset 0
		.amdhsa_user_sgpr_private_segment_size 0
		.amdhsa_uses_dynamic_stack 0
		.amdhsa_enable_private_segment 0
		.amdhsa_system_sgpr_workgroup_id_x 1
		.amdhsa_system_sgpr_workgroup_id_y 0
		.amdhsa_system_sgpr_workgroup_id_z 0
		.amdhsa_system_sgpr_workgroup_info 0
		.amdhsa_system_vgpr_workitem_id 1
		.amdhsa_next_free_vgpr 63
		.amdhsa_next_free_sgpr 26
		.amdhsa_accum_offset 64
		.amdhsa_reserve_vcc 1
		.amdhsa_float_round_mode_32 0
		.amdhsa_float_round_mode_16_64 0
		.amdhsa_float_denorm_mode_32 3
		.amdhsa_float_denorm_mode_16_64 3
		.amdhsa_dx10_clamp 1
		.amdhsa_ieee_mode 1
		.amdhsa_fp16_overflow 0
		.amdhsa_tg_split 0
		.amdhsa_exception_fp_ieee_invalid_op 0
		.amdhsa_exception_fp_denorm_src 0
		.amdhsa_exception_fp_ieee_div_zero 0
		.amdhsa_exception_fp_ieee_overflow 0
		.amdhsa_exception_fp_ieee_underflow 0
		.amdhsa_exception_fp_ieee_inexact 0
		.amdhsa_exception_int_div_zero 0
	.end_amdhsa_kernel
	.section	.text._Z16wvSplitK_hf_sml_I6__halfLi64ELi4ELi16ELi8ELi2ELi1EEviiiiiiPKT_S3_S3_PS1_ii,"axG",@progbits,_Z16wvSplitK_hf_sml_I6__halfLi64ELi4ELi16ELi8ELi2ELi1EEviiiiiiPKT_S3_S3_PS1_ii,comdat
.Lfunc_end35:
	.size	_Z16wvSplitK_hf_sml_I6__halfLi64ELi4ELi16ELi8ELi2ELi1EEviiiiiiPKT_S3_S3_PS1_ii, .Lfunc_end35-_Z16wvSplitK_hf_sml_I6__halfLi64ELi4ELi16ELi8ELi2ELi1EEviiiiiiPKT_S3_S3_PS1_ii
                                        ; -- End function
	.section	.AMDGPU.csdata,"",@progbits
; Kernel info:
; codeLenInByte = 2032
; NumSgprs: 32
; NumVgprs: 63
; NumAgprs: 0
; TotalNumVgprs: 63
; ScratchSize: 0
; MemoryBound: 0
; FloatMode: 240
; IeeeMode: 1
; LDSByteSize: 65536 bytes/workgroup (compile time only)
; SGPRBlocks: 3
; VGPRBlocks: 7
; NumSGPRsForWavesPerEU: 32
; NumVGPRsForWavesPerEU: 63
; AccumOffset: 64
; Occupancy: 4
; WaveLimiterHint : 0
; COMPUTE_PGM_RSRC2:SCRATCH_EN: 0
; COMPUTE_PGM_RSRC2:USER_SGPR: 2
; COMPUTE_PGM_RSRC2:TRAP_HANDLER: 0
; COMPUTE_PGM_RSRC2:TGID_X_EN: 1
; COMPUTE_PGM_RSRC2:TGID_Y_EN: 0
; COMPUTE_PGM_RSRC2:TGID_Z_EN: 0
; COMPUTE_PGM_RSRC2:TIDIG_COMP_CNT: 1
; COMPUTE_PGM_RSRC3_GFX90A:ACCUM_OFFSET: 15
; COMPUTE_PGM_RSRC3_GFX90A:TG_SPLIT: 0
	.section	.text._Z12wvSplitK_hf_I6__halfLi64ELi4ELi16ELi8ELi2ELi1EEviiiiiiPKT_S3_S3_PS1_ii,"axG",@progbits,_Z12wvSplitK_hf_I6__halfLi64ELi4ELi16ELi8ELi2ELi1EEviiiiiiPKT_S3_S3_PS1_ii,comdat
	.protected	_Z12wvSplitK_hf_I6__halfLi64ELi4ELi16ELi8ELi2ELi1EEviiiiiiPKT_S3_S3_PS1_ii ; -- Begin function _Z12wvSplitK_hf_I6__halfLi64ELi4ELi16ELi8ELi2ELi1EEviiiiiiPKT_S3_S3_PS1_ii
	.globl	_Z12wvSplitK_hf_I6__halfLi64ELi4ELi16ELi8ELi2ELi1EEviiiiiiPKT_S3_S3_PS1_ii
	.p2align	8
	.type	_Z12wvSplitK_hf_I6__halfLi64ELi4ELi16ELi8ELi2ELi1EEviiiiiiPKT_S3_S3_PS1_ii,@function
_Z12wvSplitK_hf_I6__halfLi64ELi4ELi16ELi8ELi2ELi1EEviiiiiiPKT_S3_S3_PS1_ii: ; @_Z12wvSplitK_hf_I6__halfLi64ELi4ELi16ELi8ELi2ELi1EEviiiiiiPKT_S3_S3_PS1_ii
; %bb.0:
	s_load_dwordx2 s[18:19], s[0:1], 0x38
	s_load_dwordx4 s[8:11], s[0:1], 0x0
	s_load_dword s33, s[0:1], 0x10
	v_bfe_u32 v7, v0, 10, 10
	s_mov_b32 s4, 1
	s_waitcnt lgkmcnt(0)
	s_mul_i32 s2, s2, s18
	v_add_lshl_u32 v46, s2, v7, 2
	v_add_u32_e32 v1, 4, v46
	s_mov_b32 s5, s4
	v_cmp_gt_u32_e32 vcc, s11, v46
	v_cmp_le_u32_e64 s[2:3], s11, v1
	s_mov_b32 s6, s4
	s_mov_b32 s7, s4
	v_mov_b64_e32 v[2:3], s[4:5]
	s_and_b64 s[12:13], vcc, s[2:3]
	v_mov_b64_e32 v[4:5], s[6:7]
	s_and_saveexec_b64 s[2:3], s[12:13]
	s_cbranch_execz .LBB36_6
; %bb.1:
	s_add_i32 s20, s11, -4
	v_mov_b64_e32 v[2:3], s[4:5]
	v_cmp_ne_u32_e32 vcc, s20, v46
	v_mov_b64_e32 v[4:5], s[6:7]
	s_and_saveexec_b64 s[12:13], vcc
	s_cbranch_execz .LBB36_5
; %bb.2:
	v_subrev_u32_e32 v1, s20, v46
	v_cmp_lt_u32_e32 vcc, 1, v1
	s_mov_b64 s[14:15], 0
	s_mov_b64 s[16:17], 0
	v_cndmask_b32_e32 v6, 1, v1, vcc
	s_mov_b32 s5, s4
	s_mov_b32 s6, s4
	;; [unrolled: 1-line block ×3, first 2 shown]
.LBB36_3:                               ; =>This Inner Loop Header: Depth=1
	s_cmp_lg_u32 s16, 3
	s_cselect_b32 s7, s7, 0
	s_cmp_lg_u32 s16, 2
	s_cselect_b32 s6, s6, 0
	;; [unrolled: 2-line block ×4, first 2 shown]
	s_add_u32 s16, s16, 1
	s_addc_u32 s17, s17, 0
	v_cmp_eq_u32_e32 vcc, s16, v6
	v_mov_b64_e32 v[2:3], s[4:5]
	s_or_b64 s[14:15], vcc, s[14:15]
	v_mov_b64_e32 v[4:5], s[6:7]
	s_andn2_b64 exec, exec, s[14:15]
	s_cbranch_execnz .LBB36_3
; %bb.4:
	s_or_b64 exec, exec, s[14:15]
	v_mov_b32_e32 v46, s20
.LBB36_5:
	s_or_b64 exec, exec, s[12:13]
.LBB36_6:
	s_or_b64 exec, exec, s[2:3]
	s_load_dwordx4 s[12:15], s[0:1], 0x20
	v_and_b32_e32 v6, 0x3ff, v0
	v_lshlrev_b32_e32 v66, 3, v6
	v_lshl_add_u32 v8, v7, 9, v66
	s_min_u32 s10, s10, 0x8000
	v_cmp_gt_u32_e32 vcc, s10, v8
	s_and_saveexec_b64 s[2:3], vcc
	s_cbranch_execz .LBB36_9
; %bb.7:
	v_mov_b32_e32 v11, 0
	v_lshlrev_b32_e32 v10, 10, v7
	v_lshlrev_b32_e32 v12, 4, v6
	v_mov_b32_e32 v13, v11
	v_lshl_add_u64 v[0:1], v[10:11], 0, v[12:13]
	s_waitcnt lgkmcnt(0)
	v_lshl_add_u64 v[0:1], s[12:13], 0, v[0:1]
	v_add_u32_e32 v9, v10, v12
	s_mov_b64 s[4:5], 0
	s_mov_b64 s[6:7], 0x4000
.LBB36_8:                               ; =>This Inner Loop Header: Depth=1
	global_load_dwordx4 v[10:13], v[0:1], off
	v_add_u32_e32 v8, 0x2000, v8
	v_cmp_le_u32_e32 vcc, s10, v8
	v_lshl_add_u64 v[0:1], v[0:1], 0, s[6:7]
	s_or_b64 s[4:5], vcc, s[4:5]
	s_waitcnt vmcnt(0)
	ds_write_b128 v9, v[10:13]
	v_add_u32_e32 v9, 0x4000, v9
	s_andn2_b64 exec, exec, s[4:5]
	s_cbranch_execnz .LBB36_8
.LBB36_9:
	s_or_b64 exec, exec, s[2:3]
	v_cmp_gt_u32_e32 vcc, s18, v7
	v_cmp_gt_u32_e64 s[2:3], s11, v46
	s_and_b64 s[2:3], vcc, s[2:3]
	s_waitcnt lgkmcnt(0)
	s_barrier
	s_and_saveexec_b64 s[4:5], s[2:3]
	s_cbranch_execz .LBB36_44
; %bb.10:
	v_cvt_f32_u32_e32 v0, s33
	s_cmp_lg_u32 s8, 0
	s_cselect_b64 s[2:3], -1, 0
	s_add_i32 s10, s8, -8
	v_rcp_iflag_f32_e32 v0, v0
	s_add_i32 s34, s11, -1
	s_mul_i32 s4, s18, s19
	s_cmp_lg_u64 s[14:15], 0
	v_mul_f32_e32 v0, 0x4f7ffffe, v0
	v_cvt_u32_f32_e32 v0, v0
	s_load_dwordx2 s[6:7], s[0:1], 0x18
	s_load_dwordx2 s[16:17], s[0:1], 0x30
	s_cselect_b64 s[20:21], -1, 0
	s_lshl_b32 s35, s4, 2
	s_sub_i32 s4, 0, s33
	v_mul_lo_u32 v1, s4, v0
	v_mul_hi_u32 v1, v0, v1
	v_add_u32_e32 v67, v0, v1
	v_cndmask_b32_e64 v0, 0, 1, s[2:3]
	v_cmp_eq_u32_e64 s[0:1], 63, v6
	s_mov_b64 s[18:19], 0
	s_add_i32 s36, s11, -4
	v_mov_b32_e32 v1, 0
	v_lshlrev_b32_e32 v68, 4, v6
	v_cmp_ne_u32_e64 s[2:3], 1, v0
	s_movk_i32 s37, 0x7fff
	s_mov_b32 s22, 0
	s_branch .LBB36_13
.LBB36_11:                              ;   in Loop: Header=BB36_13 Depth=1
	s_or_b64 exec, exec, s[26:27]
	v_mov_b32_e32 v46, s36
.LBB36_12:                              ;   in Loop: Header=BB36_13 Depth=1
	s_or_b64 exec, exec, s[24:25]
	v_cmp_le_u32_e32 vcc, s11, v46
	s_or_b64 s[18:19], vcc, s[18:19]
	s_andn2_b64 exec, exec, s[18:19]
	s_cbranch_execz .LBB36_44
.LBB36_13:                              ; =>This Loop Header: Depth=1
                                        ;     Child Loop BB36_18 Depth 2
                                        ;     Child Loop BB36_39 Depth 2
	s_and_b64 vcc, exec, s[2:3]
	v_add_u32_e32 v52, 1, v46
	v_add_u32_e32 v50, 2, v46
	;; [unrolled: 1-line block ×3, first 2 shown]
	v_mov_b32_e32 v53, v1
	v_mov_b32_e32 v51, v1
	;; [unrolled: 1-line block ×4, first 2 shown]
	s_cbranch_vccnz .LBB36_28
; %bb.14:                               ;   in Loop: Header=BB36_13 Depth=1
	v_min_u32_e32 v0, s34, v46
	v_min_u32_e32 v6, s34, v52
	;; [unrolled: 1-line block ×4, first 2 shown]
	v_mul_lo_u32 v0, v0, s9
	v_mul_lo_u32 v6, v6, s9
	v_mov_b32_e32 v7, v1
	v_mul_lo_u32 v8, v8, s9
	v_mov_b32_e32 v9, v1
	;; [unrolled: 2-line block ×3, first 2 shown]
	v_mov_b32_e32 v47, 0
	v_lshlrev_b64 v[54:55], 1, v[0:1]
	v_lshlrev_b64 v[56:57], 1, v[6:7]
	;; [unrolled: 1-line block ×4, first 2 shown]
	v_mov_b32_e32 v69, v68
	v_mov_b32_e32 v49, 0
	;; [unrolled: 1-line block ×4, first 2 shown]
	s_mov_b32 s28, s22
	s_branch .LBB36_18
.LBB36_15:                              ;   in Loop: Header=BB36_18 Depth=2
	s_or_b64 exec, exec, s[26:27]
.LBB36_16:                              ;   in Loop: Header=BB36_18 Depth=2
	s_or_b64 exec, exec, s[24:25]
.LBB36_17:                              ;   in Loop: Header=BB36_18 Depth=2
	s_or_b64 exec, exec, s[4:5]
	s_waitcnt vmcnt(0) lgkmcnt(0)
	;;#ASMSTART
	v_dot2c_f32_f16 v53, v38, v34
	;;#ASMEND
	;;#ASMSTART
	v_dot2c_f32_f16 v51, v38, v30
	;;#ASMEND
	;;#ASMSTART
	v_dot2c_f32_f16 v49, v38, v26
	;;#ASMEND
	;;#ASMSTART
	v_dot2c_f32_f16 v47, v38, v22
	;;#ASMEND
	s_addk_i32 s28, 0x400
	;;#ASMSTART
	v_dot2c_f32_f16 v53, v39, v35
	;;#ASMEND
	;;#ASMSTART
	v_dot2c_f32_f16 v51, v39, v31
	;;#ASMEND
	;; [unrolled: 3-line block ×4, first 2 shown]
	s_cmp_ge_u32 s28, s8
	;;#ASMSTART
	v_dot2c_f32_f16 v53, v40, v36
	;;#ASMEND
	;;#ASMSTART
	v_dot2c_f32_f16 v51, v40, v32
	;;#ASMEND
	;; [unrolled: 3-line block ×4, first 2 shown]
	v_add_u32_e32 v69, 0x800, v69
	;;#ASMSTART
	v_dot2c_f32_f16 v53, v41, v37
	;;#ASMEND
	;;#ASMSTART
	v_dot2c_f32_f16 v51, v41, v33
	;;#ASMEND
	;;#ASMSTART
	v_dot2c_f32_f16 v49, v41, v29
	;;#ASMEND
	;;#ASMSTART
	v_dot2c_f32_f16 v47, v41, v25
	;;#ASMEND
	s_nop 0
	;;#ASMSTART
	v_dot2c_f32_f16 v53, v42, v18
	;;#ASMEND
	;;#ASMSTART
	v_dot2c_f32_f16 v51, v42, v14
	;;#ASMEND
	;;#ASMSTART
	v_dot2c_f32_f16 v49, v42, v10
	;;#ASMEND
	;;#ASMSTART
	v_dot2c_f32_f16 v47, v42, v6
	;;#ASMEND
	s_nop 0
	;; [unrolled: 13-line block ×4, first 2 shown]
	;;#ASMSTART
	v_dot2c_f32_f16 v53, v45, v21
	;;#ASMEND
	;;#ASMSTART
	v_dot2c_f32_f16 v51, v45, v17
	;;#ASMEND
	;; [unrolled: 3-line block ×4, first 2 shown]
	s_cbranch_scc1 .LBB36_28
.LBB36_18:                              ;   Parent Loop BB36_13 Depth=1
                                        ; =>  This Inner Loop Header: Depth=2
	v_add_u32_e32 v64, s28, v66
	v_min_u32_e32 v0, s10, v64
	s_waitcnt lgkmcnt(0)
	v_lshl_add_u64 v[6:7], v[0:1], 1, s[6:7]
	v_lshl_add_u64 v[8:9], v[6:7], 0, v[54:55]
	v_add_u32_e32 v62, 0x200, v64
	v_lshl_add_u64 v[10:11], v[6:7], 0, v[56:57]
	global_load_dwordx4 v[34:37], v[8:9], off nt
	global_load_dwordx4 v[30:33], v[10:11], off nt
	v_lshl_add_u64 v[8:9], v[6:7], 0, v[58:59]
	v_lshl_add_u64 v[6:7], v[6:7], 0, v[60:61]
	v_min_u32_e32 v0, s10, v62
	global_load_dwordx4 v[26:29], v[8:9], off nt
	global_load_dwordx4 v[22:25], v[6:7], off nt
	v_lshl_add_u64 v[6:7], v[0:1], 1, s[6:7]
	v_lshl_add_u64 v[8:9], v[6:7], 0, v[54:55]
	;; [unrolled: 1-line block ×4, first 2 shown]
	global_load_dwordx4 v[18:21], v[8:9], off nt
	global_load_dwordx4 v[14:17], v[10:11], off nt
	v_lshl_add_u64 v[40:41], v[6:7], 0, v[60:61]
	global_load_dwordx4 v[10:13], v[38:39], off nt
	global_load_dwordx4 v[6:9], v[40:41], off nt
	s_mov_b32 s23, s22
	v_cmp_gt_u32_e32 vcc, s8, v64
	v_mov_b64_e32 v[38:39], s[22:23]
	v_mov_b32_e32 v45, 0
	v_mov_b32_e32 v44, 0
	;; [unrolled: 1-line block ×4, first 2 shown]
	v_mov_b64_e32 v[40:41], s[22:23]
	s_and_saveexec_b64 s[4:5], vcc
	s_cbranch_execz .LBB36_17
; %bb.19:                               ;   in Loop: Header=BB36_18 Depth=2
	v_cmp_lt_u32_e32 vcc, s37, v64
                                        ; implicit-def: $vgpr38_vgpr39
	s_and_saveexec_b64 s[24:25], vcc
	s_xor_b64 s[24:25], exec, s[24:25]
	s_cbranch_execz .LBB36_21
; %bb.20:                               ;   in Loop: Header=BB36_18 Depth=2
	v_mov_b32_e32 v65, v1
	v_lshl_add_u64 v[38:39], v[64:65], 1, s[12:13]
	global_load_dwordx4 v[38:41], v[38:39], off
.LBB36_21:                              ;   in Loop: Header=BB36_18 Depth=2
	s_andn2_saveexec_b64 s[24:25], s[24:25]
	s_cbranch_execz .LBB36_23
; %bb.22:                               ;   in Loop: Header=BB36_18 Depth=2
	s_waitcnt vmcnt(0)
	ds_read_b128 v[38:41], v69
.LBB36_23:                              ;   in Loop: Header=BB36_18 Depth=2
	s_or_b64 exec, exec, s[24:25]
	v_cmp_gt_u32_e32 vcc, s8, v62
	v_mov_b32_e32 v45, 0
	v_mov_b32_e32 v44, 0
	v_mov_b32_e32 v43, 0
	v_mov_b32_e32 v42, 0
	s_and_saveexec_b64 s[24:25], vcc
	s_cbranch_execz .LBB36_16
; %bb.24:                               ;   in Loop: Header=BB36_18 Depth=2
	v_cmp_lt_u32_e32 vcc, s37, v62
                                        ; implicit-def: $vgpr45
	s_and_saveexec_b64 s[26:27], vcc
	s_xor_b64 s[26:27], exec, s[26:27]
	s_cbranch_execz .LBB36_26
; %bb.25:                               ;   in Loop: Header=BB36_18 Depth=2
	v_mov_b32_e32 v63, v1
	v_lshl_add_u64 v[42:43], v[62:63], 1, s[12:13]
	global_load_dwordx4 v[42:45], v[42:43], off
.LBB36_26:                              ;   in Loop: Header=BB36_18 Depth=2
	s_andn2_saveexec_b64 s[26:27], s[26:27]
	s_cbranch_execz .LBB36_15
; %bb.27:                               ;   in Loop: Header=BB36_18 Depth=2
	s_waitcnt vmcnt(0)
	ds_read_b128 v[42:45], v69 offset:1024
	s_branch .LBB36_15
.LBB36_28:                              ;   in Loop: Header=BB36_13 Depth=1
	v_cvt_i32_f32_e32 v0, v53
	v_cvt_i32_f32_e32 v6, v51
	;; [unrolled: 1-line block ×4, first 2 shown]
	v_cvt_f32_i32_dpp v0, v0 row_shr:8 row_mask:0xf bank_mask:0xf bound_ctrl:1
	v_cvt_f32_i32_dpp v6, v6 row_shr:8 row_mask:0xf bank_mask:0xf bound_ctrl:1
	;; [unrolled: 1-line block ×4, first 2 shown]
	v_add_f32_e32 v0, v53, v0
	v_cvt_i32_f32_e32 v9, v0
	v_add_f32_e32 v6, v51, v6
	v_cvt_i32_f32_e32 v10, v6
	v_add_f32_e32 v7, v49, v7
	v_cvt_f32_i32_dpp v9, v9 row_shr:4 row_mask:0xf bank_mask:0xf bound_ctrl:1
	v_add_f32_e32 v8, v47, v8
	v_cvt_f32_i32_dpp v10, v10 row_shr:4 row_mask:0xf bank_mask:0xf bound_ctrl:1
	v_cvt_i32_f32_e32 v11, v7
	v_add_f32_e32 v0, v0, v9
	v_cvt_i32_f32_e32 v9, v0
	v_cvt_i32_f32_e32 v12, v8
	v_add_f32_e32 v6, v6, v10
	v_cvt_i32_f32_e32 v10, v6
	v_cvt_f32_i32_dpp v9, v9 row_shr:2 row_mask:0xf bank_mask:0xf bound_ctrl:1
	v_cvt_f32_i32_dpp v11, v11 row_shr:4 row_mask:0xf bank_mask:0xf bound_ctrl:1
	;; [unrolled: 1-line block ×4, first 2 shown]
	v_add_f32_e32 v0, v0, v9
	v_cvt_i32_f32_e32 v9, v0
	v_add_f32_e32 v7, v7, v11
	v_add_f32_e32 v8, v8, v12
	v_cvt_i32_f32_e32 v11, v7
	v_cvt_f32_i32_dpp v9, v9 row_shr:1 row_mask:0xf bank_mask:0xf bound_ctrl:1
	v_add_f32_e32 v6, v6, v10
	v_cvt_i32_f32_e32 v12, v8
	v_cvt_i32_f32_e32 v10, v6
	v_add_f32_e32 v0, v0, v9
	v_cvt_f32_i32_dpp v11, v11 row_shr:2 row_mask:0xf bank_mask:0xf bound_ctrl:1
	v_cvt_f32_i32_dpp v12, v12 row_shr:2 row_mask:0xf bank_mask:0xf bound_ctrl:1
	v_cvt_i32_f32_e32 v9, v0
	v_cvt_f32_i32_dpp v10, v10 row_shr:1 row_mask:0xf bank_mask:0xf bound_ctrl:1
	v_add_f32_e32 v7, v7, v11
	v_add_f32_e32 v8, v8, v12
	v_cvt_f32_i32_dpp v9, v9 row_bcast:15 row_mask:0xf bank_mask:0xf bound_ctrl:1
	v_add_f32_e32 v6, v6, v10
	v_cvt_i32_f32_e32 v10, v7
	v_cvt_i32_f32_e32 v12, v8
	v_add_f32_e32 v11, v0, v9
	v_cvt_i32_f32_e32 v13, v6
	v_cvt_f32_i32_dpp v10, v10 row_shr:1 row_mask:0xf bank_mask:0xf bound_ctrl:1
	v_cvt_f32_i32_dpp v0, v12 row_shr:1 row_mask:0xf bank_mask:0xf bound_ctrl:1
	v_cvt_i32_f32_e32 v12, v11
	v_cvt_f32_i32_dpp v9, v13 row_bcast:15 row_mask:0xf bank_mask:0xf bound_ctrl:1
	v_add_f32_e32 v7, v7, v10
	v_add_f32_e32 v0, v8, v0
	v_cvt_i32_f32_e32 v10, v7
	v_cvt_i32_f32_e32 v8, v0
	s_nop 0
	v_cvt_f32_i32_dpp v13, v10 row_bcast:15 row_mask:0xf bank_mask:0xf bound_ctrl:1
	v_add_f32_e32 v10, v6, v9
	v_cvt_f32_i32_dpp v6, v8 row_bcast:15 row_mask:0xf bank_mask:0xf bound_ctrl:1
	v_cvt_i32_f32_e32 v9, v10
	v_add_f32_e32 v8, v7, v13
	v_cvt_i32_f32_e32 v7, v8
	v_add_f32_e32 v6, v0, v6
	v_cvt_i32_f32_e32 v0, v6
	v_mov_b32_dpp v13, v12 row_bcast:31 row_mask:0xf bank_mask:0xf bound_ctrl:1
	v_mov_b32_dpp v12, v9 row_bcast:31 row_mask:0xf bank_mask:0xf bound_ctrl:1
	;; [unrolled: 1-line block ×4, first 2 shown]
	s_and_saveexec_b64 s[4:5], s[0:1]
	s_cbranch_execz .LBB36_36
; %bb.29:                               ;   in Loop: Header=BB36_13 Depth=1
	s_andn2_b64 vcc, exec, s[20:21]
	v_mov_b32_e32 v0, 0
	v_mov_b32_e32 v14, 0
	;; [unrolled: 1-line block ×4, first 2 shown]
	s_cbranch_vccnz .LBB36_31
; %bb.30:                               ;   in Loop: Header=BB36_13 Depth=1
	v_mul_hi_u32 v0, v46, v67
	v_mul_lo_u32 v0, v0, s33
	v_sub_u32_e32 v0, v46, v0
	v_subrev_u32_e32 v14, s33, v0
	v_cmp_le_u32_e32 vcc, s33, v0
	s_nop 1
	v_cndmask_b32_e32 v0, v0, v14, vcc
	v_subrev_u32_e32 v14, s33, v0
	v_cmp_le_u32_e32 vcc, s33, v0
	s_nop 1
	v_cndmask_b32_e32 v0, v0, v14, vcc
	v_lshl_add_u64 v[18:19], v[0:1], 1, s[14:15]
	v_mul_hi_u32 v0, v52, v67
	v_mul_lo_u32 v0, v0, s33
	v_sub_u32_e32 v0, v52, v0
	v_subrev_u32_e32 v14, s33, v0
	v_cmp_le_u32_e32 vcc, s33, v0
	s_nop 1
	v_cndmask_b32_e32 v0, v0, v14, vcc
	v_subrev_u32_e32 v14, s33, v0
	v_cmp_le_u32_e32 vcc, s33, v0
	s_nop 1
	v_cndmask_b32_e32 v0, v0, v14, vcc
	v_lshl_add_u64 v[20:21], v[0:1], 1, s[14:15]
	;; [unrolled: 12-line block ×4, first 2 shown]
	global_load_ushort v16, v[18:19], off
	global_load_ushort v15, v[20:21], off
	;; [unrolled: 1-line block ×4, first 2 shown]
.LBB36_31:                              ;   in Loop: Header=BB36_13 Depth=1
	v_cmp_ne_u32_e32 vcc, 0, v2
	s_and_saveexec_b64 s[24:25], vcc
	s_cbranch_execnz .LBB36_41
; %bb.32:                               ;   in Loop: Header=BB36_13 Depth=1
	s_or_b64 exec, exec, s[24:25]
	v_cmp_ne_u32_e32 vcc, 0, v3
	s_and_saveexec_b64 s[24:25], vcc
	s_cbranch_execnz .LBB36_42
.LBB36_33:                              ;   in Loop: Header=BB36_13 Depth=1
	s_or_b64 exec, exec, s[24:25]
	v_cmp_ne_u32_e32 vcc, 0, v4
	s_and_saveexec_b64 s[24:25], vcc
	s_cbranch_execnz .LBB36_43
.LBB36_34:                              ;   in Loop: Header=BB36_13 Depth=1
	s_or_b64 exec, exec, s[24:25]
	v_cmp_ne_u32_e32 vcc, 0, v5
	s_and_b64 exec, exec, vcc
	s_cbranch_execz .LBB36_36
.LBB36_35:                              ;   in Loop: Header=BB36_13 Depth=1
	v_cvt_f32_i32_e32 v7, v7
	s_waitcnt vmcnt(0)
	v_cvt_f32_f16_e32 v0, v0
	v_mov_b32_e32 v49, v1
	v_add_f32_e32 v6, v6, v7
	v_add_f32_e32 v0, v6, v0
	v_cvt_f16_f32_e32 v0, v0
	s_waitcnt lgkmcnt(0)
	v_lshl_add_u64 v[6:7], v[48:49], 1, s[16:17]
	global_store_short v[6:7], v0, off
.LBB36_36:                              ;   in Loop: Header=BB36_13 Depth=1
	s_or_b64 exec, exec, s[4:5]
	v_add_u32_e32 v46, s35, v46
	s_waitcnt vmcnt(0)
	v_add_u32_e32 v0, 4, v46
	v_cmp_gt_u32_e32 vcc, s11, v46
	v_cmp_le_u32_e64 s[4:5], s11, v0
	s_and_b64 s[4:5], vcc, s[4:5]
	s_and_saveexec_b64 s[24:25], s[4:5]
	s_cbranch_execz .LBB36_12
; %bb.37:                               ;   in Loop: Header=BB36_13 Depth=1
	v_cmp_ne_u32_e32 vcc, s36, v46
	s_and_saveexec_b64 s[26:27], vcc
	s_cbranch_execz .LBB36_11
; %bb.38:                               ;   in Loop: Header=BB36_13 Depth=1
	v_subrev_u32_e32 v0, s36, v46
	v_cmp_lt_u32_e32 vcc, 1, v0
	s_mov_b64 s[28:29], 0
	s_mov_b64 s[30:31], 0
	v_cndmask_b32_e32 v0, 1, v0, vcc
.LBB36_39:                              ;   Parent Loop BB36_13 Depth=1
                                        ; =>  This Inner Loop Header: Depth=2
	s_cmp_lg_u32 s30, 3
	s_cselect_b64 vcc, -1, 0
	s_cmp_lg_u32 s30, 2
	v_cndmask_b32_e32 v5, 0, v5, vcc
	s_cselect_b64 vcc, -1, 0
	s_cmp_lg_u32 s30, 1
	v_cndmask_b32_e32 v4, 0, v4, vcc
	;; [unrolled: 3-line block ×3, first 2 shown]
	s_cselect_b64 vcc, -1, 0
	s_add_u32 s30, s30, 1
	s_addc_u32 s31, s31, 0
	v_cmp_eq_u32_e64 s[4:5], s30, v0
	s_or_b64 s[28:29], s[4:5], s[28:29]
	v_cndmask_b32_e32 v2, 0, v2, vcc
	s_andn2_b64 exec, exec, s[28:29]
	s_cbranch_execnz .LBB36_39
; %bb.40:                               ;   in Loop: Header=BB36_13 Depth=1
	s_or_b64 exec, exec, s[28:29]
	s_branch .LBB36_11
.LBB36_41:                              ;   in Loop: Header=BB36_13 Depth=1
	v_cvt_f32_i32_e32 v13, v13
	s_waitcnt vmcnt(3)
	v_cvt_f32_f16_e32 v16, v16
	v_mov_b32_e32 v47, v1
	v_add_f32_e32 v11, v11, v13
	v_add_f32_e32 v11, v11, v16
	v_cvt_f16_f32_e32 v11, v11
	s_waitcnt lgkmcnt(0)
	v_lshl_add_u64 v[16:17], v[46:47], 1, s[16:17]
	global_store_short v[16:17], v11, off
	s_or_b64 exec, exec, s[24:25]
	v_cmp_ne_u32_e32 vcc, 0, v3
	s_and_saveexec_b64 s[24:25], vcc
	s_cbranch_execz .LBB36_33
.LBB36_42:                              ;   in Loop: Header=BB36_13 Depth=1
	v_cvt_f32_i32_e32 v11, v12
	s_waitcnt vmcnt(2)
	v_cvt_f32_f16_e32 v12, v15
	v_mov_b32_e32 v53, v1
	v_add_f32_e32 v10, v10, v11
	v_add_f32_e32 v10, v10, v12
	v_cvt_f16_f32_e32 v12, v10
	s_waitcnt lgkmcnt(0)
	v_lshl_add_u64 v[10:11], v[52:53], 1, s[16:17]
	global_store_short v[10:11], v12, off
	s_or_b64 exec, exec, s[24:25]
	v_cmp_ne_u32_e32 vcc, 0, v4
	s_and_saveexec_b64 s[24:25], vcc
	s_cbranch_execz .LBB36_34
.LBB36_43:                              ;   in Loop: Header=BB36_13 Depth=1
	v_cvt_f32_i32_e32 v9, v9
	s_waitcnt vmcnt(1)
	v_cvt_f32_f16_e32 v10, v14
	v_mov_b32_e32 v51, v1
	v_add_f32_e32 v8, v8, v9
	v_add_f32_e32 v8, v8, v10
	v_cvt_f16_f32_e32 v10, v8
	s_waitcnt lgkmcnt(0)
	v_lshl_add_u64 v[8:9], v[50:51], 1, s[16:17]
	global_store_short v[8:9], v10, off
	s_or_b64 exec, exec, s[24:25]
	v_cmp_ne_u32_e32 vcc, 0, v5
	s_and_b64 exec, exec, vcc
	s_cbranch_execnz .LBB36_35
	s_branch .LBB36_36
.LBB36_44:
	s_endpgm
	.section	.rodata,"a",@progbits
	.p2align	6, 0x0
	.amdhsa_kernel _Z12wvSplitK_hf_I6__halfLi64ELi4ELi16ELi8ELi2ELi1EEviiiiiiPKT_S3_S3_PS1_ii
		.amdhsa_group_segment_fixed_size 65536
		.amdhsa_private_segment_fixed_size 0
		.amdhsa_kernarg_size 64
		.amdhsa_user_sgpr_count 2
		.amdhsa_user_sgpr_dispatch_ptr 0
		.amdhsa_user_sgpr_queue_ptr 0
		.amdhsa_user_sgpr_kernarg_segment_ptr 1
		.amdhsa_user_sgpr_dispatch_id 0
		.amdhsa_user_sgpr_kernarg_preload_length 0
		.amdhsa_user_sgpr_kernarg_preload_offset 0
		.amdhsa_user_sgpr_private_segment_size 0
		.amdhsa_uses_dynamic_stack 0
		.amdhsa_enable_private_segment 0
		.amdhsa_system_sgpr_workgroup_id_x 1
		.amdhsa_system_sgpr_workgroup_id_y 0
		.amdhsa_system_sgpr_workgroup_id_z 0
		.amdhsa_system_sgpr_workgroup_info 0
		.amdhsa_system_vgpr_workitem_id 1
		.amdhsa_next_free_vgpr 70
		.amdhsa_next_free_sgpr 38
		.amdhsa_accum_offset 72
		.amdhsa_reserve_vcc 1
		.amdhsa_float_round_mode_32 0
		.amdhsa_float_round_mode_16_64 0
		.amdhsa_float_denorm_mode_32 3
		.amdhsa_float_denorm_mode_16_64 3
		.amdhsa_dx10_clamp 1
		.amdhsa_ieee_mode 1
		.amdhsa_fp16_overflow 0
		.amdhsa_tg_split 0
		.amdhsa_exception_fp_ieee_invalid_op 0
		.amdhsa_exception_fp_denorm_src 0
		.amdhsa_exception_fp_ieee_div_zero 0
		.amdhsa_exception_fp_ieee_overflow 0
		.amdhsa_exception_fp_ieee_underflow 0
		.amdhsa_exception_fp_ieee_inexact 0
		.amdhsa_exception_int_div_zero 0
	.end_amdhsa_kernel
	.section	.text._Z12wvSplitK_hf_I6__halfLi64ELi4ELi16ELi8ELi2ELi1EEviiiiiiPKT_S3_S3_PS1_ii,"axG",@progbits,_Z12wvSplitK_hf_I6__halfLi64ELi4ELi16ELi8ELi2ELi1EEviiiiiiPKT_S3_S3_PS1_ii,comdat
.Lfunc_end36:
	.size	_Z12wvSplitK_hf_I6__halfLi64ELi4ELi16ELi8ELi2ELi1EEviiiiiiPKT_S3_S3_PS1_ii, .Lfunc_end36-_Z12wvSplitK_hf_I6__halfLi64ELi4ELi16ELi8ELi2ELi1EEviiiiiiPKT_S3_S3_PS1_ii
                                        ; -- End function
	.section	.AMDGPU.csdata,"",@progbits
; Kernel info:
; codeLenInByte = 2564
; NumSgprs: 44
; NumVgprs: 70
; NumAgprs: 0
; TotalNumVgprs: 70
; ScratchSize: 0
; MemoryBound: 1
; FloatMode: 240
; IeeeMode: 1
; LDSByteSize: 65536 bytes/workgroup (compile time only)
; SGPRBlocks: 5
; VGPRBlocks: 8
; NumSGPRsForWavesPerEU: 44
; NumVGPRsForWavesPerEU: 70
; AccumOffset: 72
; Occupancy: 4
; WaveLimiterHint : 0
; COMPUTE_PGM_RSRC2:SCRATCH_EN: 0
; COMPUTE_PGM_RSRC2:USER_SGPR: 2
; COMPUTE_PGM_RSRC2:TRAP_HANDLER: 0
; COMPUTE_PGM_RSRC2:TGID_X_EN: 1
; COMPUTE_PGM_RSRC2:TGID_Y_EN: 0
; COMPUTE_PGM_RSRC2:TGID_Z_EN: 0
; COMPUTE_PGM_RSRC2:TIDIG_COMP_CNT: 1
; COMPUTE_PGM_RSRC3_GFX90A:ACCUM_OFFSET: 17
; COMPUTE_PGM_RSRC3_GFX90A:TG_SPLIT: 0
	.section	.text._Z16wvSplitK_hf_big_I6__halfLi64ELi4ELi16ELi8ELi2ELi1EEviiiiiiPKT_S3_S3_PS1_ii,"axG",@progbits,_Z16wvSplitK_hf_big_I6__halfLi64ELi4ELi16ELi8ELi2ELi1EEviiiiiiPKT_S3_S3_PS1_ii,comdat
	.protected	_Z16wvSplitK_hf_big_I6__halfLi64ELi4ELi16ELi8ELi2ELi1EEviiiiiiPKT_S3_S3_PS1_ii ; -- Begin function _Z16wvSplitK_hf_big_I6__halfLi64ELi4ELi16ELi8ELi2ELi1EEviiiiiiPKT_S3_S3_PS1_ii
	.globl	_Z16wvSplitK_hf_big_I6__halfLi64ELi4ELi16ELi8ELi2ELi1EEviiiiiiPKT_S3_S3_PS1_ii
	.p2align	8
	.type	_Z16wvSplitK_hf_big_I6__halfLi64ELi4ELi16ELi8ELi2ELi1EEviiiiiiPKT_S3_S3_PS1_ii,@function
_Z16wvSplitK_hf_big_I6__halfLi64ELi4ELi16ELi8ELi2ELi1EEviiiiiiPKT_S3_S3_PS1_ii: ; @_Z16wvSplitK_hf_big_I6__halfLi64ELi4ELi16ELi8ELi2ELi1EEviiiiiiPKT_S3_S3_PS1_ii
; %bb.0:
	s_load_dwordx2 s[8:9], s[0:1], 0x38
	v_bfe_u32 v7, v0, 10, 10
	s_waitcnt lgkmcnt(0)
	v_cmp_gt_u32_e32 vcc, s8, v7
	s_and_saveexec_b64 s[4:5], vcc
	s_cbranch_execz .LBB37_48
; %bb.1:
	s_load_dwordx4 s[20:23], s[0:1], 0x0
	s_mul_i32 s2, s2, s8
	v_add_lshl_u32 v46, s2, v7, 2
	s_mov_b32 s4, 1
	v_add_u32_e32 v1, 4, v46
	s_mov_b32 s5, s4
	s_waitcnt lgkmcnt(0)
	v_cmp_gt_u32_e32 vcc, s23, v46
	v_cmp_le_u32_e64 s[2:3], s23, v1
	s_mov_b32 s6, s4
	s_mov_b32 s7, s4
	v_mov_b64_e32 v[2:3], s[4:5]
	s_and_b64 s[10:11], vcc, s[2:3]
	v_mov_b64_e32 v[4:5], s[6:7]
	s_and_saveexec_b64 s[2:3], s[10:11]
	s_cbranch_execz .LBB37_7
; %bb.2:
	s_add_i32 s16, s23, -4
	v_mov_b64_e32 v[2:3], s[4:5]
	v_cmp_ne_u32_e32 vcc, s16, v46
	v_mov_b64_e32 v[4:5], s[6:7]
	s_and_saveexec_b64 s[10:11], vcc
	s_cbranch_execz .LBB37_6
; %bb.3:
	v_subrev_u32_e32 v1, s16, v46
	v_cmp_lt_u32_e32 vcc, 1, v1
	s_mov_b64 s[12:13], 0
	s_mov_b64 s[14:15], 0
	v_cndmask_b32_e32 v6, 1, v1, vcc
	s_mov_b32 s5, s4
	s_mov_b32 s6, s4
	;; [unrolled: 1-line block ×3, first 2 shown]
.LBB37_4:                               ; =>This Inner Loop Header: Depth=1
	s_cmp_lg_u32 s14, 3
	s_cselect_b32 s7, s7, 0
	s_cmp_lg_u32 s14, 2
	s_cselect_b32 s6, s6, 0
	s_cmp_lg_u32 s14, 1
	s_cselect_b32 s5, s5, 0
	s_cmp_lg_u32 s14, 0
	s_cselect_b32 s4, s4, 0
	s_add_u32 s14, s14, 1
	s_addc_u32 s15, s15, 0
	v_cmp_eq_u32_e32 vcc, s14, v6
	v_mov_b64_e32 v[2:3], s[4:5]
	s_or_b64 s[12:13], vcc, s[12:13]
	v_mov_b64_e32 v[4:5], s[6:7]
	s_andn2_b64 exec, exec, s[12:13]
	s_cbranch_execnz .LBB37_4
; %bb.5:
	s_or_b64 exec, exec, s[12:13]
	v_mov_b32_e32 v46, s16
.LBB37_6:
	s_or_b64 exec, exec, s[10:11]
.LBB37_7:
	s_or_b64 exec, exec, s[2:3]
	s_lshl_b32 s2, s8, 2
	s_abs_i32 s3, s2
	v_cvt_f32_u32_e32 v1, s3
	s_sub_i32 s6, 0, s3
	s_abs_i32 s5, s23
	s_ashr_i32 s4, s23, 31
	v_rcp_iflag_f32_e32 v1, v1
	s_nop 0
	v_mul_f32_e32 v1, 0x4f7ffffe, v1
	v_cvt_u32_f32_e32 v1, v1
	s_nop 0
	v_readfirstlane_b32 s7, v1
	s_mul_i32 s6, s6, s7
	s_mul_hi_u32 s6, s7, s6
	s_add_i32 s7, s7, s6
	s_mul_hi_u32 s6, s5, s7
	s_mul_i32 s6, s6, s3
	s_sub_i32 s5, s5, s6
	s_sub_i32 s6, s5, s3
	s_cmp_ge_u32 s5, s3
	s_cselect_b32 s5, s6, s5
	s_sub_i32 s6, s5, s3
	s_cmp_ge_u32 s5, s3
	s_cselect_b32 s3, s6, s5
	s_xor_b32 s3, s3, s4
	s_sub_i32 s3, s3, s4
	s_add_i32 s2, s2, s23
	s_sub_i32 s2, s2, s3
	s_cmp_eq_u32 s3, 0
	s_cselect_b32 s33, s23, s2
	v_cmp_gt_u32_e32 vcc, s33, v46
	s_and_b64 exec, exec, vcc
	s_cbranch_execz .LBB37_48
; %bb.8:
	s_load_dwordx8 s[12:19], s[0:1], 0x18
	s_load_dword s38, s[0:1], 0x10
	s_min_u32 s39, s22, 0x8000
	s_cmp_lg_u32 s20, 0
	s_cselect_b64 s[2:3], -1, 0
	s_cmp_lg_u32 s22, 0
	s_waitcnt lgkmcnt(0)
	v_cvt_f32_u32_e32 v1, s38
	s_mul_i32 s0, s9, s8
	s_cselect_b64 s[4:5], -1, 0
	s_lshl_b32 s40, s8, 9
	v_rcp_iflag_f32_e32 v1, v1
	s_add_i32 s41, s20, -8
	s_add_i32 s42, s23, -1
	s_lshl_b32 s43, s0, 2
	v_mul_f32_e32 v1, 0x4f7ffffe, v1
	v_cvt_u32_f32_e32 v1, v1
	v_and_b32_e32 v0, 0x3ff, v0
	s_cmp_lg_u64 s[16:17], 0
	v_lshlrev_b32_e32 v56, 3, v0
	v_cmp_eq_u32_e64 s[0:1], 63, v0
	s_cselect_b64 s[24:25], -1, 0
	s_sub_i32 s6, 0, s38
	v_lshlrev_b32_e32 v0, 4, v0
	s_add_i32 s44, s23, -4
	v_mul_lo_u32 v6, s6, v1
	v_lshl_add_u32 v58, v7, 10, v0
	v_cndmask_b32_e64 v0, 0, 1, s[2:3]
	v_mul_hi_u32 v6, v1, v6
	s_add_u32 s26, s18, 2
	v_cmp_ne_u32_e64 s[2:3], 1, v0
	v_cndmask_b32_e64 v0, 0, 1, s[4:5]
	s_mov_b64 s[10:11], 0
	v_add_u32_e32 v57, v1, v6
	v_mov_b32_e32 v1, 0
	s_addc_u32 s27, s19, 0
	s_lshl_b32 s45, s8, 10
	v_lshl_add_u32 v59, v7, 9, v56
	v_cmp_ne_u32_e64 s[4:5], 1, v0
	s_branch .LBB37_12
.LBB37_9:                               ;   in Loop: Header=BB37_12 Depth=1
	s_or_b64 exec, exec, s[30:31]
	v_mov_b32_e32 v46, s44
.LBB37_10:                              ;   in Loop: Header=BB37_12 Depth=1
	s_or_b64 exec, exec, s[28:29]
.LBB37_11:                              ;   in Loop: Header=BB37_12 Depth=1
	s_or_b64 exec, exec, s[8:9]
	v_cmp_le_u32_e32 vcc, s33, v46
	s_or_b64 s[10:11], vcc, s[10:11]
	s_andn2_b64 exec, exec, s[10:11]
	s_cbranch_execz .LBB37_48
.LBB37_12:                              ; =>This Loop Header: Depth=1
                                        ;     Child Loop BB37_17 Depth 2
                                        ;       Child Loop BB37_22 Depth 3
                                        ;     Child Loop BB37_43 Depth 2
	s_mov_b32 s34, 0
	s_and_b64 vcc, exec, s[2:3]
	v_mov_b32_e32 v62, v1
	v_mov_b32_e32 v61, v1
	v_mov_b32_e32 v60, v1
	v_mov_b32_e32 v47, v1
	s_cbranch_vccnz .LBB37_29
; %bb.13:                               ;   in Loop: Header=BB37_12 Depth=1
	v_add_u32_e32 v6, 1, v46
	v_add_u32_e32 v8, 2, v46
	v_add_u32_e32 v10, 3, v46
	v_min_u32_e32 v0, s42, v46
	v_min_u32_e32 v6, s42, v6
	;; [unrolled: 1-line block ×4, first 2 shown]
	v_mul_lo_u32 v0, v0, s21
	v_mul_lo_u32 v6, v6, s21
	v_mov_b32_e32 v7, v1
	v_mul_lo_u32 v8, v8, s21
	v_mov_b32_e32 v9, v1
	;; [unrolled: 2-line block ×3, first 2 shown]
	v_cmp_gt_u32_e64 s[6:7], s23, v46
	v_mov_b32_e32 v47, 0
	v_lshlrev_b64 v[48:49], 1, v[0:1]
	v_lshlrev_b64 v[50:51], 1, v[6:7]
	;; [unrolled: 1-line block ×4, first 2 shown]
	v_mov_b32_e32 v60, 0
	v_mov_b32_e32 v61, 0
	;; [unrolled: 1-line block ×3, first 2 shown]
	s_mov_b32 s35, 0
	s_branch .LBB37_17
.LBB37_14:                              ;   in Loop: Header=BB37_17 Depth=2
	s_or_b64 exec, exec, s[30:31]
.LBB37_15:                              ;   in Loop: Header=BB37_17 Depth=2
	s_or_b64 exec, exec, s[28:29]
	s_waitcnt vmcnt(7) lgkmcnt(0)
	;;#ASMSTART
	v_dot2c_f32_f16 v62, v38, v42
	;;#ASMEND
	s_waitcnt vmcnt(6)
	;;#ASMSTART
	v_dot2c_f32_f16 v61, v38, v34
	;;#ASMEND
	s_waitcnt vmcnt(5)
	;; [unrolled: 4-line block ×3, first 2 shown]
	;;#ASMSTART
	v_dot2c_f32_f16 v47, v38, v26
	;;#ASMEND
	;;#ASMSTART
	v_dot2c_f32_f16 v62, v39, v43
	;;#ASMEND
	;;#ASMSTART
	v_dot2c_f32_f16 v61, v39, v35
	;;#ASMEND
	;;#ASMSTART
	v_dot2c_f32_f16 v60, v39, v31
	;;#ASMEND
	s_nop 0
	;;#ASMSTART
	v_dot2c_f32_f16 v47, v39, v27
	;;#ASMEND
	;;#ASMSTART
	v_dot2c_f32_f16 v62, v40, v44
	;;#ASMEND
	;;#ASMSTART
	v_dot2c_f32_f16 v61, v40, v36
	;;#ASMEND
	;;#ASMSTART
	v_dot2c_f32_f16 v60, v40, v32
	;;#ASMEND
	s_nop 0
	;; [unrolled: 13-line block ×3, first 2 shown]
	;;#ASMSTART
	v_dot2c_f32_f16 v47, v41, v29
	;;#ASMEND
	s_waitcnt vmcnt(3)
	;;#ASMSTART
	v_dot2c_f32_f16 v62, v10, v22
	;;#ASMEND
	s_waitcnt vmcnt(2)
	;; [unrolled: 4-line block ×4, first 2 shown]
	;;#ASMSTART
	v_dot2c_f32_f16 v47, v10, v6
	;;#ASMEND
	;;#ASMSTART
	v_dot2c_f32_f16 v62, v11, v23
	;;#ASMEND
	;;#ASMSTART
	v_dot2c_f32_f16 v61, v11, v19
	;;#ASMEND
	;;#ASMSTART
	v_dot2c_f32_f16 v60, v11, v15
	;;#ASMEND
	s_nop 0
	;;#ASMSTART
	v_dot2c_f32_f16 v47, v11, v7
	;;#ASMEND
	;;#ASMSTART
	v_dot2c_f32_f16 v62, v12, v24
	;;#ASMEND
	;;#ASMSTART
	v_dot2c_f32_f16 v61, v12, v20
	;;#ASMEND
	;;#ASMSTART
	v_dot2c_f32_f16 v60, v12, v16
	;;#ASMEND
	s_nop 0
	;; [unrolled: 13-line block ×3, first 2 shown]
	;;#ASMSTART
	v_dot2c_f32_f16 v47, v13, v9
	;;#ASMEND
.LBB37_16:                              ;   in Loop: Header=BB37_17 Depth=2
	s_or_b64 exec, exec, s[8:9]
	s_addk_i32 s35, 0x400
	s_cmp_ge_u32 s35, s20
	s_cbranch_scc1 .LBB37_29
.LBB37_17:                              ;   Parent Loop BB37_12 Depth=1
                                        ; =>  This Loop Header: Depth=2
                                        ;       Child Loop BB37_22 Depth 3
	s_cmp_eq_u32 s35, 0
	s_cselect_b64 s[8:9], -1, 0
	s_add_i32 s28, s34, s39
	s_cmp_eq_u32 s35, s28
	s_cselect_b64 s[30:31], -1, 0
	s_or_b64 s[30:31], s[8:9], s[30:31]
	s_andn2_b64 vcc, exec, s[30:31]
	s_cbranch_vccz .LBB37_19
; %bb.18:                               ;   in Loop: Header=BB37_17 Depth=2
	s_and_saveexec_b64 s[8:9], s[6:7]
	s_cbranch_execz .LBB37_16
	s_branch .LBB37_26
.LBB37_19:                              ;   in Loop: Header=BB37_17 Depth=2
	s_and_b64 s[8:9], s[8:9], exec
	s_cselect_b32 s34, s34, s28
	s_and_b64 vcc, exec, s[4:5]
	s_barrier
	s_cbranch_vccnz .LBB37_25
; %bb.20:                               ;   in Loop: Header=BB37_17 Depth=2
	v_add_u32_e32 v6, s34, v59
	s_mov_b32 s36, 0
	s_mov_b64 s[28:29], 0
	v_mov_b32_e32 v7, v58
                                        ; implicit-def: $sgpr30_sgpr31
	s_branch .LBB37_22
.LBB37_21:                              ;   in Loop: Header=BB37_22 Depth=3
	s_or_b64 exec, exec, s[8:9]
	s_and_b64 s[8:9], exec, s[30:31]
	s_or_b64 s[28:29], s[8:9], s[28:29]
	s_andn2_b64 exec, exec, s[28:29]
	s_cbranch_execz .LBB37_24
.LBB37_22:                              ;   Parent Loop BB37_12 Depth=1
                                        ;     Parent Loop BB37_17 Depth=2
                                        ; =>    This Inner Loop Header: Depth=3
	v_add_u32_e32 v8, s36, v59
	v_add_u32_e32 v0, s36, v6
	v_cmp_gt_u32_e32 vcc, s22, v0
	v_cmp_gt_u32_e64 s[8:9], s39, v8
	s_and_b64 s[46:47], s[8:9], vcc
	s_or_b64 s[30:31], s[30:31], exec
	s_and_saveexec_b64 s[8:9], s[46:47]
	s_cbranch_execz .LBB37_21
; %bb.23:                               ;   in Loop: Header=BB37_22 Depth=3
	v_lshl_add_u64 v[8:9], v[0:1], 1, s[14:15]
	global_load_dwordx4 v[8:11], v[8:9], off
	s_add_i32 s36, s36, s40
	s_cmp_ge_u32 s36, s39
	s_cselect_b64 s[46:47], -1, 0
	s_andn2_b64 s[30:31], s[30:31], exec
	s_and_b64 s[46:47], s[46:47], exec
	s_or_b64 s[30:31], s[30:31], s[46:47]
	s_waitcnt vmcnt(0)
	ds_write_b128 v7, v[8:11]
	v_add_u32_e32 v7, s45, v7
	s_branch .LBB37_21
.LBB37_24:                              ;   in Loop: Header=BB37_17 Depth=2
	s_or_b64 exec, exec, s[28:29]
.LBB37_25:                              ;   in Loop: Header=BB37_17 Depth=2
	s_waitcnt lgkmcnt(0)
	s_barrier
	s_and_saveexec_b64 s[8:9], s[6:7]
	s_cbranch_execz .LBB37_16
.LBB37_26:                              ;   in Loop: Header=BB37_17 Depth=2
	v_add_u32_e32 v63, s35, v56
	v_min_u32_e32 v0, s41, v63
	v_lshl_add_u64 v[6:7], v[0:1], 1, s[12:13]
	v_lshl_add_u64 v[8:9], v[6:7], 0, v[48:49]
	v_add_u32_e32 v64, 0x200, v63
	v_lshl_add_u64 v[10:11], v[6:7], 0, v[50:51]
	global_load_dwordx4 v[42:45], v[8:9], off nt
	global_load_dwordx4 v[34:37], v[10:11], off nt
	v_lshl_add_u64 v[8:9], v[6:7], 0, v[52:53]
	v_lshl_add_u64 v[6:7], v[6:7], 0, v[54:55]
	v_min_u32_e32 v0, s41, v64
	global_load_dwordx4 v[30:33], v[8:9], off nt
	global_load_dwordx4 v[26:29], v[6:7], off nt
	v_lshl_add_u64 v[6:7], v[0:1], 1, s[12:13]
	v_lshl_add_u64 v[8:9], v[6:7], 0, v[48:49]
	;; [unrolled: 1-line block ×3, first 2 shown]
	global_load_dwordx4 v[22:25], v[8:9], off nt
	global_load_dwordx4 v[18:21], v[10:11], off nt
	v_lshl_add_u64 v[10:11], v[6:7], 0, v[52:53]
	v_lshl_add_u64 v[12:13], v[6:7], 0, v[54:55]
	global_load_dwordx4 v[14:17], v[10:11], off nt
	global_load_dwordx4 v[6:9], v[12:13], off nt
	v_cmp_gt_u32_e32 vcc, s20, v63
	v_mov_b32_e32 v40, 0
	v_mov_b32_e32 v41, 0
	v_mov_b32_e32 v38, 0
	v_mov_b32_e32 v39, 0
	v_mov_b32_e32 v10, 0
	v_mov_b32_e32 v11, 0
	v_mov_b32_e32 v12, 0
	v_mov_b32_e32 v13, 0
	s_and_saveexec_b64 s[28:29], vcc
	s_cbranch_execz .LBB37_15
; %bb.27:                               ;   in Loop: Header=BB37_17 Depth=2
	v_subrev_u32_e32 v0, s34, v63
	v_lshlrev_b32_e32 v0, 1, v0
	ds_read_b128 v[38:41], v0
	v_cmp_gt_u32_e32 vcc, s20, v64
	v_mov_b32_e32 v13, 0
	v_mov_b32_e32 v12, 0
	v_mov_b32_e32 v11, 0
	v_mov_b32_e32 v10, 0
	s_and_saveexec_b64 s[30:31], vcc
	s_cbranch_execz .LBB37_14
; %bb.28:                               ;   in Loop: Header=BB37_17 Depth=2
	ds_read_b128 v[10:13], v0 offset:1024
	s_branch .LBB37_14
.LBB37_29:                              ;   in Loop: Header=BB37_12 Depth=1
	v_cmp_le_u32_e32 vcc, s23, v46
	s_and_saveexec_b64 s[6:7], vcc
	s_xor_b64 s[6:7], exec, s[6:7]
; %bb.30:                               ;   in Loop: Header=BB37_12 Depth=1
	v_add_u32_e32 v46, s43, v46
                                        ; implicit-def: $vgpr62
                                        ; implicit-def: $vgpr61
                                        ; implicit-def: $vgpr60
                                        ; implicit-def: $vgpr47
; %bb.31:                               ;   in Loop: Header=BB37_12 Depth=1
	s_andn2_saveexec_b64 s[8:9], s[6:7]
	s_cbranch_execz .LBB37_11
; %bb.32:                               ;   in Loop: Header=BB37_12 Depth=1
	v_cvt_i32_f32_e32 v0, v62
	v_cvt_i32_f32_e32 v6, v61
	;; [unrolled: 1-line block ×4, first 2 shown]
	v_cvt_f32_i32_dpp v0, v0 row_shr:8 row_mask:0xf bank_mask:0xf bound_ctrl:1
	v_cvt_f32_i32_dpp v6, v6 row_shr:8 row_mask:0xf bank_mask:0xf bound_ctrl:1
	;; [unrolled: 1-line block ×4, first 2 shown]
	v_add_f32_e32 v0, v62, v0
	v_cvt_i32_f32_e32 v9, v0
	v_add_f32_e32 v6, v61, v6
	v_cvt_i32_f32_e32 v10, v6
	v_add_f32_e32 v7, v60, v7
	v_cvt_f32_i32_dpp v9, v9 row_shr:4 row_mask:0xf bank_mask:0xf bound_ctrl:1
	v_add_f32_e32 v8, v47, v8
	v_cvt_f32_i32_dpp v10, v10 row_shr:4 row_mask:0xf bank_mask:0xf bound_ctrl:1
	v_cvt_i32_f32_e32 v11, v7
	v_add_f32_e32 v0, v0, v9
	v_cvt_i32_f32_e32 v9, v0
	v_cvt_i32_f32_e32 v12, v8
	v_add_f32_e32 v6, v6, v10
	v_cvt_i32_f32_e32 v10, v6
	v_cvt_f32_i32_dpp v9, v9 row_shr:2 row_mask:0xf bank_mask:0xf bound_ctrl:1
	v_cvt_f32_i32_dpp v11, v11 row_shr:4 row_mask:0xf bank_mask:0xf bound_ctrl:1
	;; [unrolled: 1-line block ×4, first 2 shown]
	v_add_f32_e32 v0, v0, v9
	v_cvt_i32_f32_e32 v9, v0
	v_add_f32_e32 v7, v7, v11
	v_add_f32_e32 v8, v8, v12
	v_cvt_i32_f32_e32 v11, v7
	v_cvt_f32_i32_dpp v9, v9 row_shr:1 row_mask:0xf bank_mask:0xf bound_ctrl:1
	v_add_f32_e32 v6, v6, v10
	v_cvt_i32_f32_e32 v12, v8
	v_cvt_i32_f32_e32 v10, v6
	v_add_f32_e32 v0, v0, v9
	v_cvt_f32_i32_dpp v11, v11 row_shr:2 row_mask:0xf bank_mask:0xf bound_ctrl:1
	v_cvt_f32_i32_dpp v12, v12 row_shr:2 row_mask:0xf bank_mask:0xf bound_ctrl:1
	v_cvt_i32_f32_e32 v9, v0
	v_cvt_f32_i32_dpp v10, v10 row_shr:1 row_mask:0xf bank_mask:0xf bound_ctrl:1
	v_add_f32_e32 v7, v7, v11
	v_add_f32_e32 v8, v8, v12
	v_cvt_f32_i32_dpp v9, v9 row_bcast:15 row_mask:0xf bank_mask:0xf bound_ctrl:1
	v_add_f32_e32 v6, v6, v10
	v_cvt_i32_f32_e32 v10, v7
	v_cvt_i32_f32_e32 v11, v8
	v_add_f32_e32 v13, v0, v9
	v_cvt_i32_f32_e32 v12, v6
	v_cvt_f32_i32_dpp v10, v10 row_shr:1 row_mask:0xf bank_mask:0xf bound_ctrl:1
	v_cvt_f32_i32_dpp v0, v11 row_shr:1 row_mask:0xf bank_mask:0xf bound_ctrl:1
	v_cvt_i32_f32_e32 v11, v13
	v_cvt_f32_i32_dpp v9, v12 row_bcast:15 row_mask:0xf bank_mask:0xf bound_ctrl:1
	v_add_f32_e32 v7, v7, v10
	v_add_f32_e32 v0, v8, v0
	v_cvt_i32_f32_e32 v10, v7
	v_cvt_i32_f32_e32 v8, v0
	v_add_f32_e32 v12, v6, v9
	v_mov_b32_dpp v15, v11 row_bcast:31 row_mask:0xf bank_mask:0xf bound_ctrl:1
	v_cvt_f32_i32_dpp v10, v10 row_bcast:15 row_mask:0xf bank_mask:0xf bound_ctrl:1
	v_cvt_f32_i32_dpp v6, v8 row_bcast:15 row_mask:0xf bank_mask:0xf bound_ctrl:1
	v_cvt_i32_f32_e32 v8, v12
	v_add_f32_e32 v9, v7, v10
	v_add_f32_e32 v7, v0, v6
	v_cvt_i32_f32_e32 v10, v9
	v_cvt_i32_f32_e32 v0, v7
	v_mov_b32_dpp v14, v8 row_bcast:31 row_mask:0xf bank_mask:0xf bound_ctrl:1
	v_mov_b32_dpp v11, v10 row_bcast:31 row_mask:0xf bank_mask:0xf bound_ctrl:1
	;; [unrolled: 1-line block ×3, first 2 shown]
	s_and_saveexec_b64 s[6:7], s[0:1]
	s_cbranch_execz .LBB37_40
; %bb.33:                               ;   in Loop: Header=BB37_12 Depth=1
	s_andn2_b64 vcc, exec, s[24:25]
	v_mov_b32_e32 v0, 0
	v_add_u32_e32 v8, 2, v46
	v_add_u32_e32 v6, 3, v46
	v_mov_b32_e32 v16, 0
	v_mov_b32_e32 v17, 0
	v_mov_b32_e32 v18, 0
	s_cbranch_vccnz .LBB37_35
; %bb.34:                               ;   in Loop: Header=BB37_12 Depth=1
	v_mul_hi_u32 v0, v46, v57
	v_mul_lo_u32 v0, v0, s38
	v_sub_u32_e32 v0, v46, v0
	v_subrev_u32_e32 v16, s38, v0
	v_cmp_le_u32_e32 vcc, s38, v0
	s_nop 1
	v_cndmask_b32_e32 v0, v0, v16, vcc
	v_subrev_u32_e32 v16, s38, v0
	v_cmp_le_u32_e32 vcc, s38, v0
	s_nop 1
	v_cndmask_b32_e32 v0, v0, v16, vcc
	v_lshl_add_u64 v[20:21], v[0:1], 1, s[16:17]
	v_add_u32_e32 v0, 1, v46
	v_mul_hi_u32 v16, v0, v57
	v_mul_lo_u32 v16, v16, s38
	v_sub_u32_e32 v0, v0, v16
	v_subrev_u32_e32 v16, s38, v0
	v_cmp_le_u32_e32 vcc, s38, v0
	s_nop 1
	v_cndmask_b32_e32 v0, v0, v16, vcc
	v_subrev_u32_e32 v16, s38, v0
	v_cmp_le_u32_e32 vcc, s38, v0
	s_nop 1
	v_cndmask_b32_e32 v0, v0, v16, vcc
	v_lshl_add_u64 v[22:23], v[0:1], 1, s[16:17]
	v_mul_hi_u32 v0, v8, v57
	v_mul_lo_u32 v0, v0, s38
	v_sub_u32_e32 v0, v8, v0
	v_subrev_u32_e32 v16, s38, v0
	v_cmp_le_u32_e32 vcc, s38, v0
	s_nop 1
	v_cndmask_b32_e32 v0, v0, v16, vcc
	v_subrev_u32_e32 v16, s38, v0
	v_cmp_le_u32_e32 vcc, s38, v0
	s_nop 1
	v_cndmask_b32_e32 v0, v0, v16, vcc
	v_lshl_add_u64 v[24:25], v[0:1], 1, s[16:17]
	;; [unrolled: 12-line block ×3, first 2 shown]
	global_load_ushort v18, v[20:21], off
	global_load_ushort v17, v[22:23], off
	;; [unrolled: 1-line block ×4, first 2 shown]
.LBB37_35:                              ;   in Loop: Header=BB37_12 Depth=1
	v_cmp_ne_u32_e32 vcc, 0, v2
	s_and_saveexec_b64 s[28:29], vcc
	s_cbranch_execnz .LBB37_45
; %bb.36:                               ;   in Loop: Header=BB37_12 Depth=1
	s_or_b64 exec, exec, s[28:29]
	v_cmp_ne_u32_e32 vcc, 0, v3
	s_and_saveexec_b64 s[28:29], vcc
	s_cbranch_execnz .LBB37_46
.LBB37_37:                              ;   in Loop: Header=BB37_12 Depth=1
	s_or_b64 exec, exec, s[28:29]
	v_cmp_ne_u32_e32 vcc, 0, v4
	s_and_saveexec_b64 s[28:29], vcc
	s_cbranch_execnz .LBB37_47
.LBB37_38:                              ;   in Loop: Header=BB37_12 Depth=1
	s_or_b64 exec, exec, s[28:29]
	v_cmp_ne_u32_e32 vcc, 0, v5
	s_and_b64 exec, exec, vcc
	s_cbranch_execz .LBB37_40
.LBB37_39:                              ;   in Loop: Header=BB37_12 Depth=1
	v_cvt_f32_i32_e32 v8, v10
	s_waitcnt vmcnt(0)
	v_cvt_f32_f16_e32 v0, v0
	v_add_f32_e32 v7, v7, v8
	v_add_f32_e32 v0, v7, v0
	v_cvt_f16_f32_e32 v0, v0
	v_mov_b32_e32 v7, v1
	v_lshl_add_u64 v[6:7], v[6:7], 1, s[18:19]
	global_store_short v[6:7], v0, off
.LBB37_40:                              ;   in Loop: Header=BB37_12 Depth=1
	s_or_b64 exec, exec, s[6:7]
	v_add_u32_e32 v46, s43, v46
	s_waitcnt vmcnt(0)
	v_add_u32_e32 v0, 4, v46
	v_cmp_gt_u32_e32 vcc, s23, v46
	v_cmp_le_u32_e64 s[6:7], s23, v0
	s_and_b64 s[6:7], vcc, s[6:7]
	s_and_saveexec_b64 s[28:29], s[6:7]
	s_cbranch_execz .LBB37_10
; %bb.41:                               ;   in Loop: Header=BB37_12 Depth=1
	v_cmp_ne_u32_e32 vcc, s44, v46
	s_and_saveexec_b64 s[30:31], vcc
	s_cbranch_execz .LBB37_9
; %bb.42:                               ;   in Loop: Header=BB37_12 Depth=1
	v_subrev_u32_e32 v0, s44, v46
	v_cmp_lt_u32_e32 vcc, 1, v0
	s_mov_b64 s[34:35], 0
	s_mov_b64 s[36:37], 0
	v_cndmask_b32_e32 v0, 1, v0, vcc
.LBB37_43:                              ;   Parent Loop BB37_12 Depth=1
                                        ; =>  This Inner Loop Header: Depth=2
	s_cmp_lg_u32 s36, 3
	s_cselect_b64 vcc, -1, 0
	s_cmp_lg_u32 s36, 2
	v_cndmask_b32_e32 v5, 0, v5, vcc
	s_cselect_b64 vcc, -1, 0
	s_cmp_lg_u32 s36, 1
	v_cndmask_b32_e32 v4, 0, v4, vcc
	;; [unrolled: 3-line block ×3, first 2 shown]
	s_cselect_b64 vcc, -1, 0
	s_add_u32 s36, s36, 1
	s_addc_u32 s37, s37, 0
	v_cmp_eq_u32_e64 s[6:7], s36, v0
	s_or_b64 s[34:35], s[6:7], s[34:35]
	v_cndmask_b32_e32 v2, 0, v2, vcc
	s_andn2_b64 exec, exec, s[34:35]
	s_cbranch_execnz .LBB37_43
; %bb.44:                               ;   in Loop: Header=BB37_12 Depth=1
	s_or_b64 exec, exec, s[34:35]
	s_branch .LBB37_9
.LBB37_45:                              ;   in Loop: Header=BB37_12 Depth=1
	v_cvt_f32_i32_e32 v15, v15
	s_waitcnt vmcnt(3)
	v_cvt_f32_f16_e32 v18, v18
	v_mov_b32_e32 v47, v1
	v_add_f32_e32 v13, v13, v15
	v_add_f32_e32 v13, v13, v18
	v_cvt_f16_f32_e32 v13, v13
	v_lshl_add_u64 v[18:19], v[46:47], 1, s[18:19]
	global_store_short v[18:19], v13, off
	s_or_b64 exec, exec, s[28:29]
	v_cmp_ne_u32_e32 vcc, 0, v3
	s_and_saveexec_b64 s[28:29], vcc
	s_cbranch_execz .LBB37_37
.LBB37_46:                              ;   in Loop: Header=BB37_12 Depth=1
	v_cvt_f32_i32_e32 v13, v14
	s_waitcnt vmcnt(2)
	v_cvt_f32_f16_e32 v14, v17
	v_mov_b32_e32 v47, v1
	v_add_f32_e32 v12, v12, v13
	v_add_f32_e32 v12, v12, v14
	v_cvt_f16_f32_e32 v14, v12
	v_lshl_add_u64 v[12:13], v[46:47], 1, s[26:27]
	global_store_short v[12:13], v14, off
	s_or_b64 exec, exec, s[28:29]
	v_cmp_ne_u32_e32 vcc, 0, v4
	s_and_saveexec_b64 s[28:29], vcc
	s_cbranch_execz .LBB37_38
.LBB37_47:                              ;   in Loop: Header=BB37_12 Depth=1
	v_cvt_f32_i32_e32 v11, v11
	s_waitcnt vmcnt(1)
	v_cvt_f32_f16_e32 v12, v16
	v_add_f32_e32 v9, v9, v11
	v_add_f32_e32 v9, v9, v12
	v_cvt_f16_f32_e32 v11, v9
	v_mov_b32_e32 v9, v1
	v_lshl_add_u64 v[8:9], v[8:9], 1, s[18:19]
	global_store_short v[8:9], v11, off
	s_or_b64 exec, exec, s[28:29]
	v_cmp_ne_u32_e32 vcc, 0, v5
	s_and_b64 exec, exec, vcc
	s_cbranch_execnz .LBB37_39
	s_branch .LBB37_40
.LBB37_48:
	s_endpgm
	.section	.rodata,"a",@progbits
	.p2align	6, 0x0
	.amdhsa_kernel _Z16wvSplitK_hf_big_I6__halfLi64ELi4ELi16ELi8ELi2ELi1EEviiiiiiPKT_S3_S3_PS1_ii
		.amdhsa_group_segment_fixed_size 65536
		.amdhsa_private_segment_fixed_size 0
		.amdhsa_kernarg_size 64
		.amdhsa_user_sgpr_count 2
		.amdhsa_user_sgpr_dispatch_ptr 0
		.amdhsa_user_sgpr_queue_ptr 0
		.amdhsa_user_sgpr_kernarg_segment_ptr 1
		.amdhsa_user_sgpr_dispatch_id 0
		.amdhsa_user_sgpr_kernarg_preload_length 0
		.amdhsa_user_sgpr_kernarg_preload_offset 0
		.amdhsa_user_sgpr_private_segment_size 0
		.amdhsa_uses_dynamic_stack 0
		.amdhsa_enable_private_segment 0
		.amdhsa_system_sgpr_workgroup_id_x 1
		.amdhsa_system_sgpr_workgroup_id_y 0
		.amdhsa_system_sgpr_workgroup_id_z 0
		.amdhsa_system_sgpr_workgroup_info 0
		.amdhsa_system_vgpr_workitem_id 1
		.amdhsa_next_free_vgpr 65
		.amdhsa_next_free_sgpr 48
		.amdhsa_accum_offset 68
		.amdhsa_reserve_vcc 1
		.amdhsa_float_round_mode_32 0
		.amdhsa_float_round_mode_16_64 0
		.amdhsa_float_denorm_mode_32 3
		.amdhsa_float_denorm_mode_16_64 3
		.amdhsa_dx10_clamp 1
		.amdhsa_ieee_mode 1
		.amdhsa_fp16_overflow 0
		.amdhsa_tg_split 0
		.amdhsa_exception_fp_ieee_invalid_op 0
		.amdhsa_exception_fp_denorm_src 0
		.amdhsa_exception_fp_ieee_div_zero 0
		.amdhsa_exception_fp_ieee_overflow 0
		.amdhsa_exception_fp_ieee_underflow 0
		.amdhsa_exception_fp_ieee_inexact 0
		.amdhsa_exception_int_div_zero 0
	.end_amdhsa_kernel
	.section	.text._Z16wvSplitK_hf_big_I6__halfLi64ELi4ELi16ELi8ELi2ELi1EEviiiiiiPKT_S3_S3_PS1_ii,"axG",@progbits,_Z16wvSplitK_hf_big_I6__halfLi64ELi4ELi16ELi8ELi2ELi1EEviiiiiiPKT_S3_S3_PS1_ii,comdat
.Lfunc_end37:
	.size	_Z16wvSplitK_hf_big_I6__halfLi64ELi4ELi16ELi8ELi2ELi1EEviiiiiiPKT_S3_S3_PS1_ii, .Lfunc_end37-_Z16wvSplitK_hf_big_I6__halfLi64ELi4ELi16ELi8ELi2ELi1EEviiiiiiPKT_S3_S3_PS1_ii
                                        ; -- End function
	.section	.AMDGPU.csdata,"",@progbits
; Kernel info:
; codeLenInByte = 2768
; NumSgprs: 54
; NumVgprs: 65
; NumAgprs: 0
; TotalNumVgprs: 65
; ScratchSize: 0
; MemoryBound: 0
; FloatMode: 240
; IeeeMode: 1
; LDSByteSize: 65536 bytes/workgroup (compile time only)
; SGPRBlocks: 6
; VGPRBlocks: 8
; NumSGPRsForWavesPerEU: 54
; NumVGPRsForWavesPerEU: 65
; AccumOffset: 68
; Occupancy: 4
; WaveLimiterHint : 0
; COMPUTE_PGM_RSRC2:SCRATCH_EN: 0
; COMPUTE_PGM_RSRC2:USER_SGPR: 2
; COMPUTE_PGM_RSRC2:TRAP_HANDLER: 0
; COMPUTE_PGM_RSRC2:TGID_X_EN: 1
; COMPUTE_PGM_RSRC2:TGID_Y_EN: 0
; COMPUTE_PGM_RSRC2:TGID_Z_EN: 0
; COMPUTE_PGM_RSRC2:TIDIG_COMP_CNT: 1
; COMPUTE_PGM_RSRC3_GFX90A:ACCUM_OFFSET: 16
; COMPUTE_PGM_RSRC3_GFX90A:TG_SPLIT: 0
	.section	.text._Z16wvSplitK_hf_sml_I6__halfLi32ELi1ELi16ELi8ELi4ELi2EEviiiiiiPKT_S3_S3_PS1_ii,"axG",@progbits,_Z16wvSplitK_hf_sml_I6__halfLi32ELi1ELi16ELi8ELi4ELi2EEviiiiiiPKT_S3_S3_PS1_ii,comdat
	.protected	_Z16wvSplitK_hf_sml_I6__halfLi32ELi1ELi16ELi8ELi4ELi2EEviiiiiiPKT_S3_S3_PS1_ii ; -- Begin function _Z16wvSplitK_hf_sml_I6__halfLi32ELi1ELi16ELi8ELi4ELi2EEviiiiiiPKT_S3_S3_PS1_ii
	.globl	_Z16wvSplitK_hf_sml_I6__halfLi32ELi1ELi16ELi8ELi4ELi2EEviiiiiiPKT_S3_S3_PS1_ii
	.p2align	8
	.type	_Z16wvSplitK_hf_sml_I6__halfLi32ELi1ELi16ELi8ELi4ELi2EEviiiiiiPKT_S3_S3_PS1_ii,@function
_Z16wvSplitK_hf_sml_I6__halfLi32ELi1ELi16ELi8ELi4ELi2EEviiiiiiPKT_S3_S3_PS1_ii: ; @_Z16wvSplitK_hf_sml_I6__halfLi32ELi1ELi16ELi8ELi4ELi2EEviiiiiiPKT_S3_S3_PS1_ii
; %bb.0:
	s_load_dwordx4 s[4:7], s[0:1], 0x0
	v_and_b32_e32 v4, 0x3ff, v0
	v_bfe_u32 v5, v0, 10, 10
	v_lshlrev_b32_e32 v54, 3, v4
	v_lshl_add_u32 v6, v5, 8, v54
	s_waitcnt lgkmcnt(0)
	s_lshl_b32 s6, s6, 1
	s_min_u32 s3, s6, 0x8000
	v_cmp_gt_u32_e32 vcc, s3, v6
	s_and_saveexec_b64 s[8:9], vcc
	s_cbranch_execz .LBB38_9
; %bb.1:
	s_load_dwordx2 s[10:11], s[0:1], 0x20
	v_lshlrev_b32_e32 v0, 1, v6
	v_add_u32_e32 v1, 0x1000, v6
	v_cmp_gt_u32_e32 vcc, s3, v1
	s_waitcnt lgkmcnt(0)
	global_load_dwordx4 v[8:11], v0, s[10:11]
	s_waitcnt vmcnt(0)
	ds_write_b128 v0, v[8:11]
	s_and_saveexec_b64 s[12:13], vcc
	s_xor_b64 s[12:13], exec, s[12:13]
	s_cbranch_execz .LBB38_9
; %bb.2:
	v_mov_b32_e32 v1, 0
	v_lshl_add_u64 v[2:3], s[10:11], 0, v[0:1]
	v_add_co_u32_e32 v8, vcc, 0x2000, v2
	v_add_u32_e32 v1, 0x2000, v6
	s_nop 0
	v_addc_co_u32_e32 v9, vcc, 0, v3, vcc
	global_load_dwordx4 v[8:11], v[8:9], off
	v_cmp_gt_u32_e32 vcc, s3, v1
	s_waitcnt vmcnt(0)
	ds_write_b128 v0, v[8:11] offset:8192
	s_and_saveexec_b64 s[10:11], vcc
	s_xor_b64 s[10:11], exec, s[10:11]
	s_cbranch_execz .LBB38_9
; %bb.3:
	v_add_co_u32_e32 v8, vcc, 0x4000, v2
	v_add_u32_e32 v1, 0x3000, v6
	s_nop 0
	v_addc_co_u32_e32 v9, vcc, 0, v3, vcc
	global_load_dwordx4 v[8:11], v[8:9], off
	v_cmp_gt_u32_e32 vcc, s3, v1
	s_waitcnt vmcnt(0)
	ds_write_b128 v0, v[8:11] offset:16384
	s_and_saveexec_b64 s[10:11], vcc
	s_xor_b64 s[10:11], exec, s[10:11]
	s_cbranch_execz .LBB38_9
; %bb.4:
	v_add_co_u32_e32 v8, vcc, 0x6000, v2
	v_add_u32_e32 v1, 0x4000, v6
	s_nop 0
	v_addc_co_u32_e32 v9, vcc, 0, v3, vcc
	global_load_dwordx4 v[8:11], v[8:9], off
	v_cmp_gt_u32_e32 vcc, s3, v1
	s_waitcnt vmcnt(0)
	ds_write_b128 v0, v[8:11] offset:24576
	s_and_saveexec_b64 s[10:11], vcc
	s_xor_b64 s[10:11], exec, s[10:11]
	s_cbranch_execz .LBB38_9
; %bb.5:
	v_add_co_u32_e32 v8, vcc, 0x8000, v2
	v_add_u32_e32 v1, 0x5000, v6
	s_nop 0
	v_addc_co_u32_e32 v9, vcc, 0, v3, vcc
	global_load_dwordx4 v[8:11], v[8:9], off
	v_cmp_gt_u32_e32 vcc, s3, v1
	s_waitcnt vmcnt(0)
	ds_write_b128 v0, v[8:11] offset:32768
	s_and_saveexec_b64 s[10:11], vcc
	s_xor_b64 s[10:11], exec, s[10:11]
	s_cbranch_execz .LBB38_9
; %bb.6:
	v_add_co_u32_e32 v8, vcc, 0xa000, v2
	v_add_u32_e32 v1, 0x6000, v6
	s_nop 0
	v_addc_co_u32_e32 v9, vcc, 0, v3, vcc
	global_load_dwordx4 v[8:11], v[8:9], off
	v_cmp_gt_u32_e32 vcc, s3, v1
	s_waitcnt vmcnt(0)
	ds_write_b128 v0, v[8:11] offset:40960
	s_and_saveexec_b64 s[10:11], vcc
	s_xor_b64 s[10:11], exec, s[10:11]
	s_cbranch_execz .LBB38_9
; %bb.7:
	v_add_co_u32_e32 v8, vcc, 0xc000, v2
	v_add_u32_e32 v1, 0x7000, v6
	s_nop 0
	v_addc_co_u32_e32 v9, vcc, 0, v3, vcc
	global_load_dwordx4 v[8:11], v[8:9], off
	v_cmp_gt_u32_e32 vcc, s3, v1
	s_waitcnt vmcnt(0)
	ds_write_b128 v0, v[8:11] offset:49152
	s_and_saveexec_b64 s[10:11], vcc
	s_xor_b64 s[10:11], exec, s[10:11]
	s_cbranch_execz .LBB38_9
; %bb.8:
	v_add_co_u32_e32 v2, vcc, 0xe000, v2
	s_nop 1
	v_addc_co_u32_e32 v3, vcc, 0, v3, vcc
	global_load_dwordx4 v[6:9], v[2:3], off
	s_waitcnt vmcnt(0)
	ds_write_b128 v0, v[6:9] offset:57344
.LBB38_9:
	s_or_b64 exec, exec, s[8:9]
	s_load_dwordx2 s[20:21], s[0:1], 0x38
	s_waitcnt lgkmcnt(0)
	s_barrier
	v_cmp_gt_u32_e32 vcc, s20, v5
	s_and_saveexec_b64 s[8:9], vcc
	s_cbranch_execz .LBB38_30
; %bb.10:
	s_load_dwordx2 s[12:13], s[0:1], 0x10
	s_mul_i32 s2, s2, s20
	v_add_u32_e32 v48, s2, v5
	v_cmp_gt_u32_e32 vcc, s7, v48
	s_and_b64 exec, exec, vcc
	s_cbranch_execz .LBB38_30
; %bb.11:
	s_waitcnt lgkmcnt(0)
	v_cvt_f32_u32_e32 v0, s12
	s_load_dwordx4 s[8:11], s[0:1], 0x28
	s_load_dwordx2 s[14:15], s[0:1], 0x18
	s_cmp_lg_u32 s4, 0
	s_cselect_b64 s[2:3], -1, 0
	v_rcp_iflag_f32_e32 v0, v0
	s_add_i32 s28, s4, -8
	s_add_i32 s29, s7, -1
	s_waitcnt lgkmcnt(0)
	s_cmp_lg_u64 s[8:9], 0
	v_mul_f32_e32 v0, 0x4f7ffffe, v0
	v_cvt_u32_f32_e32 v0, v0
	s_cselect_b64 s[18:19], -1, 0
	s_mul_i32 s30, s21, s20
	s_sub_i32 s20, 0, s12
	s_abs_i32 s13, s13
	v_mul_lo_u32 v1, s20, v0
	s_sub_i32 s20, 1, s13
	s_cmp_lt_u32 s13, 2
	s_cselect_b32 s20, s20, 1
	s_sub_i32 s21, s20, s13
	v_mul_hi_u32 v1, v0, v1
	s_cmp_ge_u32 s20, s13
	v_add_u32_e32 v55, v0, v1
	s_cselect_b32 s13, s21, s20
	v_cndmask_b32_e64 v0, 0, 1, s[2:3]
	v_cmp_eq_u32_e64 s[0:1], 31, v4
	s_mov_b64 s[16:17], 0
	v_mov_b32_e32 v51, 0
	s_mul_i32 s13, s13, s12
	v_lshlrev_b32_e32 v56, 4, v4
	v_cmp_ne_u32_e64 s[2:3], 1, v0
	s_branch .LBB38_14
.LBB38_12:                              ;   in Loop: Header=BB38_14 Depth=1
	v_cvt_f32_i32_e32 v3, v3
	v_cvt_f32_i32_e32 v2, v2
	s_waitcnt vmcnt(1)
	v_cvt_f32_f16_e32 v5, v5
	v_add_u32_e32 v50, s7, v48
	v_add_f32_e32 v0, v0, v3
	s_waitcnt vmcnt(0)
	v_cvt_f32_f16_e32 v3, v4
	v_add_f32_e32 v2, v1, v2
	v_add_f32_e32 v0, v0, v5
	v_cvt_f16_f32_e32 v4, v0
	v_add_f32_e32 v2, v2, v3
	v_cvt_f16_f32_e32 v2, v2
	v_lshl_add_u64 v[0:1], v[48:49], 1, s[10:11]
	global_store_short v[0:1], v4, off
	v_lshl_add_u64 v[0:1], v[50:51], 1, s[10:11]
	global_store_short v[0:1], v2, off
.LBB38_13:                              ;   in Loop: Header=BB38_14 Depth=1
	s_or_b64 exec, exec, s[20:21]
	v_add_u32_e32 v48, s30, v48
	v_cmp_le_u32_e32 vcc, s7, v48
	s_or_b64 s[16:17], vcc, s[16:17]
	s_andn2_b64 exec, exec, s[16:17]
	s_cbranch_execz .LBB38_30
.LBB38_14:                              ; =>This Loop Header: Depth=1
                                        ;     Child Loop BB38_20 Depth 2
	s_mov_b32 s31, 0
	s_and_b64 vcc, exec, s[2:3]
	v_mov_b32_e32 v57, v51
	v_mov_b32_e32 v49, v51
	s_cbranch_vccnz .LBB38_25
; %bb.15:                               ;   in Loop: Header=BB38_14 Depth=1
	v_min_u32_e32 v0, s29, v48
	v_mul_lo_u32 v50, v0, s5
	v_lshl_add_u64 v[52:53], v[50:51], 1, s[14:15]
	v_mov_b32_e32 v49, 0
	v_mov_b32_e32 v58, v56
	;; [unrolled: 1-line block ×3, first 2 shown]
	s_branch .LBB38_20
.LBB38_16:                              ;   in Loop: Header=BB38_20 Depth=2
	s_or_b64 exec, exec, s[26:27]
.LBB38_17:                              ;   in Loop: Header=BB38_20 Depth=2
	s_or_b64 exec, exec, s[24:25]
.LBB38_18:                              ;   in Loop: Header=BB38_20 Depth=2
	s_or_b64 exec, exec, s[22:23]
.LBB38_19:                              ;   in Loop: Header=BB38_20 Depth=2
	s_or_b64 exec, exec, s[20:21]
	s_waitcnt vmcnt(3) lgkmcnt(1)
	;;#ASMSTART
	v_dot2c_f32_f16 v49, v36, v16
	;;#ASMEND
	s_waitcnt lgkmcnt(0)
	;;#ASMSTART
	v_dot2c_f32_f16 v57, v28, v16
	;;#ASMEND
	s_addk_i32 s31, 0x400
	;;#ASMSTART
	v_dot2c_f32_f16 v49, v37, v17
	;;#ASMEND
	;;#ASMSTART
	v_dot2c_f32_f16 v57, v29, v17
	;;#ASMEND
	s_cmp_ge_u32 s31, s4
	;;#ASMSTART
	v_dot2c_f32_f16 v49, v38, v18
	;;#ASMEND
	;;#ASMSTART
	v_dot2c_f32_f16 v57, v30, v18
	;;#ASMEND
	v_add_u32_e32 v58, 0x800, v58
	;;#ASMSTART
	v_dot2c_f32_f16 v49, v39, v19
	;;#ASMEND
	;;#ASMSTART
	v_dot2c_f32_f16 v57, v31, v19
	;;#ASMEND
	s_waitcnt vmcnt(2)
	;;#ASMSTART
	v_dot2c_f32_f16 v49, v44, v8
	;;#ASMEND
	;;#ASMSTART
	v_dot2c_f32_f16 v57, v32, v8
	;;#ASMEND
	s_nop 0
	;;#ASMSTART
	v_dot2c_f32_f16 v49, v45, v9
	;;#ASMEND
	;;#ASMSTART
	v_dot2c_f32_f16 v57, v33, v9
	;;#ASMEND
	s_nop 0
	;;#ASMSTART
	v_dot2c_f32_f16 v49, v46, v10
	;;#ASMEND
	;;#ASMSTART
	v_dot2c_f32_f16 v57, v34, v10
	;;#ASMEND
	s_nop 0
	;;#ASMSTART
	v_dot2c_f32_f16 v49, v47, v11
	;;#ASMEND
	;;#ASMSTART
	v_dot2c_f32_f16 v57, v35, v11
	;;#ASMEND
	s_waitcnt vmcnt(1)
	;;#ASMSTART
	v_dot2c_f32_f16 v49, v40, v4
	;;#ASMEND
	;;#ASMSTART
	v_dot2c_f32_f16 v57, v24, v4
	;;#ASMEND
	s_nop 0
	;;#ASMSTART
	v_dot2c_f32_f16 v49, v41, v5
	;;#ASMEND
	;;#ASMSTART
	v_dot2c_f32_f16 v57, v25, v5
	;;#ASMEND
	s_nop 0
	;;#ASMSTART
	v_dot2c_f32_f16 v49, v42, v6
	;;#ASMEND
	;;#ASMSTART
	v_dot2c_f32_f16 v57, v26, v6
	;;#ASMEND
	s_nop 0
	;; [unrolled: 28-line block ×3, first 2 shown]
	;;#ASMSTART
	v_dot2c_f32_f16 v49, v23, v3
	;;#ASMEND
	;;#ASMSTART
	v_dot2c_f32_f16 v57, v15, v3
	;;#ASMEND
	s_cbranch_scc1 .LBB38_25
.LBB38_20:                              ;   Parent Loop BB38_14 Depth=1
                                        ; =>  This Inner Loop Header: Depth=2
	v_add_u32_e32 v20, s31, v54
	v_min_u32_e32 v50, s28, v20
	v_add_u32_e32 v61, 0x100, v20
	v_lshl_add_u64 v[0:1], v[50:51], 1, v[52:53]
	v_min_u32_e32 v50, s28, v61
	v_add_u32_e32 v60, 0x200, v20
	v_lshl_add_u64 v[2:3], v[50:51], 1, v[52:53]
	;; [unrolled: 3-line block ×3, first 2 shown]
	v_min_u32_e32 v50, s28, v59
	global_load_dwordx4 v[16:19], v[0:1], off nt
	global_load_dwordx4 v[8:11], v[2:3], off nt
	v_lshl_add_u64 v[14:15], v[50:51], 1, v[52:53]
	global_load_dwordx4 v[4:7], v[12:13], off nt
	global_load_dwordx4 v[0:3], v[14:15], off nt
	v_cmp_gt_u32_e32 vcc, s4, v20
	v_mov_b32_e32 v38, 0
	v_mov_b32_e32 v39, 0
	v_mov_b32_e32 v28, 0
	v_mov_b32_e32 v29, 0
	v_mov_b32_e32 v30, 0
	v_mov_b32_e32 v31, 0
	v_mov_b32_e32 v36, 0
	v_mov_b32_e32 v37, 0
	v_mov_b32_e32 v44, 0
	v_mov_b32_e32 v45, 0
	v_mov_b32_e32 v46, 0
	v_mov_b32_e32 v47, 0
	v_mov_b32_e32 v32, 0
	v_mov_b32_e32 v33, 0
	v_mov_b32_e32 v34, 0
	v_mov_b32_e32 v35, 0
	v_mov_b32_e32 v40, 0
	v_mov_b32_e32 v41, 0
	v_mov_b32_e32 v42, 0
	v_mov_b32_e32 v43, 0
	v_mov_b32_e32 v24, 0
	v_mov_b32_e32 v25, 0
	v_mov_b32_e32 v26, 0
	v_mov_b32_e32 v27, 0
	v_mov_b32_e32 v20, 0
	v_mov_b32_e32 v21, 0
	v_mov_b32_e32 v22, 0
	v_mov_b32_e32 v23, 0
	v_mov_b32_e32 v12, 0
	v_mov_b32_e32 v13, 0
	v_mov_b32_e32 v14, 0
	v_mov_b32_e32 v15, 0
	s_and_saveexec_b64 s[20:21], vcc
	s_cbranch_execz .LBB38_19
; %bb.21:                               ;   in Loop: Header=BB38_20 Depth=2
	v_add_u32_e32 v50, s6, v58
	ds_read_b128 v[36:39], v58
	ds_read_b128 v[28:31], v50
	v_cmp_gt_u32_e32 vcc, s4, v61
	v_mov_b32_e32 v15, 0
	v_mov_b32_e32 v14, 0
	;; [unrolled: 1-line block ×24, first 2 shown]
	s_and_saveexec_b64 s[22:23], vcc
	s_cbranch_execz .LBB38_18
; %bb.22:                               ;   in Loop: Header=BB38_20 Depth=2
	ds_read_b128 v[44:47], v58 offset:512
	ds_read_b128 v[32:35], v50 offset:512
	v_cmp_gt_u32_e32 vcc, s4, v60
	v_mov_b32_e32 v15, 0
	v_mov_b32_e32 v14, 0
	;; [unrolled: 1-line block ×16, first 2 shown]
	s_and_saveexec_b64 s[24:25], vcc
	s_cbranch_execz .LBB38_17
; %bb.23:                               ;   in Loop: Header=BB38_20 Depth=2
	ds_read_b128 v[40:43], v58 offset:1024
	ds_read_b128 v[24:27], v50 offset:1024
	v_cmp_gt_u32_e32 vcc, s4, v59
	v_mov_b32_e32 v15, 0
	v_mov_b32_e32 v14, 0
	;; [unrolled: 1-line block ×8, first 2 shown]
	s_and_saveexec_b64 s[26:27], vcc
	s_cbranch_execz .LBB38_16
; %bb.24:                               ;   in Loop: Header=BB38_20 Depth=2
	ds_read_b128 v[20:23], v58 offset:1536
	ds_read_b128 v[12:15], v50 offset:1536
	s_branch .LBB38_16
.LBB38_25:                              ;   in Loop: Header=BB38_14 Depth=1
	; sched_barrier mask(0x00000000)
	v_cvt_i32_f32_e32 v0, v49
	v_cvt_i32_f32_e32 v1, v57
	s_nop 0
	v_cvt_f32_i32_dpp v0, v0 row_shr:8 row_mask:0xf bank_mask:0xf bound_ctrl:1
	v_cvt_f32_i32_dpp v1, v1 row_shr:8 row_mask:0xf bank_mask:0xf bound_ctrl:1
	v_add_f32_e32 v0, v49, v0
	v_add_f32_e32 v1, v57, v1
	v_cvt_i32_f32_e32 v2, v0
	v_cvt_i32_f32_e32 v3, v1
	s_nop 0
	v_cvt_f32_i32_dpp v2, v2 row_shr:4 row_mask:0xf bank_mask:0xf bound_ctrl:1
	v_cvt_f32_i32_dpp v3, v3 row_shr:4 row_mask:0xf bank_mask:0xf bound_ctrl:1
	v_add_f32_e32 v0, v0, v2
	v_add_f32_e32 v1, v1, v3
	;; [unrolled: 7-line block ×4, first 2 shown]
	v_cvt_i32_f32_e32 v2, v0
	v_cvt_i32_f32_e32 v3, v1
	s_nop 0
	v_cvt_f32_i32_dpp v2, v2 row_bcast:15 row_mask:0xf bank_mask:0xf bound_ctrl:1
	v_cvt_f32_i32_dpp v3, v3 row_bcast:15 row_mask:0xf bank_mask:0xf bound_ctrl:1
	v_add_f32_e32 v0, v0, v2
	v_add_f32_e32 v1, v1, v3
	v_cvt_i32_f32_e32 v2, v0
	v_cvt_i32_f32_e32 v4, v1
	s_nop 0
	v_mov_b32_dpp v3, v2 row_bcast:31 row_mask:0xf bank_mask:0xf bound_ctrl:1
	v_mov_b32_dpp v2, v4 row_bcast:31 row_mask:0xf bank_mask:0xf bound_ctrl:1
	s_and_saveexec_b64 s[20:21], s[0:1]
	s_cbranch_execz .LBB38_13
; %bb.26:                               ;   in Loop: Header=BB38_14 Depth=1
	s_and_b64 vcc, exec, s[18:19]
	s_cbranch_vccz .LBB38_28
; %bb.27:                               ;   in Loop: Header=BB38_14 Depth=1
	v_mul_hi_u32 v4, v48, v55
	v_mul_lo_u32 v4, v4, s12
	v_sub_u32_e32 v4, v48, v4
	v_subrev_u32_e32 v5, s12, v4
	v_cmp_le_u32_e32 vcc, s12, v4
	v_mov_b32_e32 v49, v51
	s_nop 0
	v_cndmask_b32_e32 v4, v4, v5, vcc
	v_subrev_u32_e32 v5, s12, v4
	v_cmp_le_u32_e32 vcc, s12, v4
	s_nop 1
	v_cndmask_b32_e32 v50, v4, v5, vcc
	v_lshl_add_u64 v[6:7], v[50:51], 1, s[8:9]
	v_add_u32_e32 v50, s13, v50
	v_lshl_add_u64 v[8:9], v[50:51], 1, s[8:9]
	global_load_ushort v5, v[6:7], off
	global_load_ushort v4, v[8:9], off
	s_cbranch_execnz .LBB38_12
	s_branch .LBB38_29
.LBB38_28:                              ;   in Loop: Header=BB38_14 Depth=1
                                        ; implicit-def: $vgpr5
                                        ; implicit-def: $vgpr4
.LBB38_29:                              ;   in Loop: Header=BB38_14 Depth=1
	v_mov_b32_e32 v49, v51
	s_waitcnt vmcnt(0)
	v_mov_b32_e32 v4, 0
	v_mov_b32_e32 v5, 0
	s_branch .LBB38_12
.LBB38_30:
	s_endpgm
	.section	.rodata,"a",@progbits
	.p2align	6, 0x0
	.amdhsa_kernel _Z16wvSplitK_hf_sml_I6__halfLi32ELi1ELi16ELi8ELi4ELi2EEviiiiiiPKT_S3_S3_PS1_ii
		.amdhsa_group_segment_fixed_size 65536
		.amdhsa_private_segment_fixed_size 0
		.amdhsa_kernarg_size 64
		.amdhsa_user_sgpr_count 2
		.amdhsa_user_sgpr_dispatch_ptr 0
		.amdhsa_user_sgpr_queue_ptr 0
		.amdhsa_user_sgpr_kernarg_segment_ptr 1
		.amdhsa_user_sgpr_dispatch_id 0
		.amdhsa_user_sgpr_kernarg_preload_length 0
		.amdhsa_user_sgpr_kernarg_preload_offset 0
		.amdhsa_user_sgpr_private_segment_size 0
		.amdhsa_uses_dynamic_stack 0
		.amdhsa_enable_private_segment 0
		.amdhsa_system_sgpr_workgroup_id_x 1
		.amdhsa_system_sgpr_workgroup_id_y 0
		.amdhsa_system_sgpr_workgroup_id_z 0
		.amdhsa_system_sgpr_workgroup_info 0
		.amdhsa_system_vgpr_workitem_id 1
		.amdhsa_next_free_vgpr 62
		.amdhsa_next_free_sgpr 32
		.amdhsa_accum_offset 64
		.amdhsa_reserve_vcc 1
		.amdhsa_float_round_mode_32 0
		.amdhsa_float_round_mode_16_64 0
		.amdhsa_float_denorm_mode_32 3
		.amdhsa_float_denorm_mode_16_64 3
		.amdhsa_dx10_clamp 1
		.amdhsa_ieee_mode 1
		.amdhsa_fp16_overflow 0
		.amdhsa_tg_split 0
		.amdhsa_exception_fp_ieee_invalid_op 0
		.amdhsa_exception_fp_denorm_src 0
		.amdhsa_exception_fp_ieee_div_zero 0
		.amdhsa_exception_fp_ieee_overflow 0
		.amdhsa_exception_fp_ieee_underflow 0
		.amdhsa_exception_fp_ieee_inexact 0
		.amdhsa_exception_int_div_zero 0
	.end_amdhsa_kernel
	.section	.text._Z16wvSplitK_hf_sml_I6__halfLi32ELi1ELi16ELi8ELi4ELi2EEviiiiiiPKT_S3_S3_PS1_ii,"axG",@progbits,_Z16wvSplitK_hf_sml_I6__halfLi32ELi1ELi16ELi8ELi4ELi2EEviiiiiiPKT_S3_S3_PS1_ii,comdat
.Lfunc_end38:
	.size	_Z16wvSplitK_hf_sml_I6__halfLi32ELi1ELi16ELi8ELi4ELi2EEviiiiiiPKT_S3_S3_PS1_ii, .Lfunc_end38-_Z16wvSplitK_hf_sml_I6__halfLi32ELi1ELi16ELi8ELi4ELi2EEviiiiiiPKT_S3_S3_PS1_ii
                                        ; -- End function
	.section	.AMDGPU.csdata,"",@progbits
; Kernel info:
; codeLenInByte = 2168
; NumSgprs: 38
; NumVgprs: 62
; NumAgprs: 0
; TotalNumVgprs: 62
; ScratchSize: 0
; MemoryBound: 0
; FloatMode: 240
; IeeeMode: 1
; LDSByteSize: 65536 bytes/workgroup (compile time only)
; SGPRBlocks: 4
; VGPRBlocks: 7
; NumSGPRsForWavesPerEU: 38
; NumVGPRsForWavesPerEU: 62
; AccumOffset: 64
; Occupancy: 2
; WaveLimiterHint : 0
; COMPUTE_PGM_RSRC2:SCRATCH_EN: 0
; COMPUTE_PGM_RSRC2:USER_SGPR: 2
; COMPUTE_PGM_RSRC2:TRAP_HANDLER: 0
; COMPUTE_PGM_RSRC2:TGID_X_EN: 1
; COMPUTE_PGM_RSRC2:TGID_Y_EN: 0
; COMPUTE_PGM_RSRC2:TGID_Z_EN: 0
; COMPUTE_PGM_RSRC2:TIDIG_COMP_CNT: 1
; COMPUTE_PGM_RSRC3_GFX90A:ACCUM_OFFSET: 15
; COMPUTE_PGM_RSRC3_GFX90A:TG_SPLIT: 0
	.section	.text._Z12wvSplitK_hf_I6__halfLi32ELi1ELi16ELi8ELi4ELi2EEviiiiiiPKT_S3_S3_PS1_ii,"axG",@progbits,_Z12wvSplitK_hf_I6__halfLi32ELi1ELi16ELi8ELi4ELi2EEviiiiiiPKT_S3_S3_PS1_ii,comdat
	.protected	_Z12wvSplitK_hf_I6__halfLi32ELi1ELi16ELi8ELi4ELi2EEviiiiiiPKT_S3_S3_PS1_ii ; -- Begin function _Z12wvSplitK_hf_I6__halfLi32ELi1ELi16ELi8ELi4ELi2EEviiiiiiPKT_S3_S3_PS1_ii
	.globl	_Z12wvSplitK_hf_I6__halfLi32ELi1ELi16ELi8ELi4ELi2EEviiiiiiPKT_S3_S3_PS1_ii
	.p2align	8
	.type	_Z12wvSplitK_hf_I6__halfLi32ELi1ELi16ELi8ELi4ELi2EEviiiiiiPKT_S3_S3_PS1_ii,@function
_Z12wvSplitK_hf_I6__halfLi32ELi1ELi16ELi8ELi4ELi2EEviiiiiiPKT_S3_S3_PS1_ii: ; @_Z12wvSplitK_hf_I6__halfLi32ELi1ELi16ELi8ELi4ELi2EEviiiiiiPKT_S3_S3_PS1_ii
; %bb.0:
	s_load_dwordx2 s[4:5], s[0:1], 0x38
	s_load_dwordx2 s[16:17], s[0:1], 0x20
	s_load_dwordx4 s[8:11], s[0:1], 0x0
	s_load_dwordx2 s[18:19], s[0:1], 0x10
	v_bfe_u32 v5, v0, 10, 10
	s_waitcnt lgkmcnt(0)
	s_mul_i32 s2, s2, s4
	v_add_u32_e32 v48, s2, v5
	v_add_u32_e32 v1, 1, v48
	v_cmp_gt_u32_e32 vcc, s11, v48
	v_cmp_le_u32_e64 s[2:3], s11, v1
	s_and_b64 s[6:7], vcc, s[2:3]
	v_mov_b32_e32 v62, 1
	s_and_saveexec_b64 s[2:3], s[6:7]
; %bb.1:
	v_subrev_u32_e32 v1, s11, v48
	v_cmp_eq_u32_e32 vcc, -1, v1
	s_add_i32 s6, s11, -1
	v_mov_b32_e32 v48, s6
	v_cndmask_b32_e64 v62, 0, 1, vcc
; %bb.2:
	s_or_b64 exec, exec, s[2:3]
	v_and_b32_e32 v4, 0x3ff, v0
	v_lshlrev_b32_e32 v63, 3, v4
	s_lshl_b32 s33, s10, 1
	v_lshl_add_u32 v6, v5, 8, v63
	s_min_u32 s6, s33, 0x8000
	v_cmp_gt_u32_e32 vcc, s6, v6
	s_and_saveexec_b64 s[2:3], vcc
	s_cbranch_execz .LBB39_11
; %bb.3:
	v_lshlrev_b32_e32 v0, 1, v6
	global_load_dwordx4 v[8:11], v0, s[16:17]
	v_add_u32_e32 v1, 0x1000, v6
	v_cmp_gt_u32_e32 vcc, s6, v1
	s_waitcnt vmcnt(0)
	ds_write_b128 v0, v[8:11]
	s_and_saveexec_b64 s[12:13], vcc
	s_xor_b64 s[12:13], exec, s[12:13]
	s_cbranch_execz .LBB39_11
; %bb.4:
	v_mov_b32_e32 v1, 0
	v_lshl_add_u64 v[2:3], s[16:17], 0, v[0:1]
	v_add_co_u32_e32 v8, vcc, 0x2000, v2
	v_add_u32_e32 v1, 0x2000, v6
	s_nop 0
	v_addc_co_u32_e32 v9, vcc, 0, v3, vcc
	global_load_dwordx4 v[8:11], v[8:9], off
	v_cmp_gt_u32_e32 vcc, s6, v1
	s_waitcnt vmcnt(0)
	ds_write_b128 v0, v[8:11] offset:8192
	s_and_saveexec_b64 s[12:13], vcc
	s_xor_b64 s[12:13], exec, s[12:13]
	s_cbranch_execz .LBB39_11
; %bb.5:
	v_add_co_u32_e32 v8, vcc, 0x4000, v2
	v_add_u32_e32 v1, 0x3000, v6
	s_nop 0
	v_addc_co_u32_e32 v9, vcc, 0, v3, vcc
	global_load_dwordx4 v[8:11], v[8:9], off
	v_cmp_gt_u32_e32 vcc, s6, v1
	s_waitcnt vmcnt(0)
	ds_write_b128 v0, v[8:11] offset:16384
	s_and_saveexec_b64 s[12:13], vcc
	s_xor_b64 s[12:13], exec, s[12:13]
	s_cbranch_execz .LBB39_11
; %bb.6:
	;; [unrolled: 12-line block ×6, first 2 shown]
	v_add_co_u32_e32 v2, vcc, 0xe000, v2
	s_nop 1
	v_addc_co_u32_e32 v3, vcc, 0, v3, vcc
	global_load_dwordx4 v[6:9], v[2:3], off
	s_waitcnt vmcnt(0)
	ds_write_b128 v0, v[6:9] offset:57344
.LBB39_11:
	s_or_b64 exec, exec, s[2:3]
	v_cmp_gt_u32_e32 vcc, s4, v5
	v_cmp_gt_u32_e64 s[2:3], s11, v48
	s_and_b64 s[2:3], vcc, s[2:3]
	s_waitcnt lgkmcnt(0)
	s_barrier
	s_and_saveexec_b64 s[6:7], s[2:3]
	s_cbranch_execz .LBB39_62
; %bb.12:
	v_cvt_f32_u32_e32 v0, s18
	s_load_dwordx4 s[12:15], s[0:1], 0x28
	s_load_dwordx2 s[20:21], s[0:1], 0x18
	s_cmp_lg_u32 s8, 0
	s_cselect_b64 s[2:3], -1, 0
	v_rcp_iflag_f32_e32 v0, v0
	s_add_i32 s36, s8, -8
	s_add_i32 s37, s11, -1
	s_waitcnt lgkmcnt(0)
	s_cmp_lg_u64 s[12:13], 0
	v_mul_f32_e32 v0, 0x4f7ffffe, v0
	v_cvt_u32_f32_e32 v0, v0
	s_cselect_b64 s[24:25], -1, 0
	s_mul_i32 s38, s5, s4
	s_sub_i32 s4, 0, s18
	s_sub_i32 s39, s38, s11
	v_mul_lo_u32 v1, s4, v0
	s_abs_i32 s4, s19
	s_add_i32 s39, s39, 2
	s_sub_i32 s5, 1, s4
	s_cmp_lt_u32 s4, 2
	s_cselect_b32 s5, s5, 1
	s_sub_i32 s6, s5, s4
	v_mul_hi_u32 v1, v0, v1
	s_cmp_ge_u32 s5, s4
	v_add_u32_e32 v64, v0, v1
	s_cselect_b32 s19, s6, s5
	v_cndmask_b32_e64 v0, 0, 1, s[2:3]
	v_cmp_eq_u32_e64 s[0:1], 31, v4
	s_mov_b64 s[22:23], 0
	v_mov_b32_e32 v51, 0
	s_mul_i32 s19, s19, s18
	v_lshlrev_b32_e32 v65, 4, v4
	v_add_u32_e32 v66, s10, v63
	v_cmp_ne_u32_e64 s[2:3], 1, v0
	s_movk_i32 s10, 0x7fff
	s_mov_b32 s26, 0
	s_branch .LBB39_14
.LBB39_13:                              ;   in Loop: Header=BB39_14 Depth=1
	s_or_b64 exec, exec, s[4:5]
	v_add_u32_e32 v0, s38, v48
	v_add_u32_e32 v1, 1, v0
	v_cmp_le_u32_e32 vcc, s11, v0
	v_cmp_gt_u32_e64 s[4:5], s11, v1
	v_add_u32_e32 v1, s39, v48
	v_cmp_eq_u32_e64 s[6:7], 1, v1
	v_mov_b32_e32 v1, s37
	s_or_b64 vcc, vcc, s[4:5]
	v_cndmask_b32_e32 v48, v1, v0, vcc
	v_cmp_le_u32_e64 s[4:5], s11, v48
	s_or_b64 vcc, vcc, s[6:7]
	s_or_b64 s[22:23], s[4:5], s[22:23]
	v_cndmask_b32_e32 v62, 0, v62, vcc
	s_andn2_b64 exec, exec, s[22:23]
	s_cbranch_execz .LBB39_62
.LBB39_14:                              ; =>This Loop Header: Depth=1
                                        ;     Child Loop BB39_21 Depth 2
	s_and_b64 vcc, exec, s[2:3]
	v_mov_b32_e32 v67, v51
	v_mov_b32_e32 v49, v51
	s_cbranch_vccnz .LBB39_57
; %bb.15:                               ;   in Loop: Header=BB39_14 Depth=1
	v_min_u32_e32 v0, s37, v48
	v_mul_lo_u32 v50, v0, s9
	v_lshl_add_u64 v[52:53], v[50:51], 1, s[20:21]
	v_mov_b32_e32 v49, 0
	v_mov_b32_e32 v68, v65
	;; [unrolled: 1-line block ×3, first 2 shown]
	s_mov_b32 s40, s26
	s_branch .LBB39_21
.LBB39_16:                              ;   in Loop: Header=BB39_21 Depth=2
	s_or_b64 exec, exec, s[34:35]
.LBB39_17:                              ;   in Loop: Header=BB39_21 Depth=2
	s_or_b64 exec, exec, s[30:31]
.LBB39_18:                              ;   in Loop: Header=BB39_21 Depth=2
	s_or_b64 exec, exec, s[28:29]
.LBB39_19:                              ;   in Loop: Header=BB39_21 Depth=2
	s_or_b64 exec, exec, s[6:7]
.LBB39_20:                              ;   in Loop: Header=BB39_21 Depth=2
	s_or_b64 exec, exec, s[4:5]
	s_waitcnt vmcnt(0) lgkmcnt(0)
	;;#ASMSTART
	v_dot2c_f32_f16 v49, v20, v12
	;;#ASMEND
	;;#ASMSTART
	v_dot2c_f32_f16 v67, v16, v12
	;;#ASMEND
	s_addk_i32 s40, 0x400
	;;#ASMSTART
	v_dot2c_f32_f16 v49, v21, v13
	;;#ASMEND
	;;#ASMSTART
	v_dot2c_f32_f16 v67, v17, v13
	;;#ASMEND
	s_cmp_ge_u32 s40, s8
	;;#ASMSTART
	v_dot2c_f32_f16 v49, v22, v14
	;;#ASMEND
	;;#ASMSTART
	v_dot2c_f32_f16 v67, v18, v14
	;;#ASMEND
	v_add_u32_e32 v68, 0x800, v68
	;;#ASMSTART
	v_dot2c_f32_f16 v49, v23, v15
	;;#ASMEND
	;;#ASMSTART
	v_dot2c_f32_f16 v67, v19, v15
	;;#ASMEND
	s_nop 0
	;;#ASMSTART
	v_dot2c_f32_f16 v49, v28, v8
	;;#ASMEND
	;;#ASMSTART
	v_dot2c_f32_f16 v67, v24, v8
	;;#ASMEND
	s_nop 0
	;; [unrolled: 7-line block ×12, first 2 shown]
	;;#ASMSTART
	v_dot2c_f32_f16 v49, v47, v3
	;;#ASMEND
	;;#ASMSTART
	v_dot2c_f32_f16 v67, v43, v3
	;;#ASMEND
	s_cbranch_scc1 .LBB39_57
.LBB39_21:                              ;   Parent Loop BB39_14 Depth=1
                                        ; =>  This Inner Loop Header: Depth=2
	v_add_u32_e32 v60, s40, v63
	v_min_u32_e32 v50, s36, v60
	v_add_u32_e32 v58, 0x100, v60
	v_lshl_add_u64 v[0:1], v[50:51], 1, v[52:53]
	v_min_u32_e32 v50, s36, v58
	v_add_u32_e32 v56, 0x200, v60
	v_lshl_add_u64 v[2:3], v[50:51], 1, v[52:53]
	;; [unrolled: 3-line block ×3, first 2 shown]
	v_min_u32_e32 v50, s36, v54
	global_load_dwordx4 v[12:15], v[0:1], off nt
	global_load_dwordx4 v[8:11], v[2:3], off nt
	v_lshl_add_u64 v[18:19], v[50:51], 1, v[52:53]
	global_load_dwordx4 v[4:7], v[16:17], off nt
	global_load_dwordx4 v[0:3], v[18:19], off nt
	s_mov_b32 s27, s26
	v_cmp_gt_u32_e32 vcc, s8, v60
	v_mov_b64_e32 v[46:47], s[26:27]
	v_mov_b32_e32 v43, 0
	v_mov_b32_e32 v42, 0
	;; [unrolled: 1-line block ×4, first 2 shown]
	v_mov_b64_e32 v[44:45], s[26:27]
	v_mov_b64_e32 v[34:35], s[26:27]
	;; [unrolled: 1-line block ×13, first 2 shown]
	s_and_saveexec_b64 s[4:5], vcc
	s_cbranch_execz .LBB39_20
; %bb.22:                               ;   in Loop: Header=BB39_21 Depth=2
	v_cmp_lt_u32_e32 vcc, s10, v60
                                        ; implicit-def: $vgpr20_vgpr21
	s_and_saveexec_b64 s[6:7], vcc
	s_xor_b64 s[6:7], exec, s[6:7]
	s_cbranch_execz .LBB39_24
; %bb.23:                               ;   in Loop: Header=BB39_21 Depth=2
	v_mov_b32_e32 v61, v51
	v_lshl_add_u64 v[16:17], v[60:61], 1, s[16:17]
	global_load_dwordx4 v[20:23], v[16:17], off
.LBB39_24:                              ;   in Loop: Header=BB39_21 Depth=2
	s_andn2_saveexec_b64 s[6:7], s[6:7]
	s_cbranch_execz .LBB39_26
; %bb.25:                               ;   in Loop: Header=BB39_21 Depth=2
	s_waitcnt vmcnt(0)
	ds_read_b128 v[20:23], v68
.LBB39_26:                              ;   in Loop: Header=BB39_21 Depth=2
	s_or_b64 exec, exec, s[6:7]
	v_add_u32_e32 v50, s40, v66
	v_cmp_lt_u32_e32 vcc, s10, v50
                                        ; implicit-def: $vgpr18_vgpr19
	s_and_saveexec_b64 s[6:7], vcc
	s_xor_b64 s[6:7], exec, s[6:7]
	s_cbranch_execz .LBB39_28
; %bb.27:                               ;   in Loop: Header=BB39_21 Depth=2
	v_lshl_add_u64 v[16:17], v[50:51], 1, s[16:17]
	global_load_dwordx4 v[16:19], v[16:17], off
.LBB39_28:                              ;   in Loop: Header=BB39_21 Depth=2
	s_andn2_saveexec_b64 s[6:7], s[6:7]
	s_cbranch_execz .LBB39_30
; %bb.29:                               ;   in Loop: Header=BB39_21 Depth=2
	s_waitcnt vmcnt(0)
	v_add_u32_e32 v16, s33, v68
	ds_read_b128 v[16:19], v16
.LBB39_30:                              ;   in Loop: Header=BB39_21 Depth=2
	s_or_b64 exec, exec, s[6:7]
	s_mov_b32 s27, s26
	v_cmp_gt_u32_e32 vcc, s8, v58
	v_mov_b32_e32 v43, 0
	v_mov_b64_e32 v[46:47], s[26:27]
	v_mov_b32_e32 v42, 0
	v_mov_b32_e32 v41, 0
	;; [unrolled: 1-line block ×3, first 2 shown]
	v_mov_b64_e32 v[44:45], s[26:27]
	v_mov_b64_e32 v[34:35], s[26:27]
	;; [unrolled: 1-line block ×9, first 2 shown]
	s_and_saveexec_b64 s[6:7], vcc
	s_cbranch_execz .LBB39_19
; %bb.31:                               ;   in Loop: Header=BB39_21 Depth=2
	v_cmp_lt_u32_e32 vcc, s10, v58
                                        ; implicit-def: $vgpr30_vgpr31
	s_and_saveexec_b64 s[28:29], vcc
	s_xor_b64 s[28:29], exec, s[28:29]
	s_cbranch_execz .LBB39_33
; %bb.32:                               ;   in Loop: Header=BB39_21 Depth=2
	v_mov_b32_e32 v59, v51
	v_lshl_add_u64 v[24:25], v[58:59], 1, s[16:17]
	global_load_dwordx4 v[28:31], v[24:25], off
.LBB39_33:                              ;   in Loop: Header=BB39_21 Depth=2
	s_andn2_saveexec_b64 s[28:29], s[28:29]
	s_cbranch_execz .LBB39_35
; %bb.34:                               ;   in Loop: Header=BB39_21 Depth=2
	s_waitcnt vmcnt(0)
	ds_read_b128 v[28:31], v68 offset:512
.LBB39_35:                              ;   in Loop: Header=BB39_21 Depth=2
	s_or_b64 exec, exec, s[28:29]
	v_add_u32_e32 v24, 0x100, v50
	v_cmp_lt_u32_e32 vcc, s10, v24
                                        ; implicit-def: $vgpr26_vgpr27
	s_and_saveexec_b64 s[28:29], vcc
	s_xor_b64 s[28:29], exec, s[28:29]
	s_cbranch_execz .LBB39_37
; %bb.36:                               ;   in Loop: Header=BB39_21 Depth=2
	v_mov_b32_e32 v25, v51
	v_lshl_add_u64 v[24:25], v[24:25], 1, s[16:17]
	global_load_dwordx4 v[24:27], v[24:25], off
.LBB39_37:                              ;   in Loop: Header=BB39_21 Depth=2
	s_andn2_saveexec_b64 s[28:29], s[28:29]
	s_cbranch_execz .LBB39_39
; %bb.38:                               ;   in Loop: Header=BB39_21 Depth=2
	s_waitcnt vmcnt(0)
	v_add_u32_e32 v24, s33, v68
	ds_read_b128 v[24:27], v24 offset:512
.LBB39_39:                              ;   in Loop: Header=BB39_21 Depth=2
	s_or_b64 exec, exec, s[28:29]
	s_mov_b32 s27, s26
	v_cmp_gt_u32_e32 vcc, s8, v56
	v_mov_b32_e32 v43, 0
	v_mov_b64_e32 v[46:47], s[26:27]
	v_mov_b32_e32 v42, 0
	v_mov_b32_e32 v41, 0
	;; [unrolled: 1-line block ×3, first 2 shown]
	v_mov_b64_e32 v[44:45], s[26:27]
	v_mov_b64_e32 v[34:35], s[26:27]
	;; [unrolled: 1-line block ×5, first 2 shown]
	s_and_saveexec_b64 s[28:29], vcc
	s_cbranch_execz .LBB39_18
; %bb.40:                               ;   in Loop: Header=BB39_21 Depth=2
	v_cmp_lt_u32_e32 vcc, s10, v56
                                        ; implicit-def: $vgpr38_vgpr39
	s_and_saveexec_b64 s[30:31], vcc
	s_xor_b64 s[30:31], exec, s[30:31]
	s_cbranch_execz .LBB39_42
; %bb.41:                               ;   in Loop: Header=BB39_21 Depth=2
	v_mov_b32_e32 v57, v51
	v_lshl_add_u64 v[32:33], v[56:57], 1, s[16:17]
	global_load_dwordx4 v[36:39], v[32:33], off
.LBB39_42:                              ;   in Loop: Header=BB39_21 Depth=2
	s_andn2_saveexec_b64 s[30:31], s[30:31]
	s_cbranch_execz .LBB39_44
; %bb.43:                               ;   in Loop: Header=BB39_21 Depth=2
	s_waitcnt vmcnt(0)
	ds_read_b128 v[36:39], v68 offset:1024
.LBB39_44:                              ;   in Loop: Header=BB39_21 Depth=2
	s_or_b64 exec, exec, s[30:31]
	v_add_u32_e32 v32, 0x200, v50
	v_cmp_lt_u32_e32 vcc, s10, v32
                                        ; implicit-def: $vgpr34_vgpr35
	s_and_saveexec_b64 s[30:31], vcc
	s_xor_b64 s[30:31], exec, s[30:31]
	s_cbranch_execz .LBB39_46
; %bb.45:                               ;   in Loop: Header=BB39_21 Depth=2
	v_mov_b32_e32 v33, v51
	v_lshl_add_u64 v[32:33], v[32:33], 1, s[16:17]
	global_load_dwordx4 v[32:35], v[32:33], off
.LBB39_46:                              ;   in Loop: Header=BB39_21 Depth=2
	s_andn2_saveexec_b64 s[30:31], s[30:31]
	s_cbranch_execz .LBB39_48
; %bb.47:                               ;   in Loop: Header=BB39_21 Depth=2
	s_waitcnt vmcnt(0)
	v_add_u32_e32 v32, s33, v68
	ds_read_b128 v[32:35], v32 offset:1024
.LBB39_48:                              ;   in Loop: Header=BB39_21 Depth=2
	s_or_b64 exec, exec, s[30:31]
	s_mov_b32 s27, s26
	v_cmp_gt_u32_e32 vcc, s8, v54
	v_mov_b32_e32 v43, 0
	v_mov_b64_e32 v[46:47], s[26:27]
	v_mov_b32_e32 v42, 0
	v_mov_b32_e32 v41, 0
	;; [unrolled: 1-line block ×3, first 2 shown]
	v_mov_b64_e32 v[44:45], s[26:27]
	s_and_saveexec_b64 s[30:31], vcc
	s_cbranch_execz .LBB39_17
; %bb.49:                               ;   in Loop: Header=BB39_21 Depth=2
	v_cmp_lt_u32_e32 vcc, s10, v54
                                        ; implicit-def: $vgpr46_vgpr47
	s_and_saveexec_b64 s[34:35], vcc
	s_xor_b64 s[34:35], exec, s[34:35]
	s_cbranch_execz .LBB39_51
; %bb.50:                               ;   in Loop: Header=BB39_21 Depth=2
	v_mov_b32_e32 v55, v51
	v_lshl_add_u64 v[40:41], v[54:55], 1, s[16:17]
	global_load_dwordx4 v[44:47], v[40:41], off
.LBB39_51:                              ;   in Loop: Header=BB39_21 Depth=2
	s_andn2_saveexec_b64 s[34:35], s[34:35]
	s_cbranch_execz .LBB39_53
; %bb.52:                               ;   in Loop: Header=BB39_21 Depth=2
	s_waitcnt vmcnt(0)
	ds_read_b128 v[44:47], v68 offset:1536
.LBB39_53:                              ;   in Loop: Header=BB39_21 Depth=2
	s_or_b64 exec, exec, s[34:35]
	v_add_u32_e32 v50, 0x300, v50
	v_cmp_lt_u32_e32 vcc, s10, v50
                                        ; implicit-def: $vgpr43
	s_and_saveexec_b64 s[34:35], vcc
	s_xor_b64 s[34:35], exec, s[34:35]
	s_cbranch_execz .LBB39_55
; %bb.54:                               ;   in Loop: Header=BB39_21 Depth=2
	v_lshl_add_u64 v[40:41], v[50:51], 1, s[16:17]
	global_load_dwordx4 v[40:43], v[40:41], off
.LBB39_55:                              ;   in Loop: Header=BB39_21 Depth=2
	s_andn2_saveexec_b64 s[34:35], s[34:35]
	s_cbranch_execz .LBB39_16
; %bb.56:                               ;   in Loop: Header=BB39_21 Depth=2
	s_waitcnt vmcnt(0)
	v_add_u32_e32 v40, s33, v68
	ds_read_b128 v[40:43], v40 offset:1536
	s_branch .LBB39_16
.LBB39_57:                              ;   in Loop: Header=BB39_14 Depth=1
	v_cvt_i32_f32_e32 v0, v49
	v_cvt_i32_f32_e32 v1, v67
	s_nop 0
	v_cvt_f32_i32_dpp v0, v0 row_shr:8 row_mask:0xf bank_mask:0xf bound_ctrl:1
	v_cvt_f32_i32_dpp v1, v1 row_shr:8 row_mask:0xf bank_mask:0xf bound_ctrl:1
	v_add_f32_e32 v0, v49, v0
	v_add_f32_e32 v1, v67, v1
	v_cvt_i32_f32_e32 v2, v0
	v_cvt_i32_f32_e32 v3, v1
	s_nop 0
	v_cvt_f32_i32_dpp v2, v2 row_shr:4 row_mask:0xf bank_mask:0xf bound_ctrl:1
	v_cvt_f32_i32_dpp v3, v3 row_shr:4 row_mask:0xf bank_mask:0xf bound_ctrl:1
	v_add_f32_e32 v0, v0, v2
	v_add_f32_e32 v1, v1, v3
	v_cvt_i32_f32_e32 v2, v0
	v_cvt_i32_f32_e32 v3, v1
	s_nop 0
	v_cvt_f32_i32_dpp v2, v2 row_shr:2 row_mask:0xf bank_mask:0xf bound_ctrl:1
	v_cvt_f32_i32_dpp v3, v3 row_shr:2 row_mask:0xf bank_mask:0xf bound_ctrl:1
	v_add_f32_e32 v0, v0, v2
	v_add_f32_e32 v1, v1, v3
	v_cvt_i32_f32_e32 v2, v0
	v_cvt_i32_f32_e32 v3, v1
	s_nop 0
	v_cvt_f32_i32_dpp v2, v2 row_shr:1 row_mask:0xf bank_mask:0xf bound_ctrl:1
	v_cvt_f32_i32_dpp v3, v3 row_shr:1 row_mask:0xf bank_mask:0xf bound_ctrl:1
	v_add_f32_e32 v0, v0, v2
	v_add_f32_e32 v1, v1, v3
	v_cvt_i32_f32_e32 v2, v0
	v_cvt_i32_f32_e32 v3, v1
	s_nop 0
	v_cvt_f32_i32_dpp v2, v2 row_bcast:15 row_mask:0xf bank_mask:0xf bound_ctrl:1
	v_cvt_f32_i32_dpp v3, v3 row_bcast:15 row_mask:0xf bank_mask:0xf bound_ctrl:1
	v_add_f32_e32 v0, v0, v2
	v_add_f32_e32 v1, v1, v3
	v_cvt_i32_f32_e32 v2, v0
	s_waitcnt vmcnt(0)
	v_cvt_i32_f32_e32 v4, v1
	v_mov_b32_dpp v3, v2 row_bcast:31 row_mask:0xf bank_mask:0xf bound_ctrl:1
	s_nop 0
	v_mov_b32_dpp v2, v4 row_bcast:31 row_mask:0xf bank_mask:0xf bound_ctrl:1
	s_and_saveexec_b64 s[4:5], s[0:1]
	s_cbranch_execz .LBB39_13
; %bb.58:                               ;   in Loop: Header=BB39_14 Depth=1
	s_andn2_b64 vcc, exec, s[24:25]
	v_mov_b32_e32 v4, 0
	v_mov_b32_e32 v5, 0
	s_cbranch_vccnz .LBB39_60
; %bb.59:                               ;   in Loop: Header=BB39_14 Depth=1
	v_mul_hi_u32 v4, v48, v64
	v_mul_lo_u32 v4, v4, s18
	v_sub_u32_e32 v4, v48, v4
	v_subrev_u32_e32 v5, s18, v4
	v_cmp_le_u32_e32 vcc, s18, v4
	s_nop 1
	v_cndmask_b32_e32 v4, v4, v5, vcc
	v_subrev_u32_e32 v5, s18, v4
	v_cmp_le_u32_e32 vcc, s18, v4
	s_nop 1
	v_cndmask_b32_e32 v50, v4, v5, vcc
	v_lshl_add_u64 v[6:7], v[50:51], 1, s[12:13]
	v_add_u32_e32 v50, s19, v50
	v_lshl_add_u64 v[8:9], v[50:51], 1, s[12:13]
	global_load_ushort v5, v[6:7], off
	global_load_ushort v4, v[8:9], off
.LBB39_60:                              ;   in Loop: Header=BB39_14 Depth=1
	v_cmp_ne_u32_e32 vcc, 0, v62
	s_and_b64 exec, exec, vcc
	s_cbranch_execz .LBB39_13
; %bb.61:                               ;   in Loop: Header=BB39_14 Depth=1
	v_cvt_f32_i32_e32 v3, v3
	v_cvt_f32_i32_e32 v2, v2
	s_waitcnt vmcnt(1)
	v_cvt_f32_f16_e32 v5, v5
	v_mov_b32_e32 v49, v51
	v_add_f32_e32 v0, v0, v3
	s_waitcnt vmcnt(0)
	v_cvt_f32_f16_e32 v3, v4
	v_add_f32_e32 v2, v1, v2
	v_add_f32_e32 v0, v0, v5
	v_cvt_f16_f32_e32 v4, v0
	v_add_f32_e32 v2, v2, v3
	v_cvt_f16_f32_e32 v2, v2
	v_lshl_add_u64 v[0:1], v[48:49], 1, s[14:15]
	v_add_u32_e32 v50, s11, v48
	global_store_short v[0:1], v4, off
	v_lshl_add_u64 v[0:1], v[50:51], 1, s[14:15]
	global_store_short v[0:1], v2, off
	s_branch .LBB39_13
.LBB39_62:
	s_endpgm
	.section	.rodata,"a",@progbits
	.p2align	6, 0x0
	.amdhsa_kernel _Z12wvSplitK_hf_I6__halfLi32ELi1ELi16ELi8ELi4ELi2EEviiiiiiPKT_S3_S3_PS1_ii
		.amdhsa_group_segment_fixed_size 65536
		.amdhsa_private_segment_fixed_size 0
		.amdhsa_kernarg_size 64
		.amdhsa_user_sgpr_count 2
		.amdhsa_user_sgpr_dispatch_ptr 0
		.amdhsa_user_sgpr_queue_ptr 0
		.amdhsa_user_sgpr_kernarg_segment_ptr 1
		.amdhsa_user_sgpr_dispatch_id 0
		.amdhsa_user_sgpr_kernarg_preload_length 0
		.amdhsa_user_sgpr_kernarg_preload_offset 0
		.amdhsa_user_sgpr_private_segment_size 0
		.amdhsa_uses_dynamic_stack 0
		.amdhsa_enable_private_segment 0
		.amdhsa_system_sgpr_workgroup_id_x 1
		.amdhsa_system_sgpr_workgroup_id_y 0
		.amdhsa_system_sgpr_workgroup_id_z 0
		.amdhsa_system_sgpr_workgroup_info 0
		.amdhsa_system_vgpr_workitem_id 1
		.amdhsa_next_free_vgpr 69
		.amdhsa_next_free_sgpr 41
		.amdhsa_accum_offset 72
		.amdhsa_reserve_vcc 1
		.amdhsa_float_round_mode_32 0
		.amdhsa_float_round_mode_16_64 0
		.amdhsa_float_denorm_mode_32 3
		.amdhsa_float_denorm_mode_16_64 3
		.amdhsa_dx10_clamp 1
		.amdhsa_ieee_mode 1
		.amdhsa_fp16_overflow 0
		.amdhsa_tg_split 0
		.amdhsa_exception_fp_ieee_invalid_op 0
		.amdhsa_exception_fp_denorm_src 0
		.amdhsa_exception_fp_ieee_div_zero 0
		.amdhsa_exception_fp_ieee_overflow 0
		.amdhsa_exception_fp_ieee_underflow 0
		.amdhsa_exception_fp_ieee_inexact 0
		.amdhsa_exception_int_div_zero 0
	.end_amdhsa_kernel
	.section	.text._Z12wvSplitK_hf_I6__halfLi32ELi1ELi16ELi8ELi4ELi2EEviiiiiiPKT_S3_S3_PS1_ii,"axG",@progbits,_Z12wvSplitK_hf_I6__halfLi32ELi1ELi16ELi8ELi4ELi2EEviiiiiiPKT_S3_S3_PS1_ii,comdat
.Lfunc_end39:
	.size	_Z12wvSplitK_hf_I6__halfLi32ELi1ELi16ELi8ELi4ELi2EEviiiiiiPKT_S3_S3_PS1_ii, .Lfunc_end39-_Z12wvSplitK_hf_I6__halfLi32ELi1ELi16ELi8ELi4ELi2EEviiiiiiPKT_S3_S3_PS1_ii
                                        ; -- End function
	.section	.AMDGPU.csdata,"",@progbits
; Kernel info:
; codeLenInByte = 2620
; NumSgprs: 47
; NumVgprs: 69
; NumAgprs: 0
; TotalNumVgprs: 69
; ScratchSize: 0
; MemoryBound: 1
; FloatMode: 240
; IeeeMode: 1
; LDSByteSize: 65536 bytes/workgroup (compile time only)
; SGPRBlocks: 5
; VGPRBlocks: 8
; NumSGPRsForWavesPerEU: 47
; NumVGPRsForWavesPerEU: 69
; AccumOffset: 72
; Occupancy: 2
; WaveLimiterHint : 0
; COMPUTE_PGM_RSRC2:SCRATCH_EN: 0
; COMPUTE_PGM_RSRC2:USER_SGPR: 2
; COMPUTE_PGM_RSRC2:TRAP_HANDLER: 0
; COMPUTE_PGM_RSRC2:TGID_X_EN: 1
; COMPUTE_PGM_RSRC2:TGID_Y_EN: 0
; COMPUTE_PGM_RSRC2:TGID_Z_EN: 0
; COMPUTE_PGM_RSRC2:TIDIG_COMP_CNT: 1
; COMPUTE_PGM_RSRC3_GFX90A:ACCUM_OFFSET: 17
; COMPUTE_PGM_RSRC3_GFX90A:TG_SPLIT: 0
	.section	.text._Z16wvSplitK_hf_big_I6__halfLi32ELi1ELi16ELi8ELi4ELi2EEviiiiiiPKT_S3_S3_PS1_ii,"axG",@progbits,_Z16wvSplitK_hf_big_I6__halfLi32ELi1ELi16ELi8ELi4ELi2EEviiiiiiPKT_S3_S3_PS1_ii,comdat
	.protected	_Z16wvSplitK_hf_big_I6__halfLi32ELi1ELi16ELi8ELi4ELi2EEviiiiiiPKT_S3_S3_PS1_ii ; -- Begin function _Z16wvSplitK_hf_big_I6__halfLi32ELi1ELi16ELi8ELi4ELi2EEviiiiiiPKT_S3_S3_PS1_ii
	.globl	_Z16wvSplitK_hf_big_I6__halfLi32ELi1ELi16ELi8ELi4ELi2EEviiiiiiPKT_S3_S3_PS1_ii
	.p2align	8
	.type	_Z16wvSplitK_hf_big_I6__halfLi32ELi1ELi16ELi8ELi4ELi2EEviiiiiiPKT_S3_S3_PS1_ii,@function
_Z16wvSplitK_hf_big_I6__halfLi32ELi1ELi16ELi8ELi4ELi2EEviiiiiiPKT_S3_S3_PS1_ii: ; @_Z16wvSplitK_hf_big_I6__halfLi32ELi1ELi16ELi8ELi4ELi2EEviiiiiiPKT_S3_S3_PS1_ii
; %bb.0:
	s_load_dwordx2 s[4:5], s[0:1], 0x38
	v_bfe_u32 v1, v0, 10, 10
	s_waitcnt lgkmcnt(0)
	v_cmp_gt_u32_e32 vcc, s4, v1
	s_and_saveexec_b64 s[6:7], vcc
	s_cbranch_execz .LBB40_38
; %bb.1:
	s_load_dwordx4 s[20:23], s[0:1], 0x0
	s_mul_i32 s2, s2, s4
	v_add_u32_e32 v48, s2, v1
	v_add_u32_e32 v2, 1, v48
	v_mov_b32_e32 v54, 1
	s_waitcnt lgkmcnt(0)
	v_cmp_gt_u32_e32 vcc, s23, v48
	v_cmp_le_u32_e64 s[2:3], s23, v2
	s_and_b64 s[6:7], vcc, s[2:3]
	s_and_saveexec_b64 s[2:3], s[6:7]
; %bb.2:
	v_subrev_u32_e32 v2, s23, v48
	v_cmp_eq_u32_e32 vcc, -1, v2
	s_add_i32 s6, s23, -1
	v_mov_b32_e32 v48, s6
	v_cndmask_b32_e64 v54, 0, 1, vcc
; %bb.3:
	s_or_b64 exec, exec, s[2:3]
	s_abs_i32 s2, s4
	v_cvt_f32_u32_e32 v2, s2
	s_sub_i32 s7, 0, s2
	s_abs_i32 s6, s23
	s_ashr_i32 s3, s23, 31
	v_rcp_iflag_f32_e32 v2, v2
	s_nop 0
	v_mul_f32_e32 v2, 0x4f7ffffe, v2
	v_cvt_u32_f32_e32 v2, v2
	s_nop 0
	v_readfirstlane_b32 s8, v2
	s_mul_i32 s7, s7, s8
	s_mul_hi_u32 s7, s8, s7
	s_add_i32 s8, s8, s7
	s_mul_hi_u32 s7, s6, s8
	s_mul_i32 s7, s7, s2
	s_sub_i32 s6, s6, s7
	s_sub_i32 s7, s6, s2
	s_cmp_ge_u32 s6, s2
	s_cselect_b32 s6, s7, s6
	s_sub_i32 s7, s6, s2
	s_cmp_ge_u32 s6, s2
	s_cselect_b32 s2, s7, s6
	s_xor_b32 s2, s2, s3
	s_sub_i32 s2, s2, s3
	s_add_i32 s3, s4, s23
	s_sub_i32 s3, s3, s2
	s_cmp_eq_u32 s2, 0
	s_cselect_b32 s33, s23, s3
	v_cmp_gt_u32_e32 vcc, s33, v48
	s_and_b64 exec, exec, vcc
	s_cbranch_execz .LBB40_38
; %bb.4:
	s_load_dwordx8 s[12:19], s[0:1], 0x10
	s_min_u32 s38, s22, 0x4000
	s_cmp_lg_u32 s20, 0
	s_cselect_b64 s[2:3], -1, 0
	s_cmp_lg_u32 s22, 0
	s_waitcnt lgkmcnt(0)
	v_cvt_f32_u32_e32 v2, s12
	s_cselect_b64 s[6:7], -1, 0
	s_lshl_b32 s39, s4, 8
	s_add_i32 s40, s20, -8
	v_rcp_iflag_f32_e32 v2, v2
	s_add_i32 s41, s23, -1
	s_cmp_lg_u64 s[18:19], 0
	s_mul_i32 s42, s5, s4
	v_mul_f32_e32 v2, 0x4f7ffffe, v2
	v_cvt_u32_f32_e32 v2, v2
	s_cselect_b64 s[26:27], -1, 0
	s_sub_i32 s5, 0, s12
	s_sub_i32 s43, s42, s23
	v_mul_lo_u32 v3, s5, v2
	s_abs_i32 s5, s13
	s_add_i32 s43, s43, 2
	s_sub_i32 s8, 1, s5
	s_cmp_lt_u32 s5, 2
	s_load_dwordx2 s[10:11], s[0:1], 0x30
	v_and_b32_e32 v0, 0x3ff, v0
	s_cselect_b32 s8, s8, 1
	v_lshlrev_b32_e32 v55, 3, v0
	v_cmp_eq_u32_e64 s[0:1], 31, v0
	s_sub_i32 s9, s8, s5
	v_lshlrev_b32_e32 v0, 4, v0
	s_cmp_ge_u32 s8, s5
	v_lshl_add_u32 v57, v1, 9, v0
	v_cndmask_b32_e64 v0, 0, 1, s[2:3]
	v_mul_hi_u32 v3, v2, v3
	s_cselect_b32 s13, s9, s8
	v_lshl_add_u32 v58, v1, 8, v55
	v_cmp_ne_u32_e64 s[2:3], 1, v0
	v_cndmask_b32_e64 v0, 0, 1, s[6:7]
	s_mov_b64 s[24:25], 0
	v_add_u32_e32 v56, v2, v3
	v_mov_b32_e32 v51, 0
	s_mul_i32 s13, s13, s12
	s_lshl_b32 s44, s38, 1
	s_lshl_b32 s45, s4, 9
	v_add_u32_e32 v59, s22, v58
	v_cmp_ne_u32_e64 s[4:5], 1, v0
	s_branch .LBB40_7
.LBB40_5:                               ;   in Loop: Header=BB40_7 Depth=1
	s_or_b64 exec, exec, s[6:7]
.LBB40_6:                               ;   in Loop: Header=BB40_7 Depth=1
	s_or_b64 exec, exec, s[8:9]
	v_cmp_le_u32_e32 vcc, s33, v0
	s_or_b64 s[24:25], vcc, s[24:25]
	v_mov_b32_e32 v48, v0
	s_andn2_b64 exec, exec, s[24:25]
	s_cbranch_execz .LBB40_38
.LBB40_7:                               ; =>This Loop Header: Depth=1
                                        ;     Child Loop BB40_14 Depth 2
                                        ;       Child Loop BB40_19 Depth 3
	s_mov_b32 s46, 0
	s_and_b64 vcc, exec, s[2:3]
	v_mov_b32_e32 v60, v51
	v_mov_b32_e32 v49, v51
	s_cbranch_vccnz .LBB40_28
; %bb.8:                                ;   in Loop: Header=BB40_7 Depth=1
	v_min_u32_e32 v0, s41, v48
	v_mul_lo_u32 v50, v0, s21
	v_cmp_gt_u32_e64 s[6:7], s23, v48
	v_lshl_add_u64 v[52:53], v[50:51], 1, s[14:15]
	v_mov_b32_e32 v49, 0
	v_mov_b32_e32 v60, 0
	s_mov_b32 s47, 0
	s_branch .LBB40_14
.LBB40_9:                               ;   in Loop: Header=BB40_14 Depth=2
	s_or_b64 exec, exec, s[36:37]
.LBB40_10:                              ;   in Loop: Header=BB40_14 Depth=2
	s_or_b64 exec, exec, s[34:35]
.LBB40_11:                              ;   in Loop: Header=BB40_14 Depth=2
	s_or_b64 exec, exec, s[30:31]
.LBB40_12:                              ;   in Loop: Header=BB40_14 Depth=2
	s_or_b64 exec, exec, s[28:29]
	s_waitcnt vmcnt(3) lgkmcnt(0)
	;;#ASMSTART
	v_dot2c_f32_f16 v49, v44, v24
	;;#ASMEND
	;;#ASMSTART
	v_dot2c_f32_f16 v60, v36, v24
	;;#ASMEND
	s_nop 0
	;;#ASMSTART
	v_dot2c_f32_f16 v49, v45, v25
	;;#ASMEND
	;;#ASMSTART
	v_dot2c_f32_f16 v60, v37, v25
	;;#ASMEND
	s_nop 0
	;;#ASMSTART
	v_dot2c_f32_f16 v49, v46, v26
	;;#ASMEND
	;;#ASMSTART
	v_dot2c_f32_f16 v60, v38, v26
	;;#ASMEND
	s_nop 0
	;;#ASMSTART
	v_dot2c_f32_f16 v49, v47, v27
	;;#ASMEND
	;;#ASMSTART
	v_dot2c_f32_f16 v60, v39, v27
	;;#ASMEND
	s_waitcnt vmcnt(2)
	;;#ASMSTART
	v_dot2c_f32_f16 v49, v40, v12
	;;#ASMEND
	;;#ASMSTART
	v_dot2c_f32_f16 v60, v32, v12
	;;#ASMEND
	s_nop 0
	;;#ASMSTART
	v_dot2c_f32_f16 v49, v41, v13
	;;#ASMEND
	;;#ASMSTART
	v_dot2c_f32_f16 v60, v33, v13
	;;#ASMEND
	s_nop 0
	;;#ASMSTART
	v_dot2c_f32_f16 v49, v42, v14
	;;#ASMEND
	;;#ASMSTART
	v_dot2c_f32_f16 v60, v34, v14
	;;#ASMEND
	s_nop 0
	;;#ASMSTART
	v_dot2c_f32_f16 v49, v43, v15
	;;#ASMEND
	;;#ASMSTART
	v_dot2c_f32_f16 v60, v35, v15
	;;#ASMEND
	s_waitcnt vmcnt(1)
	;;#ASMSTART
	v_dot2c_f32_f16 v49, v28, v4
	;;#ASMEND
	;;#ASMSTART
	v_dot2c_f32_f16 v60, v20, v4
	;;#ASMEND
	s_nop 0
	;;#ASMSTART
	v_dot2c_f32_f16 v49, v29, v5
	;;#ASMEND
	;;#ASMSTART
	v_dot2c_f32_f16 v60, v21, v5
	;;#ASMEND
	s_nop 0
	;;#ASMSTART
	v_dot2c_f32_f16 v49, v30, v6
	;;#ASMEND
	;;#ASMSTART
	v_dot2c_f32_f16 v60, v22, v6
	;;#ASMEND
	s_nop 0
	;;#ASMSTART
	v_dot2c_f32_f16 v49, v31, v7
	;;#ASMEND
	;;#ASMSTART
	v_dot2c_f32_f16 v60, v23, v7
	;;#ASMEND
	s_waitcnt vmcnt(0)
	;;#ASMSTART
	v_dot2c_f32_f16 v49, v16, v0
	;;#ASMEND
	;;#ASMSTART
	v_dot2c_f32_f16 v60, v8, v0
	;;#ASMEND
	s_nop 0
	;;#ASMSTART
	v_dot2c_f32_f16 v49, v17, v1
	;;#ASMEND
	;;#ASMSTART
	v_dot2c_f32_f16 v60, v9, v1
	;;#ASMEND
	s_nop 0
	;; [unrolled: 7-line block ×3, first 2 shown]
	;;#ASMSTART
	v_dot2c_f32_f16 v49, v19, v3
	;;#ASMEND
	;;#ASMSTART
	v_dot2c_f32_f16 v60, v11, v3
	;;#ASMEND
.LBB40_13:                              ;   in Loop: Header=BB40_14 Depth=2
	s_or_b64 exec, exec, s[8:9]
	s_addk_i32 s47, 0x400
	s_cmp_ge_u32 s47, s20
	s_cbranch_scc1 .LBB40_28
.LBB40_14:                              ;   Parent Loop BB40_7 Depth=1
                                        ; =>  This Loop Header: Depth=2
                                        ;       Child Loop BB40_19 Depth 3
	s_cmp_eq_u32 s47, 0
	s_cselect_b64 s[8:9], -1, 0
	s_add_i32 s28, s46, s38
	s_cmp_eq_u32 s47, s28
	s_cselect_b64 s[30:31], -1, 0
	s_or_b64 s[30:31], s[8:9], s[30:31]
	s_andn2_b64 vcc, exec, s[30:31]
	s_cbranch_vccz .LBB40_16
; %bb.15:                               ;   in Loop: Header=BB40_14 Depth=2
	s_and_saveexec_b64 s[8:9], s[6:7]
	s_cbranch_execz .LBB40_13
	s_branch .LBB40_23
.LBB40_16:                              ;   in Loop: Header=BB40_14 Depth=2
	s_and_b64 s[8:9], s[8:9], exec
	s_cselect_b32 s46, s46, s28
	s_and_b64 vcc, exec, s[4:5]
	s_waitcnt lgkmcnt(0)
	s_barrier
	s_cbranch_vccnz .LBB40_22
; %bb.17:                               ;   in Loop: Header=BB40_14 Depth=2
	v_add_u32_e32 v0, s46, v59
	v_add_u32_e32 v1, s46, v58
	s_mov_b32 s34, 0
	s_mov_b64 s[28:29], 0
	v_mov_b32_e32 v2, v57
                                        ; implicit-def: $sgpr30_sgpr31
	s_branch .LBB40_19
.LBB40_18:                              ;   in Loop: Header=BB40_19 Depth=3
	s_or_b64 exec, exec, s[8:9]
	s_and_b64 s[8:9], exec, s[30:31]
	s_or_b64 s[28:29], s[8:9], s[28:29]
	s_andn2_b64 exec, exec, s[28:29]
	s_cbranch_execz .LBB40_21
.LBB40_19:                              ;   Parent Loop BB40_7 Depth=1
                                        ;     Parent Loop BB40_14 Depth=2
                                        ; =>    This Inner Loop Header: Depth=3
	v_add_u32_e32 v3, s34, v58
	v_add_u32_e32 v50, s34, v1
	v_cmp_gt_u32_e32 vcc, s22, v50
	v_cmp_gt_u32_e64 s[8:9], s38, v3
	s_and_b64 s[36:37], s[8:9], vcc
	s_or_b64 s[30:31], s[30:31], exec
	s_and_saveexec_b64 s[8:9], s[36:37]
	s_cbranch_execz .LBB40_18
; %bb.20:                               ;   in Loop: Header=BB40_19 Depth=3
	s_waitcnt vmcnt(0)
	v_lshl_add_u64 v[4:5], v[50:51], 1, s[16:17]
	v_add_u32_e32 v50, s34, v0
	global_load_dwordx4 v[4:7], v[4:5], off
	v_lshl_add_u64 v[8:9], v[50:51], 1, s[16:17]
	global_load_dwordx4 v[8:11], v[8:9], off
	s_add_i32 s34, s34, s39
	s_cmp_ge_u32 s34, s38
	s_cselect_b64 s[36:37], -1, 0
	s_andn2_b64 s[30:31], s[30:31], exec
	s_and_b64 s[36:37], s[36:37], exec
	v_add_u32_e32 v3, s44, v2
	s_or_b64 s[30:31], s[30:31], s[36:37]
	s_waitcnt vmcnt(1)
	ds_write_b128 v2, v[4:7]
	v_add_u32_e32 v2, s45, v2
	s_waitcnt vmcnt(0)
	ds_write2_b64 v3, v[8:9], v[10:11] offset1:1
	s_branch .LBB40_18
.LBB40_21:                              ;   in Loop: Header=BB40_14 Depth=2
	s_or_b64 exec, exec, s[28:29]
.LBB40_22:                              ;   in Loop: Header=BB40_14 Depth=2
	s_waitcnt lgkmcnt(0)
	s_barrier
	s_and_saveexec_b64 s[8:9], s[6:7]
	s_cbranch_execz .LBB40_13
.LBB40_23:                              ;   in Loop: Header=BB40_14 Depth=2
	v_add_u32_e32 v63, s47, v55
	v_min_u32_e32 v50, s40, v63
	v_add_u32_e32 v64, 0x100, v63
	v_lshl_add_u64 v[0:1], v[50:51], 1, v[52:53]
	v_min_u32_e32 v50, s40, v64
	v_add_u32_e32 v62, 0x200, v63
	v_lshl_add_u64 v[2:3], v[50:51], 1, v[52:53]
	;; [unrolled: 3-line block ×3, first 2 shown]
	v_min_u32_e32 v50, s40, v61
	global_load_dwordx4 v[24:27], v[0:1], off nt
	global_load_dwordx4 v[12:15], v[2:3], off nt
	v_lshl_add_u64 v[10:11], v[50:51], 1, v[52:53]
	global_load_dwordx4 v[4:7], v[8:9], off nt
	global_load_dwordx4 v[0:3], v[10:11], off nt
	v_cmp_gt_u32_e32 vcc, s20, v63
	v_mov_b32_e32 v46, 0
	v_mov_b32_e32 v47, 0
	v_mov_b32_e32 v36, 0
	v_mov_b32_e32 v37, 0
	v_mov_b32_e32 v38, 0
	v_mov_b32_e32 v39, 0
	v_mov_b32_e32 v44, 0
	v_mov_b32_e32 v45, 0
	v_mov_b32_e32 v40, 0
	v_mov_b32_e32 v41, 0
	v_mov_b32_e32 v42, 0
	v_mov_b32_e32 v43, 0
	v_mov_b32_e32 v32, 0
	v_mov_b32_e32 v33, 0
	v_mov_b32_e32 v34, 0
	v_mov_b32_e32 v35, 0
	v_mov_b32_e32 v28, 0
	v_mov_b32_e32 v29, 0
	v_mov_b32_e32 v30, 0
	v_mov_b32_e32 v31, 0
	v_mov_b32_e32 v20, 0
	v_mov_b32_e32 v21, 0
	v_mov_b32_e32 v22, 0
	v_mov_b32_e32 v23, 0
	v_mov_b32_e32 v16, 0
	v_mov_b32_e32 v17, 0
	v_mov_b32_e32 v18, 0
	v_mov_b32_e32 v19, 0
	v_mov_b32_e32 v8, 0
	v_mov_b32_e32 v9, 0
	v_mov_b32_e32 v10, 0
	v_mov_b32_e32 v11, 0
	s_and_saveexec_b64 s[28:29], vcc
	s_cbranch_execz .LBB40_12
; %bb.24:                               ;   in Loop: Header=BB40_14 Depth=2
	v_subrev_u32_e32 v8, s46, v63
	v_lshlrev_b32_e32 v63, 1, v8
	v_lshl_add_u32 v50, s38, 1, v63
	ds_read_b128 v[44:47], v63
	ds_read_b128 v[36:39], v50
	v_cmp_gt_u32_e32 vcc, s20, v64
	v_mov_b32_e32 v11, 0
	v_mov_b32_e32 v10, 0
	;; [unrolled: 1-line block ×24, first 2 shown]
	s_and_saveexec_b64 s[30:31], vcc
	s_cbranch_execz .LBB40_11
; %bb.25:                               ;   in Loop: Header=BB40_14 Depth=2
	ds_read_b128 v[40:43], v63 offset:512
	ds_read_b128 v[32:35], v50 offset:512
	v_cmp_gt_u32_e32 vcc, s20, v62
	v_mov_b32_e32 v11, 0
	v_mov_b32_e32 v10, 0
	;; [unrolled: 1-line block ×16, first 2 shown]
	s_and_saveexec_b64 s[34:35], vcc
	s_cbranch_execz .LBB40_10
; %bb.26:                               ;   in Loop: Header=BB40_14 Depth=2
	ds_read_b128 v[28:31], v63 offset:1024
	ds_read_b128 v[20:23], v50 offset:1024
	v_cmp_gt_u32_e32 vcc, s20, v61
	v_mov_b32_e32 v11, 0
	v_mov_b32_e32 v10, 0
	;; [unrolled: 1-line block ×8, first 2 shown]
	s_and_saveexec_b64 s[36:37], vcc
	s_cbranch_execz .LBB40_9
; %bb.27:                               ;   in Loop: Header=BB40_14 Depth=2
	ds_read_b128 v[16:19], v63 offset:1536
	ds_read_b128 v[8:11], v50 offset:1536
	s_branch .LBB40_9
.LBB40_28:                              ;   in Loop: Header=BB40_7 Depth=1
	v_cmp_le_u32_e32 vcc, s23, v48
                                        ; implicit-def: $vgpr0
	s_and_saveexec_b64 s[6:7], vcc
	s_xor_b64 s[6:7], exec, s[6:7]
; %bb.29:                               ;   in Loop: Header=BB40_7 Depth=1
	v_add_u32_e32 v0, s42, v48
                                        ; implicit-def: $vgpr48
                                        ; implicit-def: $vgpr49
                                        ; implicit-def: $vgpr60
; %bb.30:                               ;   in Loop: Header=BB40_7 Depth=1
	s_andn2_saveexec_b64 s[8:9], s[6:7]
	s_cbranch_execz .LBB40_6
; %bb.31:                               ;   in Loop: Header=BB40_7 Depth=1
	v_cvt_i32_f32_e32 v0, v49
	v_cvt_i32_f32_e32 v1, v60
	s_nop 0
	v_cvt_f32_i32_dpp v0, v0 row_shr:8 row_mask:0xf bank_mask:0xf bound_ctrl:1
	v_cvt_f32_i32_dpp v1, v1 row_shr:8 row_mask:0xf bank_mask:0xf bound_ctrl:1
	v_add_f32_e32 v0, v49, v0
	v_add_f32_e32 v1, v60, v1
	v_cvt_i32_f32_e32 v2, v0
	v_cvt_i32_f32_e32 v3, v1
	s_nop 0
	v_cvt_f32_i32_dpp v2, v2 row_shr:4 row_mask:0xf bank_mask:0xf bound_ctrl:1
	v_cvt_f32_i32_dpp v3, v3 row_shr:4 row_mask:0xf bank_mask:0xf bound_ctrl:1
	v_add_f32_e32 v0, v0, v2
	v_add_f32_e32 v1, v1, v3
	;; [unrolled: 7-line block ×4, first 2 shown]
	v_cvt_i32_f32_e32 v2, v0
	v_cvt_i32_f32_e32 v3, v1
	s_nop 0
	v_cvt_f32_i32_dpp v2, v2 row_bcast:15 row_mask:0xf bank_mask:0xf bound_ctrl:1
	v_cvt_f32_i32_dpp v3, v3 row_bcast:15 row_mask:0xf bank_mask:0xf bound_ctrl:1
	v_add_f32_e32 v0, v0, v2
	v_add_f32_e32 v1, v1, v3
	v_cvt_i32_f32_e32 v2, v0
	s_waitcnt vmcnt(0)
	v_cvt_i32_f32_e32 v4, v1
	v_mov_b32_dpp v3, v2 row_bcast:31 row_mask:0xf bank_mask:0xf bound_ctrl:1
	s_nop 0
	v_mov_b32_dpp v2, v4 row_bcast:31 row_mask:0xf bank_mask:0xf bound_ctrl:1
	s_and_saveexec_b64 s[6:7], s[0:1]
	s_cbranch_execz .LBB40_36
; %bb.32:                               ;   in Loop: Header=BB40_7 Depth=1
	s_andn2_b64 vcc, exec, s[26:27]
	v_mov_b32_e32 v4, 0
	v_mov_b32_e32 v5, 0
	s_cbranch_vccnz .LBB40_34
; %bb.33:                               ;   in Loop: Header=BB40_7 Depth=1
	v_mul_hi_u32 v4, v48, v56
	v_mul_lo_u32 v4, v4, s12
	v_sub_u32_e32 v4, v48, v4
	v_subrev_u32_e32 v5, s12, v4
	v_cmp_le_u32_e32 vcc, s12, v4
	s_nop 1
	v_cndmask_b32_e32 v4, v4, v5, vcc
	v_subrev_u32_e32 v5, s12, v4
	v_cmp_le_u32_e32 vcc, s12, v4
	s_nop 1
	v_cndmask_b32_e32 v50, v4, v5, vcc
	v_lshl_add_u64 v[6:7], v[50:51], 1, s[18:19]
	v_add_u32_e32 v50, s13, v50
	v_lshl_add_u64 v[8:9], v[50:51], 1, s[18:19]
	global_load_ushort v5, v[6:7], off
	global_load_ushort v4, v[8:9], off
.LBB40_34:                              ;   in Loop: Header=BB40_7 Depth=1
	v_cmp_ne_u32_e32 vcc, 0, v54
	s_and_b64 exec, exec, vcc
	s_cbranch_execz .LBB40_36
; %bb.35:                               ;   in Loop: Header=BB40_7 Depth=1
	v_cvt_f32_i32_e32 v3, v3
	v_cvt_f32_i32_e32 v2, v2
	s_waitcnt vmcnt(1)
	v_cvt_f32_f16_e32 v5, v5
	v_mov_b32_e32 v49, v51
	v_add_f32_e32 v0, v0, v3
	s_waitcnt vmcnt(0)
	v_cvt_f32_f16_e32 v3, v4
	v_add_f32_e32 v2, v1, v2
	v_add_f32_e32 v0, v0, v5
	v_cvt_f16_f32_e32 v4, v0
	v_add_f32_e32 v2, v2, v3
	v_cvt_f16_f32_e32 v2, v2
	s_waitcnt lgkmcnt(0)
	v_lshl_add_u64 v[0:1], v[48:49], 1, s[10:11]
	v_add_u32_e32 v50, s23, v48
	global_store_short v[0:1], v4, off
	v_lshl_add_u64 v[0:1], v[50:51], 1, s[10:11]
	global_store_short v[0:1], v2, off
.LBB40_36:                              ;   in Loop: Header=BB40_7 Depth=1
	s_or_b64 exec, exec, s[6:7]
	v_add_u32_e32 v0, s42, v48
	v_add_u32_e32 v1, 1, v0
	v_cmp_gt_u32_e32 vcc, s23, v0
	v_cmp_le_u32_e64 s[6:7], s23, v1
	s_and_b64 s[28:29], vcc, s[6:7]
	s_and_saveexec_b64 s[6:7], s[28:29]
	s_cbranch_execz .LBB40_5
; %bb.37:                               ;   in Loop: Header=BB40_7 Depth=1
	v_add_u32_e32 v0, s43, v48
	v_cmp_eq_u32_e32 vcc, 1, v0
	v_mov_b32_e32 v0, s41
	s_nop 0
	v_cndmask_b32_e32 v54, 0, v54, vcc
	s_branch .LBB40_5
.LBB40_38:
	s_endpgm
	.section	.rodata,"a",@progbits
	.p2align	6, 0x0
	.amdhsa_kernel _Z16wvSplitK_hf_big_I6__halfLi32ELi1ELi16ELi8ELi4ELi2EEviiiiiiPKT_S3_S3_PS1_ii
		.amdhsa_group_segment_fixed_size 65536
		.amdhsa_private_segment_fixed_size 0
		.amdhsa_kernarg_size 64
		.amdhsa_user_sgpr_count 2
		.amdhsa_user_sgpr_dispatch_ptr 0
		.amdhsa_user_sgpr_queue_ptr 0
		.amdhsa_user_sgpr_kernarg_segment_ptr 1
		.amdhsa_user_sgpr_dispatch_id 0
		.amdhsa_user_sgpr_kernarg_preload_length 0
		.amdhsa_user_sgpr_kernarg_preload_offset 0
		.amdhsa_user_sgpr_private_segment_size 0
		.amdhsa_uses_dynamic_stack 0
		.amdhsa_enable_private_segment 0
		.amdhsa_system_sgpr_workgroup_id_x 1
		.amdhsa_system_sgpr_workgroup_id_y 0
		.amdhsa_system_sgpr_workgroup_id_z 0
		.amdhsa_system_sgpr_workgroup_info 0
		.amdhsa_system_vgpr_workitem_id 1
		.amdhsa_next_free_vgpr 65
		.amdhsa_next_free_sgpr 48
		.amdhsa_accum_offset 68
		.amdhsa_reserve_vcc 1
		.amdhsa_float_round_mode_32 0
		.amdhsa_float_round_mode_16_64 0
		.amdhsa_float_denorm_mode_32 3
		.amdhsa_float_denorm_mode_16_64 3
		.amdhsa_dx10_clamp 1
		.amdhsa_ieee_mode 1
		.amdhsa_fp16_overflow 0
		.amdhsa_tg_split 0
		.amdhsa_exception_fp_ieee_invalid_op 0
		.amdhsa_exception_fp_denorm_src 0
		.amdhsa_exception_fp_ieee_div_zero 0
		.amdhsa_exception_fp_ieee_overflow 0
		.amdhsa_exception_fp_ieee_underflow 0
		.amdhsa_exception_fp_ieee_inexact 0
		.amdhsa_exception_int_div_zero 0
	.end_amdhsa_kernel
	.section	.text._Z16wvSplitK_hf_big_I6__halfLi32ELi1ELi16ELi8ELi4ELi2EEviiiiiiPKT_S3_S3_PS1_ii,"axG",@progbits,_Z16wvSplitK_hf_big_I6__halfLi32ELi1ELi16ELi8ELi4ELi2EEviiiiiiPKT_S3_S3_PS1_ii,comdat
.Lfunc_end40:
	.size	_Z16wvSplitK_hf_big_I6__halfLi32ELi1ELi16ELi8ELi4ELi2EEviiiiiiPKT_S3_S3_PS1_ii, .Lfunc_end40-_Z16wvSplitK_hf_big_I6__halfLi32ELi1ELi16ELi8ELi4ELi2EEviiiiiiPKT_S3_S3_PS1_ii
                                        ; -- End function
	.section	.AMDGPU.csdata,"",@progbits
; Kernel info:
; codeLenInByte = 2276
; NumSgprs: 54
; NumVgprs: 65
; NumAgprs: 0
; TotalNumVgprs: 65
; ScratchSize: 0
; MemoryBound: 0
; FloatMode: 240
; IeeeMode: 1
; LDSByteSize: 65536 bytes/workgroup (compile time only)
; SGPRBlocks: 6
; VGPRBlocks: 8
; NumSGPRsForWavesPerEU: 54
; NumVGPRsForWavesPerEU: 65
; AccumOffset: 68
; Occupancy: 2
; WaveLimiterHint : 0
; COMPUTE_PGM_RSRC2:SCRATCH_EN: 0
; COMPUTE_PGM_RSRC2:USER_SGPR: 2
; COMPUTE_PGM_RSRC2:TRAP_HANDLER: 0
; COMPUTE_PGM_RSRC2:TGID_X_EN: 1
; COMPUTE_PGM_RSRC2:TGID_Y_EN: 0
; COMPUTE_PGM_RSRC2:TGID_Z_EN: 0
; COMPUTE_PGM_RSRC2:TIDIG_COMP_CNT: 1
; COMPUTE_PGM_RSRC3_GFX90A:ACCUM_OFFSET: 16
; COMPUTE_PGM_RSRC3_GFX90A:TG_SPLIT: 0
	.section	.text._Z16wvSplitK_hf_sml_I6__halfLi32ELi2ELi16ELi8ELi2ELi2EEviiiiiiPKT_S3_S3_PS1_ii,"axG",@progbits,_Z16wvSplitK_hf_sml_I6__halfLi32ELi2ELi16ELi8ELi2ELi2EEviiiiiiPKT_S3_S3_PS1_ii,comdat
	.protected	_Z16wvSplitK_hf_sml_I6__halfLi32ELi2ELi16ELi8ELi2ELi2EEviiiiiiPKT_S3_S3_PS1_ii ; -- Begin function _Z16wvSplitK_hf_sml_I6__halfLi32ELi2ELi16ELi8ELi2ELi2EEviiiiiiPKT_S3_S3_PS1_ii
	.globl	_Z16wvSplitK_hf_sml_I6__halfLi32ELi2ELi16ELi8ELi2ELi2EEviiiiiiPKT_S3_S3_PS1_ii
	.p2align	8
	.type	_Z16wvSplitK_hf_sml_I6__halfLi32ELi2ELi16ELi8ELi2ELi2EEviiiiiiPKT_S3_S3_PS1_ii,@function
_Z16wvSplitK_hf_sml_I6__halfLi32ELi2ELi16ELi8ELi2ELi2EEviiiiiiPKT_S3_S3_PS1_ii: ; @_Z16wvSplitK_hf_sml_I6__halfLi32ELi2ELi16ELi8ELi2ELi2EEviiiiiiPKT_S3_S3_PS1_ii
; %bb.0:
	s_load_dwordx4 s[4:7], s[0:1], 0x0
	v_and_b32_e32 v4, 0x3ff, v0
	v_bfe_u32 v5, v0, 10, 10
	v_lshlrev_b32_e32 v40, 3, v4
	v_lshl_add_u32 v6, v5, 8, v40
	s_waitcnt lgkmcnt(0)
	s_lshl_b32 s6, s6, 1
	s_min_u32 s3, s6, 0x8000
	v_cmp_gt_u32_e32 vcc, s3, v6
	s_and_saveexec_b64 s[8:9], vcc
	s_cbranch_execz .LBB41_9
; %bb.1:
	s_load_dwordx2 s[10:11], s[0:1], 0x20
	v_lshlrev_b32_e32 v0, 1, v6
	v_add_u32_e32 v1, 0x1000, v6
	v_cmp_gt_u32_e32 vcc, s3, v1
	s_waitcnt lgkmcnt(0)
	global_load_dwordx4 v[8:11], v0, s[10:11]
	s_waitcnt vmcnt(0)
	ds_write_b128 v0, v[8:11]
	s_and_saveexec_b64 s[12:13], vcc
	s_xor_b64 s[12:13], exec, s[12:13]
	s_cbranch_execz .LBB41_9
; %bb.2:
	v_mov_b32_e32 v1, 0
	v_lshl_add_u64 v[2:3], s[10:11], 0, v[0:1]
	v_add_co_u32_e32 v8, vcc, 0x2000, v2
	v_add_u32_e32 v1, 0x2000, v6
	s_nop 0
	v_addc_co_u32_e32 v9, vcc, 0, v3, vcc
	global_load_dwordx4 v[8:11], v[8:9], off
	v_cmp_gt_u32_e32 vcc, s3, v1
	s_waitcnt vmcnt(0)
	ds_write_b128 v0, v[8:11] offset:8192
	s_and_saveexec_b64 s[10:11], vcc
	s_xor_b64 s[10:11], exec, s[10:11]
	s_cbranch_execz .LBB41_9
; %bb.3:
	v_add_co_u32_e32 v8, vcc, 0x4000, v2
	v_add_u32_e32 v1, 0x3000, v6
	s_nop 0
	v_addc_co_u32_e32 v9, vcc, 0, v3, vcc
	global_load_dwordx4 v[8:11], v[8:9], off
	v_cmp_gt_u32_e32 vcc, s3, v1
	s_waitcnt vmcnt(0)
	ds_write_b128 v0, v[8:11] offset:16384
	s_and_saveexec_b64 s[10:11], vcc
	s_xor_b64 s[10:11], exec, s[10:11]
	s_cbranch_execz .LBB41_9
; %bb.4:
	;; [unrolled: 12-line block ×6, first 2 shown]
	v_add_co_u32_e32 v2, vcc, 0xe000, v2
	s_nop 1
	v_addc_co_u32_e32 v3, vcc, 0, v3, vcc
	global_load_dwordx4 v[6:9], v[2:3], off
	s_waitcnt vmcnt(0)
	ds_write_b128 v0, v[6:9] offset:57344
.LBB41_9:
	s_or_b64 exec, exec, s[8:9]
	s_load_dwordx2 s[16:17], s[0:1], 0x38
	s_waitcnt lgkmcnt(0)
	s_barrier
	v_cmp_gt_u32_e32 vcc, s16, v5
	s_and_saveexec_b64 s[8:9], vcc
	s_cbranch_execz .LBB41_26
; %bb.10:
	s_load_dwordx2 s[12:13], s[0:1], 0x10
	s_mul_i32 s2, s2, s16
	v_add_lshl_u32 v32, s2, v5, 1
	v_cmp_gt_u32_e32 vcc, s7, v32
	s_and_b64 exec, exec, vcc
	s_cbranch_execz .LBB41_26
; %bb.11:
	s_waitcnt lgkmcnt(0)
	v_cvt_f32_u32_e32 v0, s12
	s_load_dwordx4 s[8:11], s[0:1], 0x28
	s_load_dwordx2 s[14:15], s[0:1], 0x18
	s_cmp_lg_u32 s4, 0
	s_cselect_b64 s[2:3], -1, 0
	v_rcp_iflag_f32_e32 v0, v0
	s_add_i32 s24, s4, -8
	s_add_i32 s25, s7, -1
	s_mul_i32 s20, s16, s17
	v_mul_f32_e32 v0, 0x4f7ffffe, v0
	v_cvt_u32_f32_e32 v0, v0
	s_waitcnt lgkmcnt(0)
	s_cmp_lg_u64 s[8:9], 0
	s_cselect_b64 s[18:19], -1, 0
	s_lshl_b32 s26, s20, 1
	s_sub_i32 s20, 0, s12
	s_abs_i32 s13, s13
	v_mul_lo_u32 v1, s20, v0
	s_sub_i32 s20, 1, s13
	s_cmp_lt_u32 s13, 2
	s_cselect_b32 s20, s20, 1
	s_sub_i32 s21, s20, s13
	v_mul_hi_u32 v1, v0, v1
	s_cmp_ge_u32 s20, s13
	v_add_u32_e32 v41, v0, v1
	s_cselect_b32 s13, s21, s20
	v_cndmask_b32_e64 v0, 0, 1, s[2:3]
	v_cmp_eq_u32_e64 s[0:1], 31, v4
	s_mov_b64 s[16:17], 0
	v_mov_b32_e32 v35, 0
	s_mul_i32 s13, s13, s12
	v_lshlrev_b32_e32 v42, 4, v4
	v_cmp_ne_u32_e64 s[2:3], 1, v0
	s_branch .LBB41_14
.LBB41_12:                              ;   in Loop: Header=BB41_14 Depth=1
	v_cvt_f32_i32_e32 v6, v6
	v_cvt_f32_i32_e32 v7, v7
	s_waitcnt vmcnt(3)
	v_cvt_f32_f16_e32 v11, v11
	v_cvt_f32_i32_e32 v5, v5
	v_add_f32_e32 v3, v3, v6
	s_waitcnt vmcnt(2)
	v_cvt_f32_f16_e32 v6, v10
	v_add_f32_e32 v0, v0, v7
	v_add_f32_e32 v0, v0, v11
	v_cvt_f16_f32_e32 v7, v0
	v_add_f32_e32 v0, v3, v6
	v_cvt_f32_i32_e32 v4, v4
	v_cvt_f16_f32_e32 v3, v0
	v_add_f32_e32 v5, v1, v5
	v_lshl_add_u64 v[0:1], v[32:33], 1, s[10:11]
	v_add_f32_e32 v2, v2, v4
	v_pack_b32_f16 v3, v7, v3
	s_waitcnt vmcnt(1)
	v_cvt_f32_f16_e32 v4, v9
	global_store_dword v[0:1], v3, off
	s_waitcnt vmcnt(1)
	v_cvt_f32_f16_e32 v3, v8
	v_add_u32_e32 v34, s7, v32
	v_add_f32_e32 v0, v5, v4
	v_cvt_f16_f32_e32 v4, v0
	v_add_f32_e32 v2, v2, v3
	v_cvt_f16_f32_e32 v2, v2
	v_lshl_add_u64 v[0:1], v[34:35], 1, s[10:11]
	v_add_u32_e32 v34, 1, v34
	global_store_short v[0:1], v4, off
	v_lshl_add_u64 v[0:1], v[34:35], 1, s[10:11]
	global_store_short v[0:1], v2, off
.LBB41_13:                              ;   in Loop: Header=BB41_14 Depth=1
	s_or_b64 exec, exec, s[20:21]
	v_add_u32_e32 v32, s26, v32
	v_cmp_le_u32_e32 vcc, s7, v32
	s_or_b64 s[16:17], vcc, s[16:17]
	s_andn2_b64 exec, exec, s[16:17]
	s_cbranch_execz .LBB41_26
.LBB41_14:                              ; =>This Loop Header: Depth=1
                                        ;     Child Loop BB41_18 Depth 2
	s_mov_b32 s27, 0
	s_and_b64 vcc, exec, s[2:3]
	v_mov_b32_e32 v45, v35
	v_mov_b32_e32 v44, v35
	;; [unrolled: 1-line block ×4, first 2 shown]
	s_cbranch_vccnz .LBB41_21
; %bb.15:                               ;   in Loop: Header=BB41_14 Depth=1
	v_min_u32_e32 v0, s25, v32
	v_mul_lo_u32 v34, v0, s5
	v_or_b32_e32 v0, 1, v32
	v_min_u32_e32 v0, s25, v0
	v_mul_lo_u32 v0, v0, s5
	v_mov_b32_e32 v1, v35
	v_mov_b32_e32 v33, 0
	v_lshlrev_b64 v[36:37], 1, v[34:35]
	v_lshlrev_b64 v[38:39], 1, v[0:1]
	v_mov_b32_e32 v46, v42
	v_mov_b32_e32 v43, 0
	;; [unrolled: 1-line block ×4, first 2 shown]
	s_branch .LBB41_18
.LBB41_16:                              ;   in Loop: Header=BB41_18 Depth=2
	s_or_b64 exec, exec, s[22:23]
.LBB41_17:                              ;   in Loop: Header=BB41_18 Depth=2
	s_or_b64 exec, exec, s[20:21]
	s_waitcnt vmcnt(3) lgkmcnt(1)
	;;#ASMSTART
	v_dot2c_f32_f16 v45, v28, v20
	;;#ASMEND
	s_waitcnt vmcnt(2)
	;;#ASMSTART
	v_dot2c_f32_f16 v44, v28, v12
	;;#ASMEND
	s_waitcnt lgkmcnt(0)
	;;#ASMSTART
	v_dot2c_f32_f16 v43, v24, v20
	;;#ASMEND
	;;#ASMSTART
	v_dot2c_f32_f16 v33, v24, v12
	;;#ASMEND
	s_addk_i32 s27, 0x200
	;;#ASMSTART
	v_dot2c_f32_f16 v45, v29, v21
	;;#ASMEND
	;;#ASMSTART
	v_dot2c_f32_f16 v44, v29, v13
	;;#ASMEND
	;; [unrolled: 3-line block ×4, first 2 shown]
	s_cmp_ge_u32 s27, s4
	;;#ASMSTART
	v_dot2c_f32_f16 v45, v30, v22
	;;#ASMEND
	;;#ASMSTART
	v_dot2c_f32_f16 v44, v30, v14
	;;#ASMEND
	;; [unrolled: 3-line block ×4, first 2 shown]
	v_add_u32_e32 v46, 0x400, v46
	;;#ASMSTART
	v_dot2c_f32_f16 v45, v31, v23
	;;#ASMEND
	;;#ASMSTART
	v_dot2c_f32_f16 v44, v31, v15
	;;#ASMEND
	;;#ASMSTART
	v_dot2c_f32_f16 v43, v27, v23
	;;#ASMEND
	;;#ASMSTART
	v_dot2c_f32_f16 v33, v27, v15
	;;#ASMEND
	s_waitcnt vmcnt(1)
	;;#ASMSTART
	v_dot2c_f32_f16 v45, v16, v4
	;;#ASMEND
	s_waitcnt vmcnt(0)
	;;#ASMSTART
	v_dot2c_f32_f16 v44, v16, v0
	;;#ASMEND
	;;#ASMSTART
	v_dot2c_f32_f16 v43, v8, v4
	;;#ASMEND
	;;#ASMSTART
	v_dot2c_f32_f16 v33, v8, v0
	;;#ASMEND
	;;#ASMSTART
	v_dot2c_f32_f16 v45, v17, v5
	;;#ASMEND
	s_nop 0
	;;#ASMSTART
	v_dot2c_f32_f16 v44, v17, v1
	;;#ASMEND
	;;#ASMSTART
	v_dot2c_f32_f16 v43, v9, v5
	;;#ASMEND
	;;#ASMSTART
	v_dot2c_f32_f16 v33, v9, v1
	;;#ASMEND
	;;#ASMSTART
	v_dot2c_f32_f16 v45, v18, v6
	;;#ASMEND
	s_nop 0
	;; [unrolled: 13-line block ×3, first 2 shown]
	;;#ASMSTART
	v_dot2c_f32_f16 v44, v19, v3
	;;#ASMEND
	;;#ASMSTART
	v_dot2c_f32_f16 v43, v11, v7
	;;#ASMEND
	;; [unrolled: 3-line block ×3, first 2 shown]
	s_cbranch_scc1 .LBB41_21
.LBB41_18:                              ;   Parent Loop BB41_14 Depth=1
                                        ; =>  This Inner Loop Header: Depth=2
	v_add_u32_e32 v16, s27, v40
	v_min_u32_e32 v34, s24, v16
	v_lshl_add_u64 v[0:1], v[34:35], 1, s[14:15]
	v_add_u32_e32 v47, 0x100, v16
	v_lshl_add_u64 v[2:3], v[0:1], 0, v[36:37]
	v_lshl_add_u64 v[0:1], v[0:1], 0, v[38:39]
	v_min_u32_e32 v34, s24, v47
	global_load_dwordx4 v[20:23], v[2:3], off nt
	global_load_dwordx4 v[12:15], v[0:1], off nt
	v_lshl_add_u64 v[0:1], v[34:35], 1, s[14:15]
	v_lshl_add_u64 v[8:9], v[0:1], 0, v[36:37]
	;; [unrolled: 1-line block ×3, first 2 shown]
	global_load_dwordx4 v[4:7], v[8:9], off nt
	global_load_dwordx4 v[0:3], v[10:11], off nt
	v_cmp_gt_u32_e32 vcc, s4, v16
	v_mov_b32_e32 v28, 0
	v_mov_b32_e32 v29, 0
	;; [unrolled: 1-line block ×16, first 2 shown]
	s_and_saveexec_b64 s[20:21], vcc
	s_cbranch_execz .LBB41_17
; %bb.19:                               ;   in Loop: Header=BB41_18 Depth=2
	v_add_u32_e32 v34, s6, v46
	ds_read_b128 v[28:31], v46
	ds_read_b128 v[24:27], v34
	v_cmp_gt_u32_e32 vcc, s4, v47
	v_mov_b32_e32 v11, 0
	v_mov_b32_e32 v10, 0
	;; [unrolled: 1-line block ×8, first 2 shown]
	s_and_saveexec_b64 s[22:23], vcc
	s_cbranch_execz .LBB41_16
; %bb.20:                               ;   in Loop: Header=BB41_18 Depth=2
	ds_read_b128 v[16:19], v46 offset:512
	ds_read_b128 v[8:11], v34 offset:512
	s_branch .LBB41_16
.LBB41_21:                              ;   in Loop: Header=BB41_14 Depth=1
	; sched_barrier mask(0x00000000)
	v_cvt_i32_f32_e32 v0, v45
	v_cvt_i32_f32_e32 v1, v44
	;; [unrolled: 1-line block ×4, first 2 shown]
	v_cvt_f32_i32_dpp v0, v0 row_shr:8 row_mask:0xf bank_mask:0xf bound_ctrl:1
	v_cvt_f32_i32_dpp v1, v1 row_shr:8 row_mask:0xf bank_mask:0xf bound_ctrl:1
	;; [unrolled: 1-line block ×4, first 2 shown]
	v_add_f32_e32 v0, v45, v0
	v_cvt_i32_f32_e32 v4, v0
	v_add_f32_e32 v1, v44, v1
	v_cvt_i32_f32_e32 v5, v1
	v_add_f32_e32 v2, v43, v2
	v_cvt_f32_i32_dpp v4, v4 row_shr:4 row_mask:0xf bank_mask:0xf bound_ctrl:1
	v_add_f32_e32 v3, v33, v3
	v_cvt_f32_i32_dpp v5, v5 row_shr:4 row_mask:0xf bank_mask:0xf bound_ctrl:1
	v_cvt_i32_f32_e32 v6, v2
	v_add_f32_e32 v0, v0, v4
	v_cvt_i32_f32_e32 v4, v0
	v_cvt_i32_f32_e32 v7, v3
	v_add_f32_e32 v1, v1, v5
	v_cvt_i32_f32_e32 v5, v1
	v_cvt_f32_i32_dpp v4, v4 row_shr:2 row_mask:0xf bank_mask:0xf bound_ctrl:1
	v_cvt_f32_i32_dpp v6, v6 row_shr:4 row_mask:0xf bank_mask:0xf bound_ctrl:1
	v_cvt_f32_i32_dpp v7, v7 row_shr:4 row_mask:0xf bank_mask:0xf bound_ctrl:1
	v_cvt_f32_i32_dpp v5, v5 row_shr:2 row_mask:0xf bank_mask:0xf bound_ctrl:1
	v_add_f32_e32 v0, v0, v4
	v_cvt_i32_f32_e32 v4, v0
	v_add_f32_e32 v2, v2, v6
	v_add_f32_e32 v3, v3, v7
	v_cvt_i32_f32_e32 v6, v2
	v_cvt_f32_i32_dpp v4, v4 row_shr:1 row_mask:0xf bank_mask:0xf bound_ctrl:1
	v_add_f32_e32 v1, v1, v5
	v_cvt_i32_f32_e32 v7, v3
	v_cvt_i32_f32_e32 v5, v1
	v_add_f32_e32 v0, v0, v4
	v_cvt_f32_i32_dpp v6, v6 row_shr:2 row_mask:0xf bank_mask:0xf bound_ctrl:1
	v_cvt_f32_i32_dpp v7, v7 row_shr:2 row_mask:0xf bank_mask:0xf bound_ctrl:1
	v_cvt_i32_f32_e32 v4, v0
	v_cvt_f32_i32_dpp v5, v5 row_shr:1 row_mask:0xf bank_mask:0xf bound_ctrl:1
	v_add_f32_e32 v2, v2, v6
	v_add_f32_e32 v3, v3, v7
	v_cvt_f32_i32_dpp v4, v4 row_bcast:15 row_mask:0xf bank_mask:0xf bound_ctrl:1
	v_add_f32_e32 v1, v1, v5
	v_cvt_i32_f32_e32 v5, v2
	v_cvt_i32_f32_e32 v6, v3
	v_add_f32_e32 v0, v0, v4
	v_cvt_i32_f32_e32 v7, v1
	v_cvt_f32_i32_dpp v5, v5 row_shr:1 row_mask:0xf bank_mask:0xf bound_ctrl:1
	v_cvt_f32_i32_dpp v4, v6 row_shr:1 row_mask:0xf bank_mask:0xf bound_ctrl:1
	v_cvt_i32_f32_e32 v8, v0
	v_cvt_f32_i32_dpp v6, v7 row_bcast:15 row_mask:0xf bank_mask:0xf bound_ctrl:1
	v_add_f32_e32 v2, v2, v5
	v_add_f32_e32 v4, v3, v4
	v_cvt_i32_f32_e32 v5, v2
	v_cvt_i32_f32_e32 v7, v4
	v_add_f32_e32 v3, v1, v6
	v_cvt_i32_f32_e32 v9, v3
	v_cvt_f32_i32_dpp v5, v5 row_bcast:15 row_mask:0xf bank_mask:0xf bound_ctrl:1
	v_cvt_f32_i32_dpp v6, v7 row_bcast:15 row_mask:0xf bank_mask:0xf bound_ctrl:1
	v_mov_b32_dpp v7, v8 row_bcast:31 row_mask:0xf bank_mask:0xf bound_ctrl:1
	v_add_f32_e32 v1, v2, v5
	v_add_f32_e32 v2, v4, v6
	v_cvt_i32_f32_e32 v5, v1
	v_cvt_i32_f32_e32 v4, v2
	v_mov_b32_dpp v6, v9 row_bcast:31 row_mask:0xf bank_mask:0xf bound_ctrl:1
	v_mov_b32_dpp v5, v5 row_bcast:31 row_mask:0xf bank_mask:0xf bound_ctrl:1
	;; [unrolled: 1-line block ×3, first 2 shown]
	s_and_saveexec_b64 s[20:21], s[0:1]
	s_cbranch_execz .LBB41_13
; %bb.22:                               ;   in Loop: Header=BB41_14 Depth=1
	s_and_b64 vcc, exec, s[18:19]
	s_cbranch_vccz .LBB41_24
; %bb.23:                               ;   in Loop: Header=BB41_14 Depth=1
	v_mul_hi_u32 v8, v32, v41
	v_mul_lo_u32 v8, v8, s12
	v_sub_u32_e32 v8, v32, v8
	v_subrev_u32_e32 v9, s12, v8
	v_cmp_le_u32_e32 vcc, s12, v8
	v_mov_b32_e32 v33, v35
	s_nop 0
	v_cndmask_b32_e32 v8, v8, v9, vcc
	v_subrev_u32_e32 v9, s12, v8
	v_cmp_le_u32_e32 vcc, s12, v8
	s_nop 1
	v_cndmask_b32_e32 v34, v8, v9, vcc
	v_or_b32_e32 v8, 1, v32
	v_mul_hi_u32 v9, v8, v41
	v_mul_lo_u32 v9, v9, s12
	v_sub_u32_e32 v8, v8, v9
	v_subrev_u32_e32 v9, s12, v8
	v_cmp_le_u32_e32 vcc, s12, v8
	v_lshl_add_u64 v[12:13], v[34:35], 1, s[8:9]
	v_add_u32_e32 v34, s13, v34
	v_cndmask_b32_e32 v8, v8, v9, vcc
	v_subrev_u32_e32 v9, s12, v8
	v_cmp_le_u32_e32 vcc, s12, v8
	v_lshl_add_u64 v[16:17], v[34:35], 1, s[8:9]
	s_nop 0
	v_cndmask_b32_e32 v8, v8, v9, vcc
	v_mov_b32_e32 v9, v35
	v_add_u32_e32 v34, s13, v8
	v_lshl_add_u64 v[14:15], v[8:9], 1, s[8:9]
	v_lshl_add_u64 v[18:19], v[34:35], 1, s[8:9]
	global_load_ushort v11, v[12:13], off
	global_load_ushort v10, v[14:15], off
	;; [unrolled: 1-line block ×4, first 2 shown]
	s_cbranch_execnz .LBB41_12
	s_branch .LBB41_25
.LBB41_24:                              ;   in Loop: Header=BB41_14 Depth=1
                                        ; implicit-def: $vgpr11
                                        ; implicit-def: $vgpr10
                                        ; implicit-def: $vgpr9
                                        ; implicit-def: $vgpr8
.LBB41_25:                              ;   in Loop: Header=BB41_14 Depth=1
	v_mov_b32_e32 v33, v35
	s_waitcnt vmcnt(0)
	v_mov_b32_e32 v8, 0
	v_mov_b32_e32 v9, 0
	;; [unrolled: 1-line block ×4, first 2 shown]
	s_branch .LBB41_12
.LBB41_26:
	s_endpgm
	.section	.rodata,"a",@progbits
	.p2align	6, 0x0
	.amdhsa_kernel _Z16wvSplitK_hf_sml_I6__halfLi32ELi2ELi16ELi8ELi2ELi2EEviiiiiiPKT_S3_S3_PS1_ii
		.amdhsa_group_segment_fixed_size 65536
		.amdhsa_private_segment_fixed_size 0
		.amdhsa_kernarg_size 64
		.amdhsa_user_sgpr_count 2
		.amdhsa_user_sgpr_dispatch_ptr 0
		.amdhsa_user_sgpr_queue_ptr 0
		.amdhsa_user_sgpr_kernarg_segment_ptr 1
		.amdhsa_user_sgpr_dispatch_id 0
		.amdhsa_user_sgpr_kernarg_preload_length 0
		.amdhsa_user_sgpr_kernarg_preload_offset 0
		.amdhsa_user_sgpr_private_segment_size 0
		.amdhsa_uses_dynamic_stack 0
		.amdhsa_enable_private_segment 0
		.amdhsa_system_sgpr_workgroup_id_x 1
		.amdhsa_system_sgpr_workgroup_id_y 0
		.amdhsa_system_sgpr_workgroup_id_z 0
		.amdhsa_system_sgpr_workgroup_info 0
		.amdhsa_system_vgpr_workitem_id 1
		.amdhsa_next_free_vgpr 48
		.amdhsa_next_free_sgpr 28
		.amdhsa_accum_offset 48
		.amdhsa_reserve_vcc 1
		.amdhsa_float_round_mode_32 0
		.amdhsa_float_round_mode_16_64 0
		.amdhsa_float_denorm_mode_32 3
		.amdhsa_float_denorm_mode_16_64 3
		.amdhsa_dx10_clamp 1
		.amdhsa_ieee_mode 1
		.amdhsa_fp16_overflow 0
		.amdhsa_tg_split 0
		.amdhsa_exception_fp_ieee_invalid_op 0
		.amdhsa_exception_fp_denorm_src 0
		.amdhsa_exception_fp_ieee_div_zero 0
		.amdhsa_exception_fp_ieee_overflow 0
		.amdhsa_exception_fp_ieee_underflow 0
		.amdhsa_exception_fp_ieee_inexact 0
		.amdhsa_exception_int_div_zero 0
	.end_amdhsa_kernel
	.section	.text._Z16wvSplitK_hf_sml_I6__halfLi32ELi2ELi16ELi8ELi2ELi2EEviiiiiiPKT_S3_S3_PS1_ii,"axG",@progbits,_Z16wvSplitK_hf_sml_I6__halfLi32ELi2ELi16ELi8ELi2ELi2EEviiiiiiPKT_S3_S3_PS1_ii,comdat
.Lfunc_end41:
	.size	_Z16wvSplitK_hf_sml_I6__halfLi32ELi2ELi16ELi8ELi2ELi2EEviiiiiiPKT_S3_S3_PS1_ii, .Lfunc_end41-_Z16wvSplitK_hf_sml_I6__halfLi32ELi2ELi16ELi8ELi2ELi2EEviiiiiiPKT_S3_S3_PS1_ii
                                        ; -- End function
	.section	.AMDGPU.csdata,"",@progbits
; Kernel info:
; codeLenInByte = 2236
; NumSgprs: 34
; NumVgprs: 48
; NumAgprs: 0
; TotalNumVgprs: 48
; ScratchSize: 0
; MemoryBound: 0
; FloatMode: 240
; IeeeMode: 1
; LDSByteSize: 65536 bytes/workgroup (compile time only)
; SGPRBlocks: 4
; VGPRBlocks: 5
; NumSGPRsForWavesPerEU: 34
; NumVGPRsForWavesPerEU: 48
; AccumOffset: 48
; Occupancy: 2
; WaveLimiterHint : 0
; COMPUTE_PGM_RSRC2:SCRATCH_EN: 0
; COMPUTE_PGM_RSRC2:USER_SGPR: 2
; COMPUTE_PGM_RSRC2:TRAP_HANDLER: 0
; COMPUTE_PGM_RSRC2:TGID_X_EN: 1
; COMPUTE_PGM_RSRC2:TGID_Y_EN: 0
; COMPUTE_PGM_RSRC2:TGID_Z_EN: 0
; COMPUTE_PGM_RSRC2:TIDIG_COMP_CNT: 1
; COMPUTE_PGM_RSRC3_GFX90A:ACCUM_OFFSET: 11
; COMPUTE_PGM_RSRC3_GFX90A:TG_SPLIT: 0
	.section	.text._Z12wvSplitK_hf_I6__halfLi32ELi2ELi16ELi8ELi2ELi2EEviiiiiiPKT_S3_S3_PS1_ii,"axG",@progbits,_Z12wvSplitK_hf_I6__halfLi32ELi2ELi16ELi8ELi2ELi2EEviiiiiiPKT_S3_S3_PS1_ii,comdat
	.protected	_Z12wvSplitK_hf_I6__halfLi32ELi2ELi16ELi8ELi2ELi2EEviiiiiiPKT_S3_S3_PS1_ii ; -- Begin function _Z12wvSplitK_hf_I6__halfLi32ELi2ELi16ELi8ELi2ELi2EEviiiiiiPKT_S3_S3_PS1_ii
	.globl	_Z12wvSplitK_hf_I6__halfLi32ELi2ELi16ELi8ELi2ELi2EEviiiiiiPKT_S3_S3_PS1_ii
	.p2align	8
	.type	_Z12wvSplitK_hf_I6__halfLi32ELi2ELi16ELi8ELi2ELi2EEviiiiiiPKT_S3_S3_PS1_ii,@function
_Z12wvSplitK_hf_I6__halfLi32ELi2ELi16ELi8ELi2ELi2EEviiiiiiPKT_S3_S3_PS1_ii: ; @_Z12wvSplitK_hf_I6__halfLi32ELi2ELi16ELi8ELi2ELi2EEviiiiiiPKT_S3_S3_PS1_ii
; %bb.0:
	s_load_dwordx2 s[4:5], s[0:1], 0x38
	s_load_dwordx2 s[6:7], s[0:1], 0x20
	s_load_dwordx4 s[8:11], s[0:1], 0x0
	s_load_dwordx2 s[16:17], s[0:1], 0x10
	v_bfe_u32 v4, v0, 10, 10
	s_waitcnt lgkmcnt(0)
	s_mul_i32 s2, s2, s4
	v_add_lshl_u32 v34, s2, v4, 1
	s_mov_b32 s12, 1
	v_add_u32_e32 v1, 2, v34
	v_cmp_gt_u32_e32 vcc, s11, v34
	v_cmp_le_u32_e64 s[2:3], s11, v1
	s_mov_b32 s13, s12
	s_and_b64 s[14:15], vcc, s[2:3]
	v_mov_b64_e32 v[32:33], s[12:13]
	s_and_saveexec_b64 s[2:3], s[14:15]
	s_cbranch_execz .LBB42_6
; %bb.1:
	s_add_i32 s22, s11, -2
	v_cmp_ne_u32_e32 vcc, s22, v34
	v_mov_b64_e32 v[32:33], s[12:13]
	s_and_saveexec_b64 s[12:13], vcc
	s_cbranch_execz .LBB42_5
; %bb.2:
	v_subrev_u32_e32 v1, s22, v34
	s_mov_b32 s14, 1
	v_cmp_lt_u32_e32 vcc, 1, v1
	s_mov_b64 s[18:19], 0
	s_mov_b64 s[20:21], 0
	v_cndmask_b32_e32 v2, 1, v1, vcc
	s_mov_b32 s15, s14
.LBB42_3:                               ; =>This Inner Loop Header: Depth=1
	s_cmp_lg_u32 s20, 1
	s_cselect_b32 s15, s15, 0
	s_cmp_lg_u32 s20, 0
	s_cselect_b32 s14, s14, 0
	s_add_u32 s20, s20, 1
	s_addc_u32 s21, s21, 0
	v_cmp_eq_u32_e32 vcc, s20, v2
	s_or_b64 s[18:19], vcc, s[18:19]
	v_mov_b64_e32 v[32:33], s[14:15]
	s_andn2_b64 exec, exec, s[18:19]
	s_cbranch_execnz .LBB42_3
; %bb.4:
	s_or_b64 exec, exec, s[18:19]
	v_mov_b32_e32 v34, s22
.LBB42_5:
	s_or_b64 exec, exec, s[12:13]
.LBB42_6:
	s_or_b64 exec, exec, s[2:3]
	v_and_b32_e32 v5, 0x3ff, v0
	v_lshlrev_b32_e32 v48, 3, v5
	s_lshl_b32 s2, s10, 1
	v_lshl_add_u32 v6, v4, 8, v48
	s_min_u32 s12, s2, 0x8000
	v_cmp_gt_u32_e32 vcc, s12, v6
	s_and_saveexec_b64 s[2:3], vcc
	s_cbranch_execz .LBB42_15
; %bb.7:
	v_lshlrev_b32_e32 v0, 1, v6
	global_load_dwordx4 v[8:11], v0, s[6:7]
	v_add_u32_e32 v1, 0x1000, v6
	v_cmp_gt_u32_e32 vcc, s12, v1
	s_waitcnt vmcnt(0)
	ds_write_b128 v0, v[8:11]
	s_and_saveexec_b64 s[14:15], vcc
	s_xor_b64 s[14:15], exec, s[14:15]
	s_cbranch_execz .LBB42_15
; %bb.8:
	v_mov_b32_e32 v1, 0
	v_lshl_add_u64 v[2:3], s[6:7], 0, v[0:1]
	v_add_co_u32_e32 v8, vcc, 0x2000, v2
	v_add_u32_e32 v1, 0x2000, v6
	s_nop 0
	v_addc_co_u32_e32 v9, vcc, 0, v3, vcc
	global_load_dwordx4 v[8:11], v[8:9], off
	v_cmp_gt_u32_e32 vcc, s12, v1
	s_waitcnt vmcnt(0)
	ds_write_b128 v0, v[8:11] offset:8192
	s_and_saveexec_b64 s[14:15], vcc
	s_xor_b64 s[14:15], exec, s[14:15]
	s_cbranch_execz .LBB42_15
; %bb.9:
	v_add_co_u32_e32 v8, vcc, 0x4000, v2
	v_add_u32_e32 v1, 0x3000, v6
	s_nop 0
	v_addc_co_u32_e32 v9, vcc, 0, v3, vcc
	global_load_dwordx4 v[8:11], v[8:9], off
	v_cmp_gt_u32_e32 vcc, s12, v1
	s_waitcnt vmcnt(0)
	ds_write_b128 v0, v[8:11] offset:16384
	s_and_saveexec_b64 s[14:15], vcc
	s_xor_b64 s[14:15], exec, s[14:15]
	s_cbranch_execz .LBB42_15
; %bb.10:
	;; [unrolled: 12-line block ×6, first 2 shown]
	v_add_co_u32_e32 v2, vcc, 0xe000, v2
	s_nop 1
	v_addc_co_u32_e32 v3, vcc, 0, v3, vcc
	global_load_dwordx4 v[6:9], v[2:3], off
	s_waitcnt vmcnt(0)
	ds_write_b128 v0, v[6:9] offset:57344
.LBB42_15:
	s_or_b64 exec, exec, s[2:3]
	v_cmp_gt_u32_e32 vcc, s4, v4
	v_cmp_gt_u32_e64 s[2:3], s11, v34
	s_and_b64 s[2:3], vcc, s[2:3]
	s_waitcnt lgkmcnt(0)
	s_barrier
	s_and_saveexec_b64 s[12:13], s[2:3]
	s_cbranch_execz .LBB42_58
; %bb.16:
	v_cvt_f32_u32_e32 v0, s16
	s_load_dwordx4 s[12:15], s[0:1], 0x28
	s_load_dwordx2 s[18:19], s[0:1], 0x18
	s_cmp_lg_u32 s8, 0
	s_cselect_b64 s[2:3], -1, 0
	v_rcp_iflag_f32_e32 v0, v0
	s_add_i32 s33, s8, -8
	s_add_i32 s36, s11, -1
	s_mul_i32 s4, s4, s5
	v_mul_f32_e32 v0, 0x4f7ffffe, v0
	v_cvt_u32_f32_e32 v0, v0
	s_waitcnt lgkmcnt(0)
	s_cmp_lg_u64 s[12:13], 0
	s_cselect_b64 s[22:23], -1, 0
	s_lshl_b32 s37, s4, 1
	s_sub_i32 s4, 0, s16
	v_mul_lo_u32 v1, s4, v0
	s_abs_i32 s4, s17
	s_add_i32 s38, s11, -2
	s_sub_i32 s5, 1, s4
	s_cmp_lt_u32 s4, 2
	s_cselect_b32 s5, s5, 1
	s_sub_i32 s17, s5, s4
	v_mul_hi_u32 v1, v0, v1
	s_cmp_ge_u32 s5, s4
	v_add_u32_e32 v49, v0, v1
	s_cselect_b32 s17, s17, s5
	v_cndmask_b32_e64 v0, 0, 1, s[2:3]
	v_cmp_eq_u32_e64 s[0:1], 31, v5
	s_mov_b64 s[20:21], 0
	v_mov_b32_e32 v37, 0
	s_mul_i32 s17, s17, s16
	v_cmp_ne_u32_e64 s[2:3], 1, v0
	s_movk_i32 s39, 0x7fff
	s_mov_b32 s24, 0
	s_branch .LBB42_19
.LBB42_17:                              ;   in Loop: Header=BB42_19 Depth=1
	s_or_b64 exec, exec, s[28:29]
	v_mov_b32_e32 v34, s38
.LBB42_18:                              ;   in Loop: Header=BB42_19 Depth=1
	s_or_b64 exec, exec, s[26:27]
	v_cmp_le_u32_e32 vcc, s11, v34
	s_or_b64 s[20:21], vcc, s[20:21]
	s_andn2_b64 exec, exec, s[20:21]
	s_cbranch_execz .LBB42_58
.LBB42_19:                              ; =>This Loop Header: Depth=1
                                        ;     Child Loop BB42_24 Depth 2
                                        ;     Child Loop BB42_53 Depth 2
	s_and_b64 vcc, exec, s[2:3]
	v_add_u32_e32 v38, 1, v34
	v_mov_b32_e32 v51, v37
	v_mov_b32_e32 v50, v37
	;; [unrolled: 1-line block ×4, first 2 shown]
	s_cbranch_vccnz .LBB42_42
; %bb.20:                               ;   in Loop: Header=BB42_19 Depth=1
	v_min_u32_e32 v0, s36, v34
	v_mul_lo_u32 v36, v0, s9
	v_min_u32_e32 v0, s36, v38
	v_mul_lo_u32 v0, v0, s9
	v_mov_b32_e32 v1, v37
	v_mov_b32_e32 v35, 0
	v_lshlrev_b64 v[40:41], 1, v[36:37]
	v_lshlrev_b64 v[42:43], 1, v[0:1]
	v_mov_b32_e32 v39, 0
	v_mov_b32_e32 v50, 0
	;; [unrolled: 1-line block ×3, first 2 shown]
	s_mov_b32 s30, s24
	s_branch .LBB42_24
.LBB42_21:                              ;   in Loop: Header=BB42_24 Depth=2
	s_or_b64 exec, exec, s[28:29]
.LBB42_22:                              ;   in Loop: Header=BB42_24 Depth=2
	s_or_b64 exec, exec, s[26:27]
.LBB42_23:                              ;   in Loop: Header=BB42_24 Depth=2
	s_or_b64 exec, exec, s[4:5]
	s_waitcnt vmcnt(0) lgkmcnt(0)
	;;#ASMSTART
	v_dot2c_f32_f16 v51, v20, v12
	;;#ASMEND
	;;#ASMSTART
	v_dot2c_f32_f16 v50, v20, v8
	;;#ASMEND
	;; [unrolled: 3-line block ×4, first 2 shown]
	s_addk_i32 s30, 0x200
	;;#ASMSTART
	v_dot2c_f32_f16 v51, v21, v13
	;;#ASMEND
	;;#ASMSTART
	v_dot2c_f32_f16 v50, v21, v9
	;;#ASMEND
	;; [unrolled: 3-line block ×4, first 2 shown]
	s_cmp_ge_u32 s30, s8
	;;#ASMSTART
	v_dot2c_f32_f16 v51, v22, v14
	;;#ASMEND
	;;#ASMSTART
	v_dot2c_f32_f16 v50, v22, v10
	;;#ASMEND
	;;#ASMSTART
	v_dot2c_f32_f16 v39, v18, v14
	;;#ASMEND
	;;#ASMSTART
	v_dot2c_f32_f16 v35, v18, v10
	;;#ASMEND
	s_nop 0
	;;#ASMSTART
	v_dot2c_f32_f16 v51, v23, v15
	;;#ASMEND
	;;#ASMSTART
	v_dot2c_f32_f16 v50, v23, v11
	;;#ASMEND
	;;#ASMSTART
	v_dot2c_f32_f16 v39, v19, v15
	;;#ASMEND
	;;#ASMSTART
	v_dot2c_f32_f16 v35, v19, v11
	;;#ASMEND
	s_nop 0
	;; [unrolled: 13-line block ×5, first 2 shown]
	;;#ASMSTART
	v_dot2c_f32_f16 v51, v31, v7
	;;#ASMEND
	;;#ASMSTART
	v_dot2c_f32_f16 v50, v31, v3
	;;#ASMEND
	;; [unrolled: 3-line block ×4, first 2 shown]
	s_cbranch_scc1 .LBB42_42
.LBB42_24:                              ;   Parent Loop BB42_19 Depth=1
                                        ; =>  This Inner Loop Header: Depth=2
	v_add_u32_e32 v46, s30, v48
	v_min_u32_e32 v36, s33, v46
	v_lshl_add_u64 v[0:1], v[36:37], 1, s[18:19]
	v_add_u32_e32 v44, 0x100, v46
	v_lshl_add_u64 v[2:3], v[0:1], 0, v[40:41]
	v_lshl_add_u64 v[0:1], v[0:1], 0, v[42:43]
	v_min_u32_e32 v36, s33, v44
	global_load_dwordx4 v[12:15], v[2:3], off nt
	global_load_dwordx4 v[8:11], v[0:1], off nt
	v_lshl_add_u64 v[0:1], v[36:37], 1, s[18:19]
	v_lshl_add_u64 v[16:17], v[0:1], 0, v[40:41]
	;; [unrolled: 1-line block ×3, first 2 shown]
	global_load_dwordx4 v[4:7], v[16:17], off nt
	global_load_dwordx4 v[0:3], v[18:19], off nt
	s_mov_b32 s25, s24
	v_cmp_gt_u32_e32 vcc, s8, v46
	v_mov_b64_e32 v[30:31], s[24:25]
	v_mov_b32_e32 v27, 0
	v_mov_b32_e32 v26, 0
	v_mov_b32_e32 v25, 0
	v_mov_b32_e32 v24, 0
	v_mov_b64_e32 v[28:29], s[24:25]
	v_mov_b64_e32 v[18:19], s[24:25]
	;; [unrolled: 1-line block ×5, first 2 shown]
	s_and_saveexec_b64 s[4:5], vcc
	s_cbranch_execz .LBB42_23
; %bb.25:                               ;   in Loop: Header=BB42_24 Depth=2
	v_cmp_lt_u32_e32 vcc, s39, v46
                                        ; implicit-def: $vgpr22_vgpr23
	s_and_saveexec_b64 s[26:27], vcc
	s_xor_b64 s[26:27], exec, s[26:27]
	s_cbranch_execz .LBB42_27
; %bb.26:                               ;   in Loop: Header=BB42_24 Depth=2
	v_mov_b32_e32 v47, v37
	v_lshl_add_u64 v[16:17], v[46:47], 1, s[6:7]
	global_load_dwordx4 v[20:23], v[16:17], off
.LBB42_27:                              ;   in Loop: Header=BB42_24 Depth=2
	s_andn2_saveexec_b64 s[26:27], s[26:27]
	s_cbranch_execz .LBB42_29
; %bb.28:                               ;   in Loop: Header=BB42_24 Depth=2
	v_lshlrev_b32_e32 v16, 1, v46
	s_waitcnt vmcnt(0)
	ds_read_b128 v[20:23], v16
.LBB42_29:                              ;   in Loop: Header=BB42_24 Depth=2
	s_or_b64 exec, exec, s[26:27]
	v_add_u32_e32 v36, s10, v46
	v_cmp_lt_u32_e32 vcc, s39, v36
                                        ; implicit-def: $vgpr18_vgpr19
	s_and_saveexec_b64 s[26:27], vcc
	s_xor_b64 s[26:27], exec, s[26:27]
	s_cbranch_execz .LBB42_31
; %bb.30:                               ;   in Loop: Header=BB42_24 Depth=2
	v_lshl_add_u64 v[16:17], v[36:37], 1, s[6:7]
	global_load_dwordx4 v[16:19], v[16:17], off
.LBB42_31:                              ;   in Loop: Header=BB42_24 Depth=2
	s_andn2_saveexec_b64 s[26:27], s[26:27]
	s_cbranch_execz .LBB42_33
; %bb.32:                               ;   in Loop: Header=BB42_24 Depth=2
	s_waitcnt vmcnt(0)
	v_lshlrev_b32_e32 v16, 1, v36
	ds_read_b128 v[16:19], v16
.LBB42_33:                              ;   in Loop: Header=BB42_24 Depth=2
	s_or_b64 exec, exec, s[26:27]
	s_mov_b32 s25, s24
	v_cmp_gt_u32_e32 vcc, s8, v44
	v_mov_b32_e32 v27, 0
	v_mov_b64_e32 v[30:31], s[24:25]
	v_mov_b32_e32 v26, 0
	v_mov_b32_e32 v25, 0
	v_mov_b32_e32 v24, 0
	v_mov_b64_e32 v[28:29], s[24:25]
	s_and_saveexec_b64 s[26:27], vcc
	s_cbranch_execz .LBB42_22
; %bb.34:                               ;   in Loop: Header=BB42_24 Depth=2
	v_cmp_lt_u32_e32 vcc, s39, v44
                                        ; implicit-def: $vgpr30_vgpr31
	s_and_saveexec_b64 s[28:29], vcc
	s_xor_b64 s[28:29], exec, s[28:29]
	s_cbranch_execz .LBB42_36
; %bb.35:                               ;   in Loop: Header=BB42_24 Depth=2
	v_mov_b32_e32 v45, v37
	v_lshl_add_u64 v[24:25], v[44:45], 1, s[6:7]
	global_load_dwordx4 v[28:31], v[24:25], off
                                        ; implicit-def: $vgpr46
.LBB42_36:                              ;   in Loop: Header=BB42_24 Depth=2
	s_andn2_saveexec_b64 s[28:29], s[28:29]
	s_cbranch_execz .LBB42_38
; %bb.37:                               ;   in Loop: Header=BB42_24 Depth=2
	v_lshlrev_b32_e32 v24, 1, v46
	s_waitcnt vmcnt(0)
	ds_read_b128 v[28:31], v24 offset:512
.LBB42_38:                              ;   in Loop: Header=BB42_24 Depth=2
	s_or_b64 exec, exec, s[28:29]
	v_add_u32_e32 v24, s10, v44
	v_cmp_lt_u32_e32 vcc, s39, v24
                                        ; implicit-def: $vgpr27
	s_and_saveexec_b64 s[28:29], vcc
	s_xor_b64 s[28:29], exec, s[28:29]
	s_cbranch_execz .LBB42_40
; %bb.39:                               ;   in Loop: Header=BB42_24 Depth=2
	v_mov_b32_e32 v25, v37
	v_lshl_add_u64 v[24:25], v[24:25], 1, s[6:7]
	global_load_dwordx4 v[24:27], v[24:25], off
.LBB42_40:                              ;   in Loop: Header=BB42_24 Depth=2
	s_andn2_saveexec_b64 s[28:29], s[28:29]
	s_cbranch_execz .LBB42_21
; %bb.41:                               ;   in Loop: Header=BB42_24 Depth=2
	s_waitcnt vmcnt(0)
	v_lshlrev_b32_e32 v24, 1, v36
	ds_read_b128 v[24:27], v24 offset:512
	s_branch .LBB42_21
.LBB42_42:                              ;   in Loop: Header=BB42_19 Depth=1
	v_cvt_i32_f32_e32 v0, v51
	v_cvt_i32_f32_e32 v1, v50
	v_cvt_i32_f32_e32 v2, v39
	v_cvt_i32_f32_e32 v3, v35
	v_cvt_f32_i32_dpp v0, v0 row_shr:8 row_mask:0xf bank_mask:0xf bound_ctrl:1
	v_cvt_f32_i32_dpp v1, v1 row_shr:8 row_mask:0xf bank_mask:0xf bound_ctrl:1
	;; [unrolled: 1-line block ×4, first 2 shown]
	v_add_f32_e32 v0, v51, v0
	v_cvt_i32_f32_e32 v4, v0
	v_add_f32_e32 v1, v50, v1
	v_cvt_i32_f32_e32 v5, v1
	v_add_f32_e32 v2, v39, v2
	v_cvt_f32_i32_dpp v4, v4 row_shr:4 row_mask:0xf bank_mask:0xf bound_ctrl:1
	v_add_f32_e32 v3, v35, v3
	v_cvt_f32_i32_dpp v5, v5 row_shr:4 row_mask:0xf bank_mask:0xf bound_ctrl:1
	v_cvt_i32_f32_e32 v6, v2
	v_add_f32_e32 v0, v0, v4
	v_cvt_i32_f32_e32 v4, v0
	s_waitcnt vmcnt(0)
	v_cvt_i32_f32_e32 v7, v3
	v_add_f32_e32 v1, v1, v5
	v_cvt_i32_f32_e32 v5, v1
	v_cvt_f32_i32_dpp v4, v4 row_shr:2 row_mask:0xf bank_mask:0xf bound_ctrl:1
	v_cvt_f32_i32_dpp v6, v6 row_shr:4 row_mask:0xf bank_mask:0xf bound_ctrl:1
	;; [unrolled: 1-line block ×4, first 2 shown]
	v_add_f32_e32 v0, v0, v4
	v_cvt_i32_f32_e32 v4, v0
	v_add_f32_e32 v2, v2, v6
	v_add_f32_e32 v3, v3, v7
	v_cvt_i32_f32_e32 v6, v2
	v_cvt_f32_i32_dpp v4, v4 row_shr:1 row_mask:0xf bank_mask:0xf bound_ctrl:1
	v_add_f32_e32 v1, v1, v5
	v_cvt_i32_f32_e32 v7, v3
	v_cvt_i32_f32_e32 v5, v1
	v_add_f32_e32 v0, v0, v4
	v_cvt_f32_i32_dpp v6, v6 row_shr:2 row_mask:0xf bank_mask:0xf bound_ctrl:1
	v_cvt_f32_i32_dpp v7, v7 row_shr:2 row_mask:0xf bank_mask:0xf bound_ctrl:1
	v_cvt_i32_f32_e32 v4, v0
	v_cvt_f32_i32_dpp v5, v5 row_shr:1 row_mask:0xf bank_mask:0xf bound_ctrl:1
	v_add_f32_e32 v2, v2, v6
	v_add_f32_e32 v3, v3, v7
	v_cvt_f32_i32_dpp v4, v4 row_bcast:15 row_mask:0xf bank_mask:0xf bound_ctrl:1
	v_add_f32_e32 v1, v1, v5
	v_cvt_i32_f32_e32 v5, v2
	v_cvt_i32_f32_e32 v6, v3
	v_cvt_i32_f32_e32 v7, v1
	v_cvt_f32_i32_dpp v8, v5 row_shr:1 row_mask:0xf bank_mask:0xf bound_ctrl:1
	v_add_f32_e32 v5, v0, v4
	v_cvt_f32_i32_dpp v0, v6 row_shr:1 row_mask:0xf bank_mask:0xf bound_ctrl:1
	v_cvt_f32_i32_dpp v4, v7 row_bcast:15 row_mask:0xf bank_mask:0xf bound_ctrl:1
	v_add_f32_e32 v2, v2, v8
	v_cvt_i32_f32_e32 v6, v2
	v_add_f32_e32 v0, v3, v0
	v_cvt_i32_f32_e32 v3, v0
	v_add_f32_e32 v4, v1, v4
	v_cvt_f32_i32_dpp v6, v6 row_bcast:15 row_mask:0xf bank_mask:0xf bound_ctrl:1
	v_cvt_i32_f32_e32 v7, v5
	v_cvt_f32_i32_dpp v1, v3 row_bcast:15 row_mask:0xf bank_mask:0xf bound_ctrl:1
	v_cvt_i32_f32_e32 v3, v4
	v_add_f32_e32 v2, v2, v6
	v_cvt_i32_f32_e32 v9, v2
	v_add_f32_e32 v0, v0, v1
	v_cvt_i32_f32_e32 v1, v0
	v_mov_b32_dpp v8, v7 row_bcast:31 row_mask:0xf bank_mask:0xf bound_ctrl:1
	v_mov_b32_dpp v6, v3 row_bcast:31 row_mask:0xf bank_mask:0xf bound_ctrl:1
	;; [unrolled: 1-line block ×4, first 2 shown]
	s_and_saveexec_b64 s[26:27], s[0:1]
	s_cbranch_execz .LBB42_50
; %bb.43:                               ;   in Loop: Header=BB42_19 Depth=1
	s_andn2_b64 vcc, exec, s[22:23]
	v_mov_b32_e32 v7, 0
	v_mov_b32_e32 v9, 0
	;; [unrolled: 1-line block ×4, first 2 shown]
	s_cbranch_vccnz .LBB42_45
; %bb.44:                               ;   in Loop: Header=BB42_19 Depth=1
	v_mul_hi_u32 v7, v34, v49
	v_mul_lo_u32 v7, v7, s16
	v_sub_u32_e32 v7, v34, v7
	v_subrev_u32_e32 v9, s16, v7
	v_cmp_le_u32_e32 vcc, s16, v7
	v_mov_b32_e32 v11, v37
	s_nop 0
	v_cndmask_b32_e32 v7, v7, v9, vcc
	v_subrev_u32_e32 v9, s16, v7
	v_cmp_le_u32_e32 vcc, s16, v7
	s_nop 1
	v_cndmask_b32_e32 v36, v7, v9, vcc
	v_mul_hi_u32 v7, v38, v49
	v_mul_lo_u32 v7, v7, s16
	v_sub_u32_e32 v7, v38, v7
	v_subrev_u32_e32 v9, s16, v7
	v_cmp_le_u32_e32 vcc, s16, v7
	v_lshl_add_u64 v[12:13], v[36:37], 1, s[12:13]
	v_add_u32_e32 v36, s17, v36
	v_cndmask_b32_e32 v7, v7, v9, vcc
	v_subrev_u32_e32 v9, s16, v7
	v_cmp_le_u32_e32 vcc, s16, v7
	v_lshl_add_u64 v[16:17], v[36:37], 1, s[12:13]
	s_nop 0
	v_cndmask_b32_e32 v10, v7, v9, vcc
	v_add_u32_e32 v36, s17, v10
	v_lshl_add_u64 v[14:15], v[10:11], 1, s[12:13]
	v_lshl_add_u64 v[18:19], v[36:37], 1, s[12:13]
	global_load_ushort v11, v[12:13], off
	global_load_ushort v10, v[14:15], off
	;; [unrolled: 1-line block ×4, first 2 shown]
.LBB42_45:                              ;   in Loop: Header=BB42_19 Depth=1
	v_cmp_ne_u32_e32 vcc, 0, v32
	s_and_saveexec_b64 s[4:5], vcc
	s_cbranch_execnz .LBB42_55
; %bb.46:                               ;   in Loop: Header=BB42_19 Depth=1
	s_or_b64 exec, exec, s[4:5]
	v_cmp_ne_u32_e64 s[4:5], 0, v33
	s_and_saveexec_b64 s[28:29], s[4:5]
	s_cbranch_execnz .LBB42_56
.LBB42_47:                              ;   in Loop: Header=BB42_19 Depth=1
	s_or_b64 exec, exec, s[28:29]
	v_add_u32_e32 v36, s11, v34
	s_and_saveexec_b64 s[28:29], vcc
	s_cbranch_execnz .LBB42_57
.LBB42_48:                              ;   in Loop: Header=BB42_19 Depth=1
	s_or_b64 exec, exec, s[28:29]
	s_and_b64 exec, exec, s[4:5]
	s_cbranch_execz .LBB42_50
.LBB42_49:                              ;   in Loop: Header=BB42_19 Depth=1
	v_cvt_f32_i32_e32 v1, v1
	s_waitcnt vmcnt(0)
	v_cvt_f32_f16_e32 v2, v7
	v_add_u32_e32 v36, 1, v36
	v_add_f32_e32 v0, v0, v1
	v_add_f32_e32 v0, v0, v2
	v_cvt_f16_f32_e32 v2, v0
	v_lshl_add_u64 v[0:1], v[36:37], 1, s[14:15]
	global_store_short v[0:1], v2, off
.LBB42_50:                              ;   in Loop: Header=BB42_19 Depth=1
	s_or_b64 exec, exec, s[26:27]
	v_add_u32_e32 v34, s37, v34
	v_add_u32_e32 v0, 2, v34
	v_cmp_gt_u32_e32 vcc, s11, v34
	v_cmp_le_u32_e64 s[4:5], s11, v0
	s_and_b64 s[4:5], vcc, s[4:5]
	s_and_saveexec_b64 s[26:27], s[4:5]
	s_cbranch_execz .LBB42_18
; %bb.51:                               ;   in Loop: Header=BB42_19 Depth=1
	v_cmp_ne_u32_e32 vcc, s38, v34
	s_and_saveexec_b64 s[28:29], vcc
	s_cbranch_execz .LBB42_17
; %bb.52:                               ;   in Loop: Header=BB42_19 Depth=1
	v_subrev_u32_e32 v0, s38, v34
	v_cmp_lt_u32_e32 vcc, 1, v0
	s_mov_b64 s[30:31], 0
	s_mov_b64 s[34:35], 0
	v_cndmask_b32_e32 v0, 1, v0, vcc
.LBB42_53:                              ;   Parent Loop BB42_19 Depth=1
                                        ; =>  This Inner Loop Header: Depth=2
	s_cmp_lg_u32 s34, 1
	s_cselect_b64 vcc, -1, 0
	s_cmp_lg_u32 s34, 0
	v_cndmask_b32_e32 v33, 0, v33, vcc
	s_cselect_b64 vcc, -1, 0
	s_add_u32 s34, s34, 1
	s_addc_u32 s35, s35, 0
	v_cmp_eq_u32_e64 s[4:5], s34, v0
	s_or_b64 s[30:31], s[4:5], s[30:31]
	v_cndmask_b32_e32 v32, 0, v32, vcc
	s_andn2_b64 exec, exec, s[30:31]
	s_cbranch_execnz .LBB42_53
; %bb.54:                               ;   in Loop: Header=BB42_19 Depth=1
	s_or_b64 exec, exec, s[30:31]
	s_branch .LBB42_17
.LBB42_55:                              ;   in Loop: Header=BB42_19 Depth=1
	v_cvt_f32_i32_e32 v8, v8
	s_waitcnt vmcnt(3)
	v_cvt_f32_f16_e32 v11, v11
	v_mov_b32_e32 v35, v37
	v_lshl_add_u64 v[12:13], v[34:35], 1, s[14:15]
	v_add_f32_e32 v5, v5, v8
	v_add_f32_e32 v5, v5, v11
	v_cvt_f16_f32_e32 v5, v5
	global_store_short v[12:13], v5, off
	s_or_b64 exec, exec, s[4:5]
	v_cmp_ne_u32_e64 s[4:5], 0, v33
	s_and_saveexec_b64 s[28:29], s[4:5]
	s_cbranch_execz .LBB42_47
.LBB42_56:                              ;   in Loop: Header=BB42_19 Depth=1
	v_cvt_f32_i32_e32 v5, v6
	s_waitcnt vmcnt(2)
	v_cvt_f32_f16_e32 v6, v10
	v_mov_b32_e32 v39, v37
	v_add_f32_e32 v4, v4, v5
	v_add_f32_e32 v4, v4, v6
	v_cvt_f16_f32_e32 v6, v4
	v_lshl_add_u64 v[4:5], v[38:39], 1, s[14:15]
	global_store_short v[4:5], v6, off
	s_or_b64 exec, exec, s[28:29]
	v_add_u32_e32 v36, s11, v34
	s_and_saveexec_b64 s[28:29], vcc
	s_cbranch_execz .LBB42_48
.LBB42_57:                              ;   in Loop: Header=BB42_19 Depth=1
	v_cvt_f32_i32_e32 v3, v3
	s_waitcnt vmcnt(1)
	v_cvt_f32_f16_e32 v4, v9
	v_add_f32_e32 v2, v2, v3
	v_add_f32_e32 v2, v2, v4
	v_cvt_f16_f32_e32 v4, v2
	v_lshl_add_u64 v[2:3], v[36:37], 1, s[14:15]
	global_store_short v[2:3], v4, off
	s_or_b64 exec, exec, s[28:29]
	s_and_b64 exec, exec, s[4:5]
	s_cbranch_execnz .LBB42_49
	s_branch .LBB42_50
.LBB42_58:
	s_endpgm
	.section	.rodata,"a",@progbits
	.p2align	6, 0x0
	.amdhsa_kernel _Z12wvSplitK_hf_I6__halfLi32ELi2ELi16ELi8ELi2ELi2EEviiiiiiPKT_S3_S3_PS1_ii
		.amdhsa_group_segment_fixed_size 65536
		.amdhsa_private_segment_fixed_size 0
		.amdhsa_kernarg_size 64
		.amdhsa_user_sgpr_count 2
		.amdhsa_user_sgpr_dispatch_ptr 0
		.amdhsa_user_sgpr_queue_ptr 0
		.amdhsa_user_sgpr_kernarg_segment_ptr 1
		.amdhsa_user_sgpr_dispatch_id 0
		.amdhsa_user_sgpr_kernarg_preload_length 0
		.amdhsa_user_sgpr_kernarg_preload_offset 0
		.amdhsa_user_sgpr_private_segment_size 0
		.amdhsa_uses_dynamic_stack 0
		.amdhsa_enable_private_segment 0
		.amdhsa_system_sgpr_workgroup_id_x 1
		.amdhsa_system_sgpr_workgroup_id_y 0
		.amdhsa_system_sgpr_workgroup_id_z 0
		.amdhsa_system_sgpr_workgroup_info 0
		.amdhsa_system_vgpr_workitem_id 1
		.amdhsa_next_free_vgpr 52
		.amdhsa_next_free_sgpr 40
		.amdhsa_accum_offset 52
		.amdhsa_reserve_vcc 1
		.amdhsa_float_round_mode_32 0
		.amdhsa_float_round_mode_16_64 0
		.amdhsa_float_denorm_mode_32 3
		.amdhsa_float_denorm_mode_16_64 3
		.amdhsa_dx10_clamp 1
		.amdhsa_ieee_mode 1
		.amdhsa_fp16_overflow 0
		.amdhsa_tg_split 0
		.amdhsa_exception_fp_ieee_invalid_op 0
		.amdhsa_exception_fp_denorm_src 0
		.amdhsa_exception_fp_ieee_div_zero 0
		.amdhsa_exception_fp_ieee_overflow 0
		.amdhsa_exception_fp_ieee_underflow 0
		.amdhsa_exception_fp_ieee_inexact 0
		.amdhsa_exception_int_div_zero 0
	.end_amdhsa_kernel
	.section	.text._Z12wvSplitK_hf_I6__halfLi32ELi2ELi16ELi8ELi2ELi2EEviiiiiiPKT_S3_S3_PS1_ii,"axG",@progbits,_Z12wvSplitK_hf_I6__halfLi32ELi2ELi16ELi8ELi2ELi2EEviiiiiiPKT_S3_S3_PS1_ii,comdat
.Lfunc_end42:
	.size	_Z12wvSplitK_hf_I6__halfLi32ELi2ELi16ELi8ELi2ELi2EEviiiiiiPKT_S3_S3_PS1_ii, .Lfunc_end42-_Z12wvSplitK_hf_I6__halfLi32ELi2ELi16ELi8ELi2ELi2EEviiiiiiPKT_S3_S3_PS1_ii
                                        ; -- End function
	.section	.AMDGPU.csdata,"",@progbits
; Kernel info:
; codeLenInByte = 2796
; NumSgprs: 46
; NumVgprs: 52
; NumAgprs: 0
; TotalNumVgprs: 52
; ScratchSize: 0
; MemoryBound: 1
; FloatMode: 240
; IeeeMode: 1
; LDSByteSize: 65536 bytes/workgroup (compile time only)
; SGPRBlocks: 5
; VGPRBlocks: 6
; NumSGPRsForWavesPerEU: 46
; NumVGPRsForWavesPerEU: 52
; AccumOffset: 52
; Occupancy: 2
; WaveLimiterHint : 0
; COMPUTE_PGM_RSRC2:SCRATCH_EN: 0
; COMPUTE_PGM_RSRC2:USER_SGPR: 2
; COMPUTE_PGM_RSRC2:TRAP_HANDLER: 0
; COMPUTE_PGM_RSRC2:TGID_X_EN: 1
; COMPUTE_PGM_RSRC2:TGID_Y_EN: 0
; COMPUTE_PGM_RSRC2:TGID_Z_EN: 0
; COMPUTE_PGM_RSRC2:TIDIG_COMP_CNT: 1
; COMPUTE_PGM_RSRC3_GFX90A:ACCUM_OFFSET: 12
; COMPUTE_PGM_RSRC3_GFX90A:TG_SPLIT: 0
	.section	.text._Z16wvSplitK_hf_big_I6__halfLi32ELi2ELi16ELi8ELi2ELi2EEviiiiiiPKT_S3_S3_PS1_ii,"axG",@progbits,_Z16wvSplitK_hf_big_I6__halfLi32ELi2ELi16ELi8ELi2ELi2EEviiiiiiPKT_S3_S3_PS1_ii,comdat
	.protected	_Z16wvSplitK_hf_big_I6__halfLi32ELi2ELi16ELi8ELi2ELi2EEviiiiiiPKT_S3_S3_PS1_ii ; -- Begin function _Z16wvSplitK_hf_big_I6__halfLi32ELi2ELi16ELi8ELi2ELi2EEviiiiiiPKT_S3_S3_PS1_ii
	.globl	_Z16wvSplitK_hf_big_I6__halfLi32ELi2ELi16ELi8ELi2ELi2EEviiiiiiPKT_S3_S3_PS1_ii
	.p2align	8
	.type	_Z16wvSplitK_hf_big_I6__halfLi32ELi2ELi16ELi8ELi2ELi2EEviiiiiiPKT_S3_S3_PS1_ii,@function
_Z16wvSplitK_hf_big_I6__halfLi32ELi2ELi16ELi8ELi2ELi2EEviiiiiiPKT_S3_S3_PS1_ii: ; @_Z16wvSplitK_hf_big_I6__halfLi32ELi2ELi16ELi8ELi2ELi2EEviiiiiiPKT_S3_S3_PS1_ii
; %bb.0:
	s_load_dwordx2 s[4:5], s[0:1], 0x38
	v_bfe_u32 v1, v0, 10, 10
	s_waitcnt lgkmcnt(0)
	v_cmp_gt_u32_e32 vcc, s4, v1
	s_and_saveexec_b64 s[6:7], vcc
	s_cbranch_execz .LBB43_48
; %bb.1:
	s_load_dwordx4 s[20:23], s[0:1], 0x0
	s_mul_i32 s2, s2, s4
	v_add_lshl_u32 v34, s2, v1, 1
	s_mov_b32 s6, 1
	v_add_u32_e32 v2, 2, v34
	s_waitcnt lgkmcnt(0)
	v_cmp_gt_u32_e32 vcc, s23, v34
	v_cmp_le_u32_e64 s[2:3], s23, v2
	s_mov_b32 s7, s6
	s_and_b64 s[8:9], vcc, s[2:3]
	v_mov_b64_e32 v[32:33], s[6:7]
	s_and_saveexec_b64 s[2:3], s[8:9]
	s_cbranch_execz .LBB43_7
; %bb.2:
	s_add_i32 s14, s23, -2
	v_cmp_ne_u32_e32 vcc, s14, v34
	v_mov_b64_e32 v[32:33], s[6:7]
	s_and_saveexec_b64 s[6:7], vcc
	s_cbranch_execz .LBB43_6
; %bb.3:
	v_subrev_u32_e32 v2, s14, v34
	s_mov_b32 s8, 1
	v_cmp_lt_u32_e32 vcc, 1, v2
	s_mov_b64 s[10:11], 0
	s_mov_b64 s[12:13], 0
	v_cndmask_b32_e32 v2, 1, v2, vcc
	s_mov_b32 s9, s8
.LBB43_4:                               ; =>This Inner Loop Header: Depth=1
	s_cmp_lg_u32 s12, 1
	s_cselect_b32 s9, s9, 0
	s_cmp_lg_u32 s12, 0
	s_cselect_b32 s8, s8, 0
	s_add_u32 s12, s12, 1
	s_addc_u32 s13, s13, 0
	v_cmp_eq_u32_e32 vcc, s12, v2
	s_or_b64 s[10:11], vcc, s[10:11]
	v_mov_b64_e32 v[32:33], s[8:9]
	s_andn2_b64 exec, exec, s[10:11]
	s_cbranch_execnz .LBB43_4
; %bb.5:
	s_or_b64 exec, exec, s[10:11]
	v_mov_b32_e32 v34, s14
.LBB43_6:
	s_or_b64 exec, exec, s[6:7]
.LBB43_7:
	s_or_b64 exec, exec, s[2:3]
	s_lshl_b32 s2, s4, 1
	s_abs_i32 s3, s2
	v_cvt_f32_u32_e32 v2, s3
	s_sub_i32 s8, 0, s3
	s_abs_i32 s7, s23
	s_ashr_i32 s6, s23, 31
	v_rcp_iflag_f32_e32 v2, v2
	s_nop 0
	v_mul_f32_e32 v2, 0x4f7ffffe, v2
	v_cvt_u32_f32_e32 v2, v2
	s_nop 0
	v_readfirstlane_b32 s9, v2
	s_mul_i32 s8, s8, s9
	s_mul_hi_u32 s8, s9, s8
	s_add_i32 s9, s9, s8
	s_mul_hi_u32 s8, s7, s9
	s_mul_i32 s8, s8, s3
	s_sub_i32 s7, s7, s8
	s_sub_i32 s8, s7, s3
	s_cmp_ge_u32 s7, s3
	s_cselect_b32 s7, s8, s7
	s_sub_i32 s8, s7, s3
	s_cmp_ge_u32 s7, s3
	s_cselect_b32 s3, s8, s7
	s_xor_b32 s3, s3, s6
	s_sub_i32 s3, s3, s6
	s_add_i32 s2, s2, s23
	s_sub_i32 s2, s2, s3
	s_cmp_eq_u32 s3, 0
	s_cselect_b32 s33, s23, s2
	v_cmp_gt_u32_e32 vcc, s33, v34
	s_and_b64 exec, exec, vcc
	s_cbranch_execz .LBB43_48
; %bb.8:
	s_load_dwordx8 s[12:19], s[0:1], 0x10
	s_min_u32 s40, s22, 0x4000
	s_cmp_lg_u32 s20, 0
	s_load_dwordx2 s[24:25], s[0:1], 0x30
	s_cselect_b64 s[2:3], -1, 0
	s_waitcnt lgkmcnt(0)
	v_cvt_f32_u32_e32 v2, s12
	s_cmp_lg_u32 s22, 0
	s_mul_i32 s0, s5, s4
	s_cselect_b64 s[6:7], -1, 0
	v_rcp_iflag_f32_e32 v2, v2
	s_lshl_b32 s41, s4, 8
	s_add_i32 s42, s20, -8
	s_add_i32 s43, s23, -1
	v_mul_f32_e32 v2, 0x4f7ffffe, v2
	v_cvt_u32_f32_e32 v2, v2
	s_lshl_b32 s44, s0, 1
	s_cmp_lg_u64 s[18:19], 0
	s_cselect_b64 s[8:9], -1, 0
	s_sub_i32 s5, 0, s12
	v_mul_lo_u32 v3, s5, v2
	s_abs_i32 s5, s13
	s_add_i32 s45, s23, -2
	s_sub_i32 s10, 1, s5
	s_cmp_lt_u32 s5, 2
	v_and_b32_e32 v0, 0x3ff, v0
	s_cselect_b32 s10, s10, 1
	v_lshlrev_b32_e32 v42, 3, v0
	v_cmp_eq_u32_e64 s[0:1], 31, v0
	s_sub_i32 s11, s10, s5
	v_lshlrev_b32_e32 v0, 4, v0
	s_cmp_ge_u32 s10, s5
	v_lshl_add_u32 v44, v1, 9, v0
	v_cndmask_b32_e64 v0, 0, 1, s[2:3]
	s_cselect_b32 s13, s11, s10
	s_add_u32 s28, s24, 2
	v_cmp_ne_u32_e64 s[2:3], 1, v0
	v_cndmask_b32_e64 v0, 0, 1, s[6:7]
	v_mul_hi_u32 v3, v2, v3
	s_addc_u32 s29, s25, 0
	s_lshl_b32 s47, s4, 9
	v_lshl_add_u32 v45, v1, 8, v42
	v_cmp_ne_u32_e64 s[4:5], 1, v0
	v_cndmask_b32_e64 v0, 0, 1, s[8:9]
	s_mov_b64 s[26:27], 0
	v_add_u32_e32 v43, v2, v3
	v_mov_b32_e32 v37, 0
	s_mul_i32 s13, s13, s12
	s_lshl_b32 s46, s40, 1
	v_add_u32_e32 v46, s22, v45
	v_cmp_ne_u32_e64 s[6:7], 1, v0
	s_branch .LBB43_12
.LBB43_9:                               ;   in Loop: Header=BB43_12 Depth=1
	s_or_b64 exec, exec, s[34:35]
	v_mov_b32_e32 v34, s45
.LBB43_10:                              ;   in Loop: Header=BB43_12 Depth=1
	s_or_b64 exec, exec, s[30:31]
.LBB43_11:                              ;   in Loop: Header=BB43_12 Depth=1
	s_or_b64 exec, exec, s[10:11]
	v_cmp_le_u32_e32 vcc, s33, v34
	s_or_b64 s[26:27], vcc, s[26:27]
	s_andn2_b64 exec, exec, s[26:27]
	s_cbranch_execz .LBB43_48
.LBB43_12:                              ; =>This Loop Header: Depth=1
                                        ;     Child Loop BB43_17 Depth 2
                                        ;       Child Loop BB43_22 Depth 3
                                        ;     Child Loop BB43_43 Depth 2
	s_mov_b32 s36, 0
	s_and_b64 vcc, exec, s[2:3]
	v_mov_b32_e32 v49, v37
	v_mov_b32_e32 v48, v37
	;; [unrolled: 1-line block ×4, first 2 shown]
	s_cbranch_vccnz .LBB43_29
; %bb.13:                               ;   in Loop: Header=BB43_12 Depth=1
	v_min_u32_e32 v0, s43, v34
	v_mul_lo_u32 v36, v0, s21
	v_add_u32_e32 v0, 1, v34
	v_min_u32_e32 v0, s43, v0
	v_mul_lo_u32 v0, v0, s21
	v_mov_b32_e32 v1, v37
	v_cmp_gt_u32_e64 s[8:9], s23, v34
	v_mov_b32_e32 v35, 0
	v_lshlrev_b64 v[38:39], 1, v[36:37]
	v_lshlrev_b64 v[40:41], 1, v[0:1]
	v_mov_b32_e32 v47, 0
	v_mov_b32_e32 v48, 0
	;; [unrolled: 1-line block ×3, first 2 shown]
	s_mov_b32 s37, 0
	s_branch .LBB43_17
.LBB43_14:                              ;   in Loop: Header=BB43_17 Depth=2
	s_or_b64 exec, exec, s[34:35]
.LBB43_15:                              ;   in Loop: Header=BB43_17 Depth=2
	s_or_b64 exec, exec, s[30:31]
	s_waitcnt vmcnt(3) lgkmcnt(1)
	;;#ASMSTART
	v_dot2c_f32_f16 v49, v28, v20
	;;#ASMEND
	s_waitcnt vmcnt(2)
	;;#ASMSTART
	v_dot2c_f32_f16 v48, v28, v12
	;;#ASMEND
	s_waitcnt lgkmcnt(0)
	;;#ASMSTART
	v_dot2c_f32_f16 v47, v24, v20
	;;#ASMEND
	;;#ASMSTART
	v_dot2c_f32_f16 v35, v24, v12
	;;#ASMEND
	;;#ASMSTART
	v_dot2c_f32_f16 v49, v29, v21
	;;#ASMEND
	;;#ASMSTART
	v_dot2c_f32_f16 v48, v29, v13
	;;#ASMEND
	s_nop 0
	;;#ASMSTART
	v_dot2c_f32_f16 v47, v25, v21
	;;#ASMEND
	;;#ASMSTART
	v_dot2c_f32_f16 v35, v25, v13
	;;#ASMEND
	;;#ASMSTART
	v_dot2c_f32_f16 v49, v30, v22
	;;#ASMEND
	;;#ASMSTART
	v_dot2c_f32_f16 v48, v30, v14
	;;#ASMEND
	s_nop 0
	;; [unrolled: 13-line block ×3, first 2 shown]
	;;#ASMSTART
	v_dot2c_f32_f16 v47, v27, v23
	;;#ASMEND
	;;#ASMSTART
	v_dot2c_f32_f16 v35, v27, v15
	;;#ASMEND
	s_waitcnt vmcnt(1)
	;;#ASMSTART
	v_dot2c_f32_f16 v49, v16, v4
	;;#ASMEND
	s_waitcnt vmcnt(0)
	;;#ASMSTART
	v_dot2c_f32_f16 v48, v16, v0
	;;#ASMEND
	;;#ASMSTART
	v_dot2c_f32_f16 v47, v8, v4
	;;#ASMEND
	;;#ASMSTART
	v_dot2c_f32_f16 v35, v8, v0
	;;#ASMEND
	;;#ASMSTART
	v_dot2c_f32_f16 v49, v17, v5
	;;#ASMEND
	s_nop 0
	;;#ASMSTART
	v_dot2c_f32_f16 v48, v17, v1
	;;#ASMEND
	;;#ASMSTART
	v_dot2c_f32_f16 v47, v9, v5
	;;#ASMEND
	;;#ASMSTART
	v_dot2c_f32_f16 v35, v9, v1
	;;#ASMEND
	;;#ASMSTART
	v_dot2c_f32_f16 v49, v18, v6
	;;#ASMEND
	s_nop 0
	;; [unrolled: 13-line block ×3, first 2 shown]
	;;#ASMSTART
	v_dot2c_f32_f16 v48, v19, v3
	;;#ASMEND
	;;#ASMSTART
	v_dot2c_f32_f16 v47, v11, v7
	;;#ASMEND
	;; [unrolled: 3-line block ×3, first 2 shown]
.LBB43_16:                              ;   in Loop: Header=BB43_17 Depth=2
	s_or_b64 exec, exec, s[10:11]
	s_addk_i32 s37, 0x200
	s_cmp_ge_u32 s37, s20
	s_cbranch_scc1 .LBB43_29
.LBB43_17:                              ;   Parent Loop BB43_12 Depth=1
                                        ; =>  This Loop Header: Depth=2
                                        ;       Child Loop BB43_22 Depth 3
	s_cmp_eq_u32 s37, 0
	s_cselect_b64 s[10:11], -1, 0
	s_add_i32 s30, s36, s40
	s_cmp_eq_u32 s37, s30
	s_cselect_b64 s[34:35], -1, 0
	s_or_b64 s[34:35], s[10:11], s[34:35]
	s_andn2_b64 vcc, exec, s[34:35]
	s_cbranch_vccz .LBB43_19
; %bb.18:                               ;   in Loop: Header=BB43_17 Depth=2
	s_and_saveexec_b64 s[10:11], s[8:9]
	s_cbranch_execz .LBB43_16
	s_branch .LBB43_26
.LBB43_19:                              ;   in Loop: Header=BB43_17 Depth=2
	s_and_b64 s[10:11], s[10:11], exec
	s_cselect_b32 s36, s36, s30
	s_and_b64 vcc, exec, s[4:5]
	s_barrier
	s_cbranch_vccnz .LBB43_25
; %bb.20:                               ;   in Loop: Header=BB43_17 Depth=2
	v_add_u32_e32 v0, s36, v46
	v_add_u32_e32 v1, s36, v45
	s_mov_b32 s38, 0
	s_mov_b64 s[30:31], 0
	v_mov_b32_e32 v2, v44
                                        ; implicit-def: $sgpr34_sgpr35
	s_branch .LBB43_22
.LBB43_21:                              ;   in Loop: Header=BB43_22 Depth=3
	s_or_b64 exec, exec, s[10:11]
	s_and_b64 s[10:11], exec, s[34:35]
	s_or_b64 s[30:31], s[10:11], s[30:31]
	s_andn2_b64 exec, exec, s[30:31]
	s_cbranch_execz .LBB43_24
.LBB43_22:                              ;   Parent Loop BB43_12 Depth=1
                                        ;     Parent Loop BB43_17 Depth=2
                                        ; =>    This Inner Loop Header: Depth=3
	v_add_u32_e32 v3, s38, v45
	v_add_u32_e32 v36, s38, v1
	v_cmp_gt_u32_e32 vcc, s22, v36
	v_cmp_gt_u32_e64 s[10:11], s40, v3
	s_and_b64 s[48:49], s[10:11], vcc
	s_or_b64 s[34:35], s[34:35], exec
	s_and_saveexec_b64 s[10:11], s[48:49]
	s_cbranch_execz .LBB43_21
; %bb.23:                               ;   in Loop: Header=BB43_22 Depth=3
	v_lshl_add_u64 v[4:5], v[36:37], 1, s[16:17]
	v_add_u32_e32 v36, s38, v0
	global_load_dwordx4 v[4:7], v[4:5], off
	s_waitcnt vmcnt(2)
	v_lshl_add_u64 v[8:9], v[36:37], 1, s[16:17]
	global_load_dwordx4 v[8:11], v[8:9], off
	s_add_i32 s38, s38, s41
	s_cmp_ge_u32 s38, s40
	s_cselect_b64 s[48:49], -1, 0
	s_andn2_b64 s[34:35], s[34:35], exec
	s_and_b64 s[48:49], s[48:49], exec
	v_add_u32_e32 v3, s46, v2
	s_or_b64 s[34:35], s[34:35], s[48:49]
	s_waitcnt vmcnt(1)
	ds_write_b128 v2, v[4:7]
	v_add_u32_e32 v2, s47, v2
	s_waitcnt vmcnt(0)
	ds_write2_b64 v3, v[8:9], v[10:11] offset1:1
	s_branch .LBB43_21
.LBB43_24:                              ;   in Loop: Header=BB43_17 Depth=2
	s_or_b64 exec, exec, s[30:31]
.LBB43_25:                              ;   in Loop: Header=BB43_17 Depth=2
	s_waitcnt lgkmcnt(0)
	s_barrier
	s_and_saveexec_b64 s[10:11], s[8:9]
	s_cbranch_execz .LBB43_16
.LBB43_26:                              ;   in Loop: Header=BB43_17 Depth=2
	v_add_u32_e32 v50, s37, v42
	v_min_u32_e32 v36, s42, v50
	v_lshl_add_u64 v[0:1], v[36:37], 1, s[14:15]
	v_add_u32_e32 v51, 0x100, v50
	v_lshl_add_u64 v[2:3], v[0:1], 0, v[38:39]
	v_lshl_add_u64 v[0:1], v[0:1], 0, v[40:41]
	v_min_u32_e32 v36, s42, v51
	global_load_dwordx4 v[20:23], v[2:3], off nt
	global_load_dwordx4 v[12:15], v[0:1], off nt
	v_lshl_add_u64 v[0:1], v[36:37], 1, s[14:15]
	s_waitcnt vmcnt(3)
	v_lshl_add_u64 v[8:9], v[0:1], 0, v[38:39]
	v_lshl_add_u64 v[10:11], v[0:1], 0, v[40:41]
	global_load_dwordx4 v[4:7], v[8:9], off nt
	global_load_dwordx4 v[0:3], v[10:11], off nt
	v_cmp_gt_u32_e32 vcc, s20, v50
	v_mov_b32_e32 v28, 0
	v_mov_b32_e32 v29, 0
	;; [unrolled: 1-line block ×16, first 2 shown]
	s_and_saveexec_b64 s[30:31], vcc
	s_cbranch_execz .LBB43_15
; %bb.27:                               ;   in Loop: Header=BB43_17 Depth=2
	v_subrev_u32_e32 v8, s36, v50
	v_lshlrev_b32_e32 v50, 1, v8
	v_lshl_add_u32 v36, s40, 1, v50
	ds_read_b128 v[28:31], v50
	ds_read_b128 v[24:27], v36
	v_cmp_gt_u32_e32 vcc, s20, v51
	v_mov_b32_e32 v11, 0
	v_mov_b32_e32 v10, 0
	;; [unrolled: 1-line block ×8, first 2 shown]
	s_and_saveexec_b64 s[34:35], vcc
	s_cbranch_execz .LBB43_14
; %bb.28:                               ;   in Loop: Header=BB43_17 Depth=2
	ds_read_b128 v[16:19], v50 offset:512
	ds_read_b128 v[8:11], v36 offset:512
	s_branch .LBB43_14
.LBB43_29:                              ;   in Loop: Header=BB43_12 Depth=1
	v_cmp_le_u32_e32 vcc, s23, v34
	s_and_saveexec_b64 s[8:9], vcc
	s_xor_b64 s[8:9], exec, s[8:9]
; %bb.30:                               ;   in Loop: Header=BB43_12 Depth=1
	v_add_u32_e32 v34, s44, v34
                                        ; implicit-def: $vgpr49
                                        ; implicit-def: $vgpr48
                                        ; implicit-def: $vgpr47
                                        ; implicit-def: $vgpr35
; %bb.31:                               ;   in Loop: Header=BB43_12 Depth=1
	s_andn2_saveexec_b64 s[10:11], s[8:9]
	s_cbranch_execz .LBB43_11
; %bb.32:                               ;   in Loop: Header=BB43_12 Depth=1
	v_cvt_i32_f32_e32 v0, v49
	v_cvt_i32_f32_e32 v1, v48
	;; [unrolled: 1-line block ×4, first 2 shown]
	v_cvt_f32_i32_dpp v0, v0 row_shr:8 row_mask:0xf bank_mask:0xf bound_ctrl:1
	v_cvt_f32_i32_dpp v1, v1 row_shr:8 row_mask:0xf bank_mask:0xf bound_ctrl:1
	;; [unrolled: 1-line block ×4, first 2 shown]
	v_add_f32_e32 v0, v49, v0
	v_cvt_i32_f32_e32 v4, v0
	v_add_f32_e32 v1, v48, v1
	v_cvt_i32_f32_e32 v5, v1
	v_add_f32_e32 v2, v47, v2
	v_cvt_f32_i32_dpp v4, v4 row_shr:4 row_mask:0xf bank_mask:0xf bound_ctrl:1
	v_add_f32_e32 v3, v35, v3
	v_cvt_f32_i32_dpp v5, v5 row_shr:4 row_mask:0xf bank_mask:0xf bound_ctrl:1
	v_cvt_i32_f32_e32 v6, v2
	v_add_f32_e32 v0, v0, v4
	v_cvt_i32_f32_e32 v4, v0
	s_waitcnt vmcnt(0)
	v_cvt_i32_f32_e32 v7, v3
	v_add_f32_e32 v1, v1, v5
	v_cvt_i32_f32_e32 v5, v1
	v_cvt_f32_i32_dpp v4, v4 row_shr:2 row_mask:0xf bank_mask:0xf bound_ctrl:1
	v_cvt_f32_i32_dpp v6, v6 row_shr:4 row_mask:0xf bank_mask:0xf bound_ctrl:1
	;; [unrolled: 1-line block ×4, first 2 shown]
	v_add_f32_e32 v0, v0, v4
	v_cvt_i32_f32_e32 v4, v0
	v_add_f32_e32 v2, v2, v6
	v_add_f32_e32 v3, v3, v7
	v_cvt_i32_f32_e32 v6, v2
	v_cvt_f32_i32_dpp v4, v4 row_shr:1 row_mask:0xf bank_mask:0xf bound_ctrl:1
	v_add_f32_e32 v1, v1, v5
	v_cvt_i32_f32_e32 v7, v3
	v_cvt_i32_f32_e32 v5, v1
	v_add_f32_e32 v0, v0, v4
	v_cvt_f32_i32_dpp v6, v6 row_shr:2 row_mask:0xf bank_mask:0xf bound_ctrl:1
	v_cvt_f32_i32_dpp v7, v7 row_shr:2 row_mask:0xf bank_mask:0xf bound_ctrl:1
	v_cvt_i32_f32_e32 v4, v0
	v_cvt_f32_i32_dpp v5, v5 row_shr:1 row_mask:0xf bank_mask:0xf bound_ctrl:1
	v_add_f32_e32 v2, v2, v6
	v_add_f32_e32 v3, v3, v7
	v_cvt_f32_i32_dpp v4, v4 row_bcast:15 row_mask:0xf bank_mask:0xf bound_ctrl:1
	v_add_f32_e32 v1, v1, v5
	v_cvt_i32_f32_e32 v5, v2
	v_cvt_i32_f32_e32 v6, v3
	;; [unrolled: 1-line block ×3, first 2 shown]
	v_cvt_f32_i32_dpp v8, v5 row_shr:1 row_mask:0xf bank_mask:0xf bound_ctrl:1
	v_add_f32_e32 v5, v0, v4
	v_cvt_f32_i32_dpp v0, v6 row_shr:1 row_mask:0xf bank_mask:0xf bound_ctrl:1
	v_cvt_f32_i32_dpp v4, v7 row_bcast:15 row_mask:0xf bank_mask:0xf bound_ctrl:1
	v_add_f32_e32 v2, v2, v8
	v_cvt_i32_f32_e32 v6, v2
	v_add_f32_e32 v0, v3, v0
	v_cvt_i32_f32_e32 v3, v0
	v_add_f32_e32 v4, v1, v4
	v_cvt_f32_i32_dpp v6, v6 row_bcast:15 row_mask:0xf bank_mask:0xf bound_ctrl:1
	v_cvt_i32_f32_e32 v7, v5
	v_cvt_f32_i32_dpp v1, v3 row_bcast:15 row_mask:0xf bank_mask:0xf bound_ctrl:1
	v_cvt_i32_f32_e32 v3, v4
	v_add_f32_e32 v2, v2, v6
	v_cvt_i32_f32_e32 v9, v2
	v_add_f32_e32 v0, v0, v1
	v_cvt_i32_f32_e32 v1, v0
	v_mov_b32_dpp v8, v7 row_bcast:31 row_mask:0xf bank_mask:0xf bound_ctrl:1
	v_mov_b32_dpp v6, v3 row_bcast:31 row_mask:0xf bank_mask:0xf bound_ctrl:1
	;; [unrolled: 1-line block ×4, first 2 shown]
	s_and_saveexec_b64 s[30:31], s[0:1]
	s_cbranch_execz .LBB43_40
; %bb.33:                               ;   in Loop: Header=BB43_12 Depth=1
	s_and_b64 vcc, exec, s[6:7]
	v_mov_b32_e32 v7, 0
	v_mov_b32_e32 v9, 0
	;; [unrolled: 1-line block ×4, first 2 shown]
	s_cbranch_vccnz .LBB43_35
; %bb.34:                               ;   in Loop: Header=BB43_12 Depth=1
	v_mul_hi_u32 v7, v34, v43
	v_mul_lo_u32 v7, v7, s12
	v_sub_u32_e32 v7, v34, v7
	v_subrev_u32_e32 v9, s12, v7
	v_cmp_le_u32_e32 vcc, s12, v7
	v_mov_b32_e32 v11, v37
	s_nop 0
	v_cndmask_b32_e32 v7, v7, v9, vcc
	v_subrev_u32_e32 v9, s12, v7
	v_cmp_le_u32_e32 vcc, s12, v7
	s_nop 1
	v_cndmask_b32_e32 v36, v7, v9, vcc
	v_add_u32_e32 v7, 1, v34
	v_mul_hi_u32 v9, v7, v43
	v_mul_lo_u32 v9, v9, s12
	v_sub_u32_e32 v7, v7, v9
	v_subrev_u32_e32 v9, s12, v7
	v_cmp_le_u32_e32 vcc, s12, v7
	v_lshl_add_u64 v[12:13], v[36:37], 1, s[18:19]
	v_add_u32_e32 v36, s13, v36
	v_cndmask_b32_e32 v7, v7, v9, vcc
	v_subrev_u32_e32 v9, s12, v7
	v_cmp_le_u32_e32 vcc, s12, v7
	v_lshl_add_u64 v[16:17], v[36:37], 1, s[18:19]
	s_nop 0
	v_cndmask_b32_e32 v10, v7, v9, vcc
	v_add_u32_e32 v36, s13, v10
	v_lshl_add_u64 v[14:15], v[10:11], 1, s[18:19]
	v_lshl_add_u64 v[18:19], v[36:37], 1, s[18:19]
	global_load_ushort v11, v[12:13], off
	global_load_ushort v10, v[14:15], off
	;; [unrolled: 1-line block ×4, first 2 shown]
.LBB43_35:                              ;   in Loop: Header=BB43_12 Depth=1
	v_cmp_ne_u32_e32 vcc, 0, v32
	s_and_saveexec_b64 s[8:9], vcc
	s_cbranch_execnz .LBB43_45
; %bb.36:                               ;   in Loop: Header=BB43_12 Depth=1
	s_or_b64 exec, exec, s[8:9]
	v_cmp_ne_u32_e64 s[8:9], 0, v33
	s_and_saveexec_b64 s[34:35], s[8:9]
	s_cbranch_execnz .LBB43_46
.LBB43_37:                              ;   in Loop: Header=BB43_12 Depth=1
	s_or_b64 exec, exec, s[34:35]
	v_add_u32_e32 v36, s23, v34
	s_and_saveexec_b64 s[34:35], vcc
	s_cbranch_execnz .LBB43_47
.LBB43_38:                              ;   in Loop: Header=BB43_12 Depth=1
	s_or_b64 exec, exec, s[34:35]
	s_and_b64 exec, exec, s[8:9]
	s_cbranch_execz .LBB43_40
.LBB43_39:                              ;   in Loop: Header=BB43_12 Depth=1
	v_cvt_f32_i32_e32 v1, v1
	s_waitcnt vmcnt(0)
	v_cvt_f32_f16_e32 v2, v7
	v_add_u32_e32 v36, 1, v36
	v_add_f32_e32 v0, v0, v1
	v_add_f32_e32 v0, v0, v2
	v_cvt_f16_f32_e32 v2, v0
	v_lshl_add_u64 v[0:1], v[36:37], 1, s[24:25]
	global_store_short v[0:1], v2, off
.LBB43_40:                              ;   in Loop: Header=BB43_12 Depth=1
	s_or_b64 exec, exec, s[30:31]
	v_add_u32_e32 v34, s44, v34
	v_add_u32_e32 v0, 2, v34
	v_cmp_gt_u32_e32 vcc, s23, v34
	v_cmp_le_u32_e64 s[8:9], s23, v0
	s_and_b64 s[8:9], vcc, s[8:9]
	s_and_saveexec_b64 s[30:31], s[8:9]
	s_cbranch_execz .LBB43_10
; %bb.41:                               ;   in Loop: Header=BB43_12 Depth=1
	v_cmp_ne_u32_e32 vcc, s45, v34
	s_and_saveexec_b64 s[34:35], vcc
	s_cbranch_execz .LBB43_9
; %bb.42:                               ;   in Loop: Header=BB43_12 Depth=1
	v_subrev_u32_e32 v0, s45, v34
	v_cmp_lt_u32_e32 vcc, 1, v0
	s_mov_b64 s[36:37], 0
	s_mov_b64 s[38:39], 0
	v_cndmask_b32_e32 v0, 1, v0, vcc
.LBB43_43:                              ;   Parent Loop BB43_12 Depth=1
                                        ; =>  This Inner Loop Header: Depth=2
	s_cmp_lg_u32 s38, 1
	s_cselect_b64 vcc, -1, 0
	s_cmp_lg_u32 s38, 0
	v_cndmask_b32_e32 v33, 0, v33, vcc
	s_cselect_b64 vcc, -1, 0
	s_add_u32 s38, s38, 1
	s_addc_u32 s39, s39, 0
	v_cmp_eq_u32_e64 s[8:9], s38, v0
	s_or_b64 s[36:37], s[8:9], s[36:37]
	v_cndmask_b32_e32 v32, 0, v32, vcc
	s_andn2_b64 exec, exec, s[36:37]
	s_cbranch_execnz .LBB43_43
; %bb.44:                               ;   in Loop: Header=BB43_12 Depth=1
	s_or_b64 exec, exec, s[36:37]
	s_branch .LBB43_9
.LBB43_45:                              ;   in Loop: Header=BB43_12 Depth=1
	v_cvt_f32_i32_e32 v8, v8
	s_waitcnt vmcnt(3)
	v_cvt_f32_f16_e32 v11, v11
	v_mov_b32_e32 v35, v37
	v_lshl_add_u64 v[12:13], v[34:35], 1, s[24:25]
	v_add_f32_e32 v5, v5, v8
	v_add_f32_e32 v5, v5, v11
	v_cvt_f16_f32_e32 v5, v5
	global_store_short v[12:13], v5, off
	s_or_b64 exec, exec, s[8:9]
	v_cmp_ne_u32_e64 s[8:9], 0, v33
	s_and_saveexec_b64 s[34:35], s[8:9]
	s_cbranch_execz .LBB43_37
.LBB43_46:                              ;   in Loop: Header=BB43_12 Depth=1
	v_cvt_f32_i32_e32 v5, v6
	s_waitcnt vmcnt(2)
	v_cvt_f32_f16_e32 v6, v10
	v_mov_b32_e32 v35, v37
	v_add_f32_e32 v4, v4, v5
	v_add_f32_e32 v4, v4, v6
	v_cvt_f16_f32_e32 v6, v4
	v_lshl_add_u64 v[4:5], v[34:35], 1, s[28:29]
	global_store_short v[4:5], v6, off
	s_or_b64 exec, exec, s[34:35]
	v_add_u32_e32 v36, s23, v34
	s_and_saveexec_b64 s[34:35], vcc
	s_cbranch_execz .LBB43_38
.LBB43_47:                              ;   in Loop: Header=BB43_12 Depth=1
	v_cvt_f32_i32_e32 v3, v3
	s_waitcnt vmcnt(1)
	v_cvt_f32_f16_e32 v4, v9
	v_add_f32_e32 v2, v2, v3
	v_add_f32_e32 v2, v2, v4
	v_cvt_f16_f32_e32 v4, v2
	v_lshl_add_u64 v[2:3], v[36:37], 1, s[24:25]
	global_store_short v[2:3], v4, off
	s_or_b64 exec, exec, s[34:35]
	s_and_b64 exec, exec, s[8:9]
	s_cbranch_execnz .LBB43_39
	s_branch .LBB43_40
.LBB43_48:
	s_endpgm
	.section	.rodata,"a",@progbits
	.p2align	6, 0x0
	.amdhsa_kernel _Z16wvSplitK_hf_big_I6__halfLi32ELi2ELi16ELi8ELi2ELi2EEviiiiiiPKT_S3_S3_PS1_ii
		.amdhsa_group_segment_fixed_size 65536
		.amdhsa_private_segment_fixed_size 0
		.amdhsa_kernarg_size 64
		.amdhsa_user_sgpr_count 2
		.amdhsa_user_sgpr_dispatch_ptr 0
		.amdhsa_user_sgpr_queue_ptr 0
		.amdhsa_user_sgpr_kernarg_segment_ptr 1
		.amdhsa_user_sgpr_dispatch_id 0
		.amdhsa_user_sgpr_kernarg_preload_length 0
		.amdhsa_user_sgpr_kernarg_preload_offset 0
		.amdhsa_user_sgpr_private_segment_size 0
		.amdhsa_uses_dynamic_stack 0
		.amdhsa_enable_private_segment 0
		.amdhsa_system_sgpr_workgroup_id_x 1
		.amdhsa_system_sgpr_workgroup_id_y 0
		.amdhsa_system_sgpr_workgroup_id_z 0
		.amdhsa_system_sgpr_workgroup_info 0
		.amdhsa_system_vgpr_workitem_id 1
		.amdhsa_next_free_vgpr 52
		.amdhsa_next_free_sgpr 50
		.amdhsa_accum_offset 52
		.amdhsa_reserve_vcc 1
		.amdhsa_float_round_mode_32 0
		.amdhsa_float_round_mode_16_64 0
		.amdhsa_float_denorm_mode_32 3
		.amdhsa_float_denorm_mode_16_64 3
		.amdhsa_dx10_clamp 1
		.amdhsa_ieee_mode 1
		.amdhsa_fp16_overflow 0
		.amdhsa_tg_split 0
		.amdhsa_exception_fp_ieee_invalid_op 0
		.amdhsa_exception_fp_denorm_src 0
		.amdhsa_exception_fp_ieee_div_zero 0
		.amdhsa_exception_fp_ieee_overflow 0
		.amdhsa_exception_fp_ieee_underflow 0
		.amdhsa_exception_fp_ieee_inexact 0
		.amdhsa_exception_int_div_zero 0
	.end_amdhsa_kernel
	.section	.text._Z16wvSplitK_hf_big_I6__halfLi32ELi2ELi16ELi8ELi2ELi2EEviiiiiiPKT_S3_S3_PS1_ii,"axG",@progbits,_Z16wvSplitK_hf_big_I6__halfLi32ELi2ELi16ELi8ELi2ELi2EEviiiiiiPKT_S3_S3_PS1_ii,comdat
.Lfunc_end43:
	.size	_Z16wvSplitK_hf_big_I6__halfLi32ELi2ELi16ELi8ELi2ELi2EEviiiiiiPKT_S3_S3_PS1_ii, .Lfunc_end43-_Z16wvSplitK_hf_big_I6__halfLi32ELi2ELi16ELi8ELi2ELi2EEviiiiiiPKT_S3_S3_PS1_ii
                                        ; -- End function
	.section	.AMDGPU.csdata,"",@progbits
; Kernel info:
; codeLenInByte = 2640
; NumSgprs: 56
; NumVgprs: 52
; NumAgprs: 0
; TotalNumVgprs: 52
; ScratchSize: 0
; MemoryBound: 0
; FloatMode: 240
; IeeeMode: 1
; LDSByteSize: 65536 bytes/workgroup (compile time only)
; SGPRBlocks: 6
; VGPRBlocks: 6
; NumSGPRsForWavesPerEU: 56
; NumVGPRsForWavesPerEU: 52
; AccumOffset: 52
; Occupancy: 2
; WaveLimiterHint : 0
; COMPUTE_PGM_RSRC2:SCRATCH_EN: 0
; COMPUTE_PGM_RSRC2:USER_SGPR: 2
; COMPUTE_PGM_RSRC2:TRAP_HANDLER: 0
; COMPUTE_PGM_RSRC2:TGID_X_EN: 1
; COMPUTE_PGM_RSRC2:TGID_Y_EN: 0
; COMPUTE_PGM_RSRC2:TGID_Z_EN: 0
; COMPUTE_PGM_RSRC2:TIDIG_COMP_CNT: 1
; COMPUTE_PGM_RSRC3_GFX90A:ACCUM_OFFSET: 12
; COMPUTE_PGM_RSRC3_GFX90A:TG_SPLIT: 0
	.section	.text._Z16wvSplitK_hf_sml_I6__halfLi32ELi3ELi16ELi8ELi2ELi2EEviiiiiiPKT_S3_S3_PS1_ii,"axG",@progbits,_Z16wvSplitK_hf_sml_I6__halfLi32ELi3ELi16ELi8ELi2ELi2EEviiiiiiPKT_S3_S3_PS1_ii,comdat
	.protected	_Z16wvSplitK_hf_sml_I6__halfLi32ELi3ELi16ELi8ELi2ELi2EEviiiiiiPKT_S3_S3_PS1_ii ; -- Begin function _Z16wvSplitK_hf_sml_I6__halfLi32ELi3ELi16ELi8ELi2ELi2EEviiiiiiPKT_S3_S3_PS1_ii
	.globl	_Z16wvSplitK_hf_sml_I6__halfLi32ELi3ELi16ELi8ELi2ELi2EEviiiiiiPKT_S3_S3_PS1_ii
	.p2align	8
	.type	_Z16wvSplitK_hf_sml_I6__halfLi32ELi3ELi16ELi8ELi2ELi2EEviiiiiiPKT_S3_S3_PS1_ii,@function
_Z16wvSplitK_hf_sml_I6__halfLi32ELi3ELi16ELi8ELi2ELi2EEviiiiiiPKT_S3_S3_PS1_ii: ; @_Z16wvSplitK_hf_sml_I6__halfLi32ELi3ELi16ELi8ELi2ELi2EEviiiiiiPKT_S3_S3_PS1_ii
; %bb.0:
	s_load_dwordx4 s[4:7], s[0:1], 0x0
	v_and_b32_e32 v4, 0x3ff, v0
	v_bfe_u32 v5, v0, 10, 10
	v_lshlrev_b32_e32 v54, 3, v4
	v_lshl_add_u32 v6, v5, 8, v54
	s_waitcnt lgkmcnt(0)
	s_lshl_b32 s6, s6, 1
	s_min_u32 s3, s6, 0x8000
	v_cmp_gt_u32_e32 vcc, s3, v6
	s_and_saveexec_b64 s[8:9], vcc
	s_cbranch_execz .LBB44_9
; %bb.1:
	s_load_dwordx2 s[10:11], s[0:1], 0x20
	v_lshlrev_b32_e32 v0, 1, v6
	v_add_u32_e32 v1, 0x1000, v6
	v_cmp_gt_u32_e32 vcc, s3, v1
	s_waitcnt lgkmcnt(0)
	global_load_dwordx4 v[8:11], v0, s[10:11]
	s_waitcnt vmcnt(0)
	ds_write_b128 v0, v[8:11]
	s_and_saveexec_b64 s[12:13], vcc
	s_xor_b64 s[12:13], exec, s[12:13]
	s_cbranch_execz .LBB44_9
; %bb.2:
	v_mov_b32_e32 v1, 0
	v_lshl_add_u64 v[2:3], s[10:11], 0, v[0:1]
	v_add_co_u32_e32 v8, vcc, 0x2000, v2
	v_add_u32_e32 v1, 0x2000, v6
	s_nop 0
	v_addc_co_u32_e32 v9, vcc, 0, v3, vcc
	global_load_dwordx4 v[8:11], v[8:9], off
	v_cmp_gt_u32_e32 vcc, s3, v1
	s_waitcnt vmcnt(0)
	ds_write_b128 v0, v[8:11] offset:8192
	s_and_saveexec_b64 s[10:11], vcc
	s_xor_b64 s[10:11], exec, s[10:11]
	s_cbranch_execz .LBB44_9
; %bb.3:
	v_add_co_u32_e32 v8, vcc, 0x4000, v2
	v_add_u32_e32 v1, 0x3000, v6
	s_nop 0
	v_addc_co_u32_e32 v9, vcc, 0, v3, vcc
	global_load_dwordx4 v[8:11], v[8:9], off
	v_cmp_gt_u32_e32 vcc, s3, v1
	s_waitcnt vmcnt(0)
	ds_write_b128 v0, v[8:11] offset:16384
	s_and_saveexec_b64 s[10:11], vcc
	s_xor_b64 s[10:11], exec, s[10:11]
	s_cbranch_execz .LBB44_9
; %bb.4:
	;; [unrolled: 12-line block ×6, first 2 shown]
	v_add_co_u32_e32 v2, vcc, 0xe000, v2
	s_nop 1
	v_addc_co_u32_e32 v3, vcc, 0, v3, vcc
	global_load_dwordx4 v[6:9], v[2:3], off
	s_waitcnt vmcnt(0)
	ds_write_b128 v0, v[6:9] offset:57344
.LBB44_9:
	s_or_b64 exec, exec, s[8:9]
	s_load_dwordx2 s[16:17], s[0:1], 0x38
	s_waitcnt lgkmcnt(0)
	s_barrier
	v_cmp_gt_u32_e32 vcc, s16, v5
	s_and_saveexec_b64 s[8:9], vcc
	s_cbranch_execz .LBB44_26
; %bb.10:
	s_load_dwordx2 s[12:13], s[0:1], 0x10
	s_mul_i32 s2, s2, s16
	v_add_u32_e32 v0, s2, v5
	v_lshl_add_u32 v40, v0, 1, v0
	v_cmp_gt_u32_e32 vcc, s7, v40
	s_and_b64 exec, exec, vcc
	s_cbranch_execz .LBB44_26
; %bb.11:
	s_waitcnt lgkmcnt(0)
	v_cvt_f32_u32_e32 v0, s12
	s_load_dwordx4 s[8:11], s[0:1], 0x28
	s_load_dwordx2 s[14:15], s[0:1], 0x18
	s_cmp_lg_u32 s4, 0
	s_cselect_b64 s[2:3], -1, 0
	v_rcp_iflag_f32_e32 v0, v0
	s_add_i32 s24, s4, -8
	s_add_i32 s25, s7, -1
	s_waitcnt lgkmcnt(0)
	s_cmp_lg_u64 s[8:9], 0
	v_mul_f32_e32 v0, 0x4f7ffffe, v0
	v_cvt_u32_f32_e32 v0, v0
	s_cselect_b64 s[18:19], -1, 0
	s_sub_i32 s20, 0, s12
	s_abs_i32 s13, s13
	v_mul_lo_u32 v1, s20, v0
	s_sub_i32 s20, 1, s13
	s_cmp_lt_u32 s13, 2
	s_cselect_b32 s20, s20, 1
	s_sub_i32 s21, s20, s13
	v_mul_hi_u32 v1, v0, v1
	s_cmp_ge_u32 s20, s13
	s_mul_i32 s26, s16, s17
	v_add_u32_e32 v55, v0, v1
	s_cselect_b32 s13, s21, s20
	v_cndmask_b32_e64 v0, 0, 1, s[2:3]
	v_cmp_eq_u32_e64 s[0:1], 31, v4
	s_mov_b64 s[16:17], 0
	s_mul_i32 s26, s26, 3
	s_mul_i32 s13, s13, s12
	v_lshlrev_b32_e32 v56, 4, v4
	v_cmp_ne_u32_e64 s[2:3], 1, v0
	v_mov_b32_e32 v43, 0
	s_branch .LBB44_14
.LBB44_12:                              ;   in Loop: Header=BB44_14 Depth=1
	v_cvt_f32_i32_e32 v3, v3
	v_cvt_f32_i32_e32 v2, v2
	;; [unrolled: 1-line block ×3, first 2 shown]
	v_add_u32_e32 v42, s7, v40
	v_add_f32_e32 v0, v0, v3
	v_add_f32_e32 v2, v1, v2
	v_cvt_f32_i32_e32 v1, v10
	v_add_f32_e32 v3, v4, v11
	v_cvt_f32_i32_e32 v4, v9
	s_waitcnt vmcnt(5)
	v_cvt_f32_f16_e32 v9, v17
	v_add_f32_e32 v5, v5, v1
	v_cvt_f32_i32_e32 v1, v8
	v_add_f32_e32 v4, v7, v4
	v_add_f32_e32 v0, v0, v9
	v_cvt_f16_f32_e32 v7, v0
	v_add_f32_e32 v6, v6, v1
	s_waitcnt vmcnt(4)
	v_cvt_f32_f16_e32 v8, v16
	v_lshl_add_u64 v[0:1], v[40:41], 1, s[10:11]
	global_store_short v[0:1], v7, off
	s_waitcnt vmcnt(4)
	v_cvt_f32_f16_e32 v7, v15
	v_add_f32_e32 v0, v2, v8
	v_cvt_f16_f32_e32 v2, v0
	v_lshl_add_u64 v[0:1], v[46:47], 1, s[10:11]
	v_add_f32_e32 v3, v3, v7
	v_cvt_f16_f32_e32 v3, v3
	s_waitcnt vmcnt(3)
	v_cvt_f32_f16_e32 v7, v14
	global_store_short v[0:1], v2, off
	v_lshl_add_u64 v[0:1], v[44:45], 1, s[10:11]
	global_store_short v[0:1], v3, off
	v_add_f32_e32 v0, v5, v7
	v_cvt_f16_f32_e32 v2, v0
	s_waitcnt vmcnt(4)
	v_cvt_f32_f16_e32 v3, v13
	v_lshl_add_u64 v[0:1], v[42:43], 1, s[10:11]
	global_store_short v[0:1], v2, off
	v_add_f32_e32 v0, v4, v3
	s_waitcnt vmcnt(4)
	v_cvt_f32_f16_e32 v3, v12
	v_cvt_f16_f32_e32 v2, v0
	v_add_u32_e32 v0, 1, v42
	v_mov_b32_e32 v1, v43
	v_add_f32_e32 v3, v6, v3
	v_cvt_f16_f32_e32 v3, v3
	v_lshl_add_u64 v[0:1], v[0:1], 1, s[10:11]
	v_add_u32_e32 v42, 2, v42
	global_store_short v[0:1], v2, off
	v_lshl_add_u64 v[0:1], v[42:43], 1, s[10:11]
	global_store_short v[0:1], v3, off
.LBB44_13:                              ;   in Loop: Header=BB44_14 Depth=1
	s_or_b64 exec, exec, s[20:21]
	v_add_u32_e32 v40, s26, v40
	v_cmp_le_u32_e32 vcc, s7, v40
	s_or_b64 s[16:17], vcc, s[16:17]
	s_andn2_b64 exec, exec, s[16:17]
	s_cbranch_execz .LBB44_26
.LBB44_14:                              ; =>This Loop Header: Depth=1
                                        ;     Child Loop BB44_18 Depth 2
	s_mov_b32 s27, 0
	s_and_b64 vcc, exec, s[2:3]
	v_add_u32_e32 v46, 1, v40
	v_add_u32_e32 v44, 2, v40
	v_mov_b32_e32 v59, v43
	v_mov_b32_e32 v58, v43
	;; [unrolled: 1-line block ×6, first 2 shown]
	s_cbranch_vccnz .LBB44_21
; %bb.15:                               ;   in Loop: Header=BB44_14 Depth=1
	v_min_u32_e32 v0, s25, v40
	v_mul_lo_u32 v42, v0, s5
	v_min_u32_e32 v0, s25, v46
	v_min_u32_e32 v2, s25, v44
	v_mul_lo_u32 v0, v0, s5
	v_mov_b32_e32 v1, v43
	v_mul_lo_u32 v2, v2, s5
	v_mov_b32_e32 v3, v43
	v_mov_b32_e32 v41, 0
	v_lshlrev_b64 v[48:49], 1, v[42:43]
	v_lshlrev_b64 v[50:51], 1, v[0:1]
	;; [unrolled: 1-line block ×3, first 2 shown]
	v_mov_b32_e32 v60, v56
	v_mov_b32_e32 v45, 0
	;; [unrolled: 1-line block ×6, first 2 shown]
	s_branch .LBB44_18
.LBB44_16:                              ;   in Loop: Header=BB44_18 Depth=2
	s_or_b64 exec, exec, s[22:23]
.LBB44_17:                              ;   in Loop: Header=BB44_18 Depth=2
	s_or_b64 exec, exec, s[20:21]
	s_waitcnt vmcnt(5) lgkmcnt(1)
	;;#ASMSTART
	v_dot2c_f32_f16 v59, v36, v28
	;;#ASMEND
	s_waitcnt vmcnt(4)
	;;#ASMSTART
	v_dot2c_f32_f16 v58, v36, v24
	;;#ASMEND
	s_waitcnt vmcnt(3)
	;;#ASMSTART
	v_dot2c_f32_f16 v57, v36, v20
	;;#ASMEND
	s_waitcnt lgkmcnt(0)
	;;#ASMSTART
	v_dot2c_f32_f16 v47, v32, v28
	;;#ASMEND
	;;#ASMSTART
	v_dot2c_f32_f16 v45, v32, v24
	;;#ASMEND
	;;#ASMSTART
	v_dot2c_f32_f16 v41, v32, v20
	;;#ASMEND
	;;#ASMSTART
	v_dot2c_f32_f16 v59, v37, v29
	;;#ASMEND
	;;#ASMSTART
	v_dot2c_f32_f16 v58, v37, v25
	;;#ASMEND
	;;#ASMSTART
	v_dot2c_f32_f16 v57, v37, v21
	;;#ASMEND
	s_nop 0
	;;#ASMSTART
	v_dot2c_f32_f16 v47, v33, v29
	;;#ASMEND
	;;#ASMSTART
	v_dot2c_f32_f16 v45, v33, v25
	;;#ASMEND
	;;#ASMSTART
	v_dot2c_f32_f16 v41, v33, v21
	;;#ASMEND
	;;#ASMSTART
	v_dot2c_f32_f16 v59, v38, v30
	;;#ASMEND
	;;#ASMSTART
	v_dot2c_f32_f16 v58, v38, v26
	;;#ASMEND
	;;#ASMSTART
	v_dot2c_f32_f16 v57, v38, v22
	;;#ASMEND
	s_nop 0
	;; [unrolled: 19-line block ×3, first 2 shown]
	;;#ASMSTART
	v_dot2c_f32_f16 v47, v35, v31
	;;#ASMEND
	;;#ASMSTART
	v_dot2c_f32_f16 v45, v35, v27
	;;#ASMEND
	;; [unrolled: 3-line block ×3, first 2 shown]
	s_waitcnt vmcnt(2)
	;;#ASMSTART
	v_dot2c_f32_f16 v59, v16, v8
	;;#ASMEND
	s_waitcnt vmcnt(1)
	;;#ASMSTART
	v_dot2c_f32_f16 v58, v16, v4
	;;#ASMEND
	;; [unrolled: 4-line block ×3, first 2 shown]
	;;#ASMSTART
	v_dot2c_f32_f16 v47, v12, v8
	;;#ASMEND
	;;#ASMSTART
	v_dot2c_f32_f16 v45, v12, v4
	;;#ASMEND
	;;#ASMSTART
	v_dot2c_f32_f16 v41, v12, v0
	;;#ASMEND
	;;#ASMSTART
	v_dot2c_f32_f16 v59, v17, v9
	;;#ASMEND
	;;#ASMSTART
	v_dot2c_f32_f16 v58, v17, v5
	;;#ASMEND
	s_nop 0
	;;#ASMSTART
	v_dot2c_f32_f16 v57, v17, v1
	;;#ASMEND
	;;#ASMSTART
	v_dot2c_f32_f16 v47, v13, v9
	;;#ASMEND
	;; [unrolled: 3-line block ×4, first 2 shown]
	s_addk_i32 s27, 0x200
	;;#ASMSTART
	v_dot2c_f32_f16 v59, v18, v10
	;;#ASMEND
	;;#ASMSTART
	v_dot2c_f32_f16 v58, v18, v6
	;;#ASMEND
	;;#ASMSTART
	v_dot2c_f32_f16 v57, v18, v2
	;;#ASMEND
	;;#ASMSTART
	v_dot2c_f32_f16 v47, v14, v10
	;;#ASMEND
	;;#ASMSTART
	v_dot2c_f32_f16 v45, v14, v6
	;;#ASMEND
	;;#ASMSTART
	v_dot2c_f32_f16 v41, v14, v2
	;;#ASMEND
	s_cmp_ge_u32 s27, s4
	v_add_u32_e32 v60, 0x400, v60
	;;#ASMSTART
	v_dot2c_f32_f16 v59, v19, v11
	;;#ASMEND
	;;#ASMSTART
	v_dot2c_f32_f16 v58, v19, v7
	;;#ASMEND
	;; [unrolled: 3-line block ×6, first 2 shown]
	s_cbranch_scc1 .LBB44_21
.LBB44_18:                              ;   Parent Loop BB44_14 Depth=1
                                        ; =>  This Inner Loop Header: Depth=2
	v_add_u32_e32 v16, s27, v54
	v_min_u32_e32 v42, s24, v16
	v_lshl_add_u64 v[0:1], v[42:43], 1, s[14:15]
	v_add_u32_e32 v61, 0x100, v16
	v_lshl_add_u64 v[2:3], v[0:1], 0, v[48:49]
	v_min_u32_e32 v42, s24, v61
	v_lshl_add_u64 v[4:5], v[0:1], 0, v[50:51]
	global_load_dwordx4 v[28:31], v[2:3], off nt
	global_load_dwordx4 v[24:27], v[4:5], off nt
	v_lshl_add_u64 v[2:3], v[42:43], 1, s[14:15]
	v_lshl_add_u64 v[0:1], v[0:1], 0, v[52:53]
	;; [unrolled: 1-line block ×4, first 2 shown]
	global_load_dwordx4 v[20:23], v[0:1], off nt
	global_load_dwordx4 v[8:11], v[4:5], off nt
	v_lshl_add_u64 v[14:15], v[2:3], 0, v[52:53]
	global_load_dwordx4 v[4:7], v[12:13], off nt
	global_load_dwordx4 v[0:3], v[14:15], off nt
	v_cmp_gt_u32_e32 vcc, s4, v16
	v_mov_b32_e32 v36, 0
	v_mov_b32_e32 v37, 0
	;; [unrolled: 1-line block ×16, first 2 shown]
	s_and_saveexec_b64 s[20:21], vcc
	s_cbranch_execz .LBB44_17
; %bb.19:                               ;   in Loop: Header=BB44_18 Depth=2
	v_add_u32_e32 v42, s6, v60
	ds_read_b128 v[36:39], v60
	ds_read_b128 v[32:35], v42
	v_cmp_gt_u32_e32 vcc, s4, v61
	v_mov_b32_e32 v15, 0
	v_mov_b32_e32 v14, 0
	;; [unrolled: 1-line block ×8, first 2 shown]
	s_and_saveexec_b64 s[22:23], vcc
	s_cbranch_execz .LBB44_16
; %bb.20:                               ;   in Loop: Header=BB44_18 Depth=2
	ds_read_b128 v[16:19], v60 offset:512
	ds_read_b128 v[12:15], v42 offset:512
	s_branch .LBB44_16
.LBB44_21:                              ;   in Loop: Header=BB44_14 Depth=1
	; sched_barrier mask(0x00000000)
	v_cvt_i32_f32_e32 v0, v59
	v_cvt_i32_f32_e32 v1, v58
	;; [unrolled: 1-line block ×4, first 2 shown]
	v_cvt_f32_i32_dpp v0, v0 row_shr:8 row_mask:0xf bank_mask:0xf bound_ctrl:1
	v_cvt_f32_i32_dpp v1, v1 row_shr:8 row_mask:0xf bank_mask:0xf bound_ctrl:1
	;; [unrolled: 1-line block ×4, first 2 shown]
	v_add_f32_e32 v0, v59, v0
	v_add_f32_e32 v1, v58, v1
	v_cvt_i32_f32_e32 v2, v0
	v_cvt_i32_f32_e32 v3, v1
	v_add_f32_e32 v4, v57, v4
	v_cvt_i32_f32_e32 v6, v4
	v_cvt_f32_i32_dpp v2, v2 row_shr:4 row_mask:0xf bank_mask:0xf bound_ctrl:1
	v_cvt_f32_i32_dpp v3, v3 row_shr:4 row_mask:0xf bank_mask:0xf bound_ctrl:1
	v_add_f32_e32 v5, v47, v5
	v_cvt_f32_i32_dpp v6, v6 row_shr:4 row_mask:0xf bank_mask:0xf bound_ctrl:1
	v_add_f32_e32 v0, v0, v2
	v_add_f32_e32 v1, v1, v3
	v_cvt_i32_f32_e32 v2, v0
	v_cvt_i32_f32_e32 v3, v1
	v_add_f32_e32 v4, v4, v6
	v_cvt_i32_f32_e32 v6, v4
	v_cvt_f32_i32_dpp v2, v2 row_shr:2 row_mask:0xf bank_mask:0xf bound_ctrl:1
	v_cvt_f32_i32_dpp v3, v3 row_shr:2 row_mask:0xf bank_mask:0xf bound_ctrl:1
	v_cvt_i32_f32_e32 v7, v5
	v_cvt_f32_i32_dpp v6, v6 row_shr:2 row_mask:0xf bank_mask:0xf bound_ctrl:1
	v_add_f32_e32 v0, v0, v2
	v_add_f32_e32 v1, v1, v3
	v_cvt_i32_f32_e32 v2, v0
	v_cvt_i32_f32_e32 v3, v1
	v_add_f32_e32 v4, v4, v6
	v_cvt_i32_f32_e32 v6, v4
	v_cvt_f32_i32_dpp v2, v2 row_shr:1 row_mask:0xf bank_mask:0xf bound_ctrl:1
	v_cvt_f32_i32_dpp v3, v3 row_shr:1 row_mask:0xf bank_mask:0xf bound_ctrl:1
	;; [unrolled: 1-line block ×4, first 2 shown]
	v_add_f32_e32 v0, v0, v2
	v_add_f32_e32 v1, v1, v3
	v_cvt_i32_f32_e32 v2, v0
	v_cvt_i32_f32_e32 v3, v1
	v_add_f32_e32 v5, v5, v7
	v_cvt_i32_f32_e32 v7, v41
	v_cvt_f32_i32_dpp v2, v2 row_bcast:15 row_mask:0xf bank_mask:0xf bound_ctrl:1
	v_cvt_f32_i32_dpp v3, v3 row_bcast:15 row_mask:0xf bank_mask:0xf bound_ctrl:1
	v_add_f32_e32 v4, v4, v6
	v_cvt_f32_i32_dpp v6, v7 row_shr:8 row_mask:0xf bank_mask:0xf bound_ctrl:1
	v_add_f32_e32 v0, v0, v2
	v_add_f32_e32 v1, v1, v3
	v_cvt_i32_f32_e32 v2, v0
	v_cvt_i32_f32_e32 v8, v1
	;; [unrolled: 1-line block ×3, first 2 shown]
	v_add_f32_e32 v6, v41, v6
	v_mov_b32_dpp v3, v2 row_bcast:31 row_mask:0xf bank_mask:0xf bound_ctrl:1
	v_mov_b32_dpp v2, v8 row_bcast:31 row_mask:0xf bank_mask:0xf bound_ctrl:1
	v_cvt_i32_f32_e32 v8, v45
	v_cvt_f32_i32_dpp v7, v9 row_shr:2 row_mask:0xf bank_mask:0xf bound_ctrl:1
	v_cvt_i32_f32_e32 v10, v6
	v_cvt_i32_f32_e32 v11, v4
	v_cvt_f32_i32_dpp v8, v8 row_shr:8 row_mask:0xf bank_mask:0xf bound_ctrl:1
	v_add_f32_e32 v5, v5, v7
	v_cvt_f32_i32_dpp v7, v10 row_shr:4 row_mask:0xf bank_mask:0xf bound_ctrl:1
	v_cvt_i32_f32_e32 v10, v5
	v_add_f32_e32 v8, v45, v8
	v_cvt_i32_f32_e32 v9, v8
	v_add_f32_e32 v6, v6, v7
	v_cvt_i32_f32_e32 v7, v6
	v_cvt_f32_i32_dpp v10, v10 row_shr:1 row_mask:0xf bank_mask:0xf bound_ctrl:1
	v_cvt_f32_i32_dpp v9, v9 row_shr:4 row_mask:0xf bank_mask:0xf bound_ctrl:1
	v_cvt_f32_i32_dpp v11, v11 row_bcast:15 row_mask:0xf bank_mask:0xf bound_ctrl:1
	v_cvt_f32_i32_dpp v7, v7 row_shr:2 row_mask:0xf bank_mask:0xf bound_ctrl:1
	v_add_f32_e32 v5, v5, v10
	v_add_f32_e32 v8, v8, v9
	v_cvt_i32_f32_e32 v9, v8
	v_add_f32_e32 v6, v6, v7
	v_cvt_i32_f32_e32 v7, v6
	v_cvt_i32_f32_e32 v10, v5
	v_cvt_f32_i32_dpp v9, v9 row_shr:2 row_mask:0xf bank_mask:0xf bound_ctrl:1
	v_add_f32_e32 v4, v4, v11
	v_cvt_f32_i32_dpp v7, v7 row_shr:1 row_mask:0xf bank_mask:0xf bound_ctrl:1
	v_cvt_f32_i32_dpp v10, v10 row_bcast:15 row_mask:0xf bank_mask:0xf bound_ctrl:1
	v_add_f32_e32 v8, v8, v9
	v_cvt_i32_f32_e32 v9, v8
	v_add_f32_e32 v6, v6, v7
	v_cvt_i32_f32_e32 v7, v6
	v_add_f32_e32 v5, v5, v10
	v_cvt_f32_i32_dpp v9, v9 row_shr:1 row_mask:0xf bank_mask:0xf bound_ctrl:1
	v_cvt_i32_f32_e32 v11, v4
	v_cvt_f32_i32_dpp v10, v7 row_bcast:15 row_mask:0xf bank_mask:0xf bound_ctrl:1
	v_cvt_i32_f32_e32 v12, v5
	v_add_f32_e32 v8, v8, v9
	v_cvt_i32_f32_e32 v9, v8
	v_add_f32_e32 v6, v6, v10
	v_cvt_i32_f32_e32 v13, v6
	v_mov_b32_dpp v11, v11 row_bcast:31 row_mask:0xf bank_mask:0xf bound_ctrl:1
	v_cvt_f32_i32_dpp v9, v9 row_bcast:15 row_mask:0xf bank_mask:0xf bound_ctrl:1
	v_mov_b32_dpp v10, v12 row_bcast:31 row_mask:0xf bank_mask:0xf bound_ctrl:1
	v_add_f32_e32 v7, v8, v9
	v_cvt_i32_f32_e32 v8, v7
	s_nop 1
	v_mov_b32_dpp v9, v8 row_bcast:31 row_mask:0xf bank_mask:0xf bound_ctrl:1
	v_mov_b32_dpp v8, v13 row_bcast:31 row_mask:0xf bank_mask:0xf bound_ctrl:1
	s_and_saveexec_b64 s[20:21], s[0:1]
	s_cbranch_execz .LBB44_13
; %bb.22:                               ;   in Loop: Header=BB44_14 Depth=1
	s_and_b64 vcc, exec, s[18:19]
	s_cbranch_vccz .LBB44_24
; %bb.23:                               ;   in Loop: Header=BB44_14 Depth=1
	v_mul_hi_u32 v12, v40, v55
	v_mul_lo_u32 v12, v12, s12
	v_sub_u32_e32 v12, v40, v12
	v_subrev_u32_e32 v13, s12, v12
	v_cmp_le_u32_e32 vcc, s12, v12
	v_mov_b32_e32 v15, v43
	v_mov_b32_e32 v41, v43
	v_cndmask_b32_e32 v12, v12, v13, vcc
	v_subrev_u32_e32 v13, s12, v12
	v_cmp_le_u32_e32 vcc, s12, v12
	v_mov_b32_e32 v47, v43
	v_mov_b32_e32 v45, v43
	v_cndmask_b32_e32 v42, v12, v13, vcc
	v_mul_hi_u32 v12, v46, v55
	v_mul_lo_u32 v12, v12, s12
	v_sub_u32_e32 v12, v46, v12
	v_subrev_u32_e32 v13, s12, v12
	v_cmp_le_u32_e32 vcc, s12, v12
	v_lshl_add_u64 v[18:19], v[42:43], 1, s[8:9]
	v_add_u32_e32 v42, s13, v42
	v_cndmask_b32_e32 v12, v12, v13, vcc
	v_subrev_u32_e32 v13, s12, v12
	v_cmp_le_u32_e32 vcc, s12, v12
	v_lshl_add_u64 v[24:25], v[42:43], 1, s[8:9]
	s_nop 0
	v_cndmask_b32_e32 v12, v12, v13, vcc
	v_mov_b32_e32 v13, v43
	v_lshl_add_u64 v[20:21], v[12:13], 1, s[8:9]
	v_mul_hi_u32 v13, v44, v55
	v_mul_lo_u32 v13, v13, s12
	v_sub_u32_e32 v13, v44, v13
	v_subrev_u32_e32 v14, s12, v13
	v_cmp_le_u32_e32 vcc, s12, v13
	v_add_u32_e32 v42, s13, v12
	v_lshl_add_u64 v[26:27], v[42:43], 1, s[8:9]
	v_cndmask_b32_e32 v13, v13, v14, vcc
	v_subrev_u32_e32 v14, s12, v13
	v_cmp_le_u32_e32 vcc, s12, v13
	s_nop 1
	v_cndmask_b32_e32 v14, v13, v14, vcc
	v_add_u32_e32 v42, s13, v14
	v_lshl_add_u64 v[22:23], v[14:15], 1, s[8:9]
	v_lshl_add_u64 v[28:29], v[42:43], 1, s[8:9]
	global_load_ushort v17, v[18:19], off
	global_load_ushort v16, v[20:21], off
	;; [unrolled: 1-line block ×6, first 2 shown]
	s_cbranch_execnz .LBB44_12
	s_branch .LBB44_25
.LBB44_24:                              ;   in Loop: Header=BB44_14 Depth=1
                                        ; implicit-def: $vgpr12
                                        ; implicit-def: $vgpr13
                                        ; implicit-def: $vgpr14
                                        ; implicit-def: $vgpr15
                                        ; implicit-def: $vgpr16
                                        ; implicit-def: $vgpr17
.LBB44_25:                              ;   in Loop: Header=BB44_14 Depth=1
	v_mov_b32_e32 v41, v43
	v_mov_b32_e32 v47, v43
	;; [unrolled: 1-line block ×3, first 2 shown]
	s_waitcnt vmcnt(5)
	v_mov_b32_e32 v17, 0
	s_waitcnt vmcnt(4)
	v_mov_b32_e32 v16, 0
	s_waitcnt vmcnt(3)
	v_mov_b32_e32 v15, 0
	s_waitcnt vmcnt(2)
	v_mov_b32_e32 v14, 0
	s_waitcnt vmcnt(1)
	v_mov_b32_e32 v13, 0
	s_waitcnt vmcnt(0)
	v_mov_b32_e32 v12, 0
	s_branch .LBB44_12
.LBB44_26:
	s_endpgm
	.section	.rodata,"a",@progbits
	.p2align	6, 0x0
	.amdhsa_kernel _Z16wvSplitK_hf_sml_I6__halfLi32ELi3ELi16ELi8ELi2ELi2EEviiiiiiPKT_S3_S3_PS1_ii
		.amdhsa_group_segment_fixed_size 65536
		.amdhsa_private_segment_fixed_size 0
		.amdhsa_kernarg_size 64
		.amdhsa_user_sgpr_count 2
		.amdhsa_user_sgpr_dispatch_ptr 0
		.amdhsa_user_sgpr_queue_ptr 0
		.amdhsa_user_sgpr_kernarg_segment_ptr 1
		.amdhsa_user_sgpr_dispatch_id 0
		.amdhsa_user_sgpr_kernarg_preload_length 0
		.amdhsa_user_sgpr_kernarg_preload_offset 0
		.amdhsa_user_sgpr_private_segment_size 0
		.amdhsa_uses_dynamic_stack 0
		.amdhsa_enable_private_segment 0
		.amdhsa_system_sgpr_workgroup_id_x 1
		.amdhsa_system_sgpr_workgroup_id_y 0
		.amdhsa_system_sgpr_workgroup_id_z 0
		.amdhsa_system_sgpr_workgroup_info 0
		.amdhsa_system_vgpr_workitem_id 1
		.amdhsa_next_free_vgpr 62
		.amdhsa_next_free_sgpr 28
		.amdhsa_accum_offset 64
		.amdhsa_reserve_vcc 1
		.amdhsa_float_round_mode_32 0
		.amdhsa_float_round_mode_16_64 0
		.amdhsa_float_denorm_mode_32 3
		.amdhsa_float_denorm_mode_16_64 3
		.amdhsa_dx10_clamp 1
		.amdhsa_ieee_mode 1
		.amdhsa_fp16_overflow 0
		.amdhsa_tg_split 0
		.amdhsa_exception_fp_ieee_invalid_op 0
		.amdhsa_exception_fp_denorm_src 0
		.amdhsa_exception_fp_ieee_div_zero 0
		.amdhsa_exception_fp_ieee_overflow 0
		.amdhsa_exception_fp_ieee_underflow 0
		.amdhsa_exception_fp_ieee_inexact 0
		.amdhsa_exception_int_div_zero 0
	.end_amdhsa_kernel
	.section	.text._Z16wvSplitK_hf_sml_I6__halfLi32ELi3ELi16ELi8ELi2ELi2EEviiiiiiPKT_S3_S3_PS1_ii,"axG",@progbits,_Z16wvSplitK_hf_sml_I6__halfLi32ELi3ELi16ELi8ELi2ELi2EEviiiiiiPKT_S3_S3_PS1_ii,comdat
.Lfunc_end44:
	.size	_Z16wvSplitK_hf_sml_I6__halfLi32ELi3ELi16ELi8ELi2ELi2EEviiiiiiPKT_S3_S3_PS1_ii, .Lfunc_end44-_Z16wvSplitK_hf_sml_I6__halfLi32ELi3ELi16ELi8ELi2ELi2EEviiiiiiPKT_S3_S3_PS1_ii
                                        ; -- End function
	.section	.AMDGPU.csdata,"",@progbits
; Kernel info:
; codeLenInByte = 2860
; NumSgprs: 34
; NumVgprs: 62
; NumAgprs: 0
; TotalNumVgprs: 62
; ScratchSize: 0
; MemoryBound: 0
; FloatMode: 240
; IeeeMode: 1
; LDSByteSize: 65536 bytes/workgroup (compile time only)
; SGPRBlocks: 4
; VGPRBlocks: 7
; NumSGPRsForWavesPerEU: 34
; NumVGPRsForWavesPerEU: 62
; AccumOffset: 64
; Occupancy: 2
; WaveLimiterHint : 0
; COMPUTE_PGM_RSRC2:SCRATCH_EN: 0
; COMPUTE_PGM_RSRC2:USER_SGPR: 2
; COMPUTE_PGM_RSRC2:TRAP_HANDLER: 0
; COMPUTE_PGM_RSRC2:TGID_X_EN: 1
; COMPUTE_PGM_RSRC2:TGID_Y_EN: 0
; COMPUTE_PGM_RSRC2:TGID_Z_EN: 0
; COMPUTE_PGM_RSRC2:TIDIG_COMP_CNT: 1
; COMPUTE_PGM_RSRC3_GFX90A:ACCUM_OFFSET: 15
; COMPUTE_PGM_RSRC3_GFX90A:TG_SPLIT: 0
	.section	.text._Z12wvSplitK_hf_I6__halfLi32ELi3ELi16ELi8ELi2ELi2EEviiiiiiPKT_S3_S3_PS1_ii,"axG",@progbits,_Z12wvSplitK_hf_I6__halfLi32ELi3ELi16ELi8ELi2ELi2EEviiiiiiPKT_S3_S3_PS1_ii,comdat
	.protected	_Z12wvSplitK_hf_I6__halfLi32ELi3ELi16ELi8ELi2ELi2EEviiiiiiPKT_S3_S3_PS1_ii ; -- Begin function _Z12wvSplitK_hf_I6__halfLi32ELi3ELi16ELi8ELi2ELi2EEviiiiiiPKT_S3_S3_PS1_ii
	.globl	_Z12wvSplitK_hf_I6__halfLi32ELi3ELi16ELi8ELi2ELi2EEviiiiiiPKT_S3_S3_PS1_ii
	.p2align	8
	.type	_Z12wvSplitK_hf_I6__halfLi32ELi3ELi16ELi8ELi2ELi2EEviiiiiiPKT_S3_S3_PS1_ii,@function
_Z12wvSplitK_hf_I6__halfLi32ELi3ELi16ELi8ELi2ELi2EEviiiiiiPKT_S3_S3_PS1_ii: ; @_Z12wvSplitK_hf_I6__halfLi32ELi3ELi16ELi8ELi2ELi2EEviiiiiiPKT_S3_S3_PS1_ii
; %bb.0:
	s_load_dwordx2 s[22:23], s[0:1], 0x38
	s_load_dwordx2 s[16:17], s[0:1], 0x20
	s_load_dwordx4 s[8:11], s[0:1], 0x0
	s_load_dwordx2 s[18:19], s[0:1], 0x10
	v_bfe_u32 v4, v0, 10, 10
	s_waitcnt lgkmcnt(0)
	s_mul_i32 s2, s2, s22
	v_add_u32_e32 v1, s2, v4
	v_lshl_add_u32 v44, v1, 1, v1
	s_mov_b32 s4, 1
	v_add_u32_e32 v1, 3, v44
	s_mov_b32 s6, s4
	v_cmp_gt_u32_e32 vcc, s11, v44
	v_cmp_le_u32_e64 s[2:3], s11, v1
	s_mov_b32 s5, s4
	v_mov_b32_e32 v42, s6
	s_and_b64 s[12:13], vcc, s[2:3]
	v_mov_b32_e32 v41, s5
	v_mov_b32_e32 v40, s4
	s_and_saveexec_b64 s[2:3], s[12:13]
	s_cbranch_execz .LBB45_6
; %bb.1:
	s_add_i32 s7, s11, -3
	v_mov_b32_e32 v42, s6
	v_cmp_ne_u32_e32 vcc, s7, v44
	v_mov_b32_e32 v41, s5
	v_mov_b32_e32 v40, s4
	s_and_saveexec_b64 s[12:13], vcc
	s_cbranch_execz .LBB45_5
; %bb.2:
	v_subrev_u32_e32 v1, s7, v44
	v_cmp_lt_u32_e32 vcc, 1, v1
	s_mov_b64 s[14:15], 0
	s_mov_b64 s[20:21], 0
	v_cndmask_b32_e32 v2, 1, v1, vcc
	s_mov_b32 s5, s4
	s_mov_b32 s6, s4
.LBB45_3:                               ; =>This Inner Loop Header: Depth=1
	s_cmp_lg_u32 s20, 2
	s_cselect_b32 s6, s6, 0
	s_cmp_lg_u32 s20, 1
	s_cselect_b32 s5, s5, 0
	;; [unrolled: 2-line block ×3, first 2 shown]
	s_add_u32 s20, s20, 1
	s_addc_u32 s21, s21, 0
	v_cmp_eq_u32_e32 vcc, s20, v2
	v_mov_b32_e32 v42, s6
	s_or_b64 s[14:15], vcc, s[14:15]
	v_mov_b32_e32 v41, s5
	v_mov_b32_e32 v40, s4
	s_andn2_b64 exec, exec, s[14:15]
	s_cbranch_execnz .LBB45_3
; %bb.4:
	s_or_b64 exec, exec, s[14:15]
	v_mov_b32_e32 v44, s7
.LBB45_5:
	s_or_b64 exec, exec, s[12:13]
.LBB45_6:
	s_or_b64 exec, exec, s[2:3]
	v_and_b32_e32 v5, 0x3ff, v0
	v_lshlrev_b32_e32 v43, 3, v5
	s_lshl_b32 s2, s10, 1
	v_lshl_add_u32 v6, v4, 8, v43
	s_min_u32 s4, s2, 0x8000
	v_cmp_gt_u32_e32 vcc, s4, v6
	s_and_saveexec_b64 s[2:3], vcc
	s_cbranch_execz .LBB45_15
; %bb.7:
	v_lshlrev_b32_e32 v0, 1, v6
	global_load_dwordx4 v[8:11], v0, s[16:17]
	v_add_u32_e32 v1, 0x1000, v6
	v_cmp_gt_u32_e32 vcc, s4, v1
	s_waitcnt vmcnt(0)
	ds_write_b128 v0, v[8:11]
	s_and_saveexec_b64 s[6:7], vcc
	s_xor_b64 s[6:7], exec, s[6:7]
	s_cbranch_execz .LBB45_15
; %bb.8:
	v_mov_b32_e32 v1, 0
	v_lshl_add_u64 v[2:3], s[16:17], 0, v[0:1]
	v_add_co_u32_e32 v8, vcc, 0x2000, v2
	v_add_u32_e32 v1, 0x2000, v6
	s_nop 0
	v_addc_co_u32_e32 v9, vcc, 0, v3, vcc
	global_load_dwordx4 v[8:11], v[8:9], off
	v_cmp_gt_u32_e32 vcc, s4, v1
	s_waitcnt vmcnt(0)
	ds_write_b128 v0, v[8:11] offset:8192
	s_and_saveexec_b64 s[6:7], vcc
	s_xor_b64 s[6:7], exec, s[6:7]
	s_cbranch_execz .LBB45_15
; %bb.9:
	v_add_co_u32_e32 v8, vcc, 0x4000, v2
	v_add_u32_e32 v1, 0x3000, v6
	s_nop 0
	v_addc_co_u32_e32 v9, vcc, 0, v3, vcc
	global_load_dwordx4 v[8:11], v[8:9], off
	v_cmp_gt_u32_e32 vcc, s4, v1
	s_waitcnt vmcnt(0)
	ds_write_b128 v0, v[8:11] offset:16384
	s_and_saveexec_b64 s[6:7], vcc
	s_xor_b64 s[6:7], exec, s[6:7]
	s_cbranch_execz .LBB45_15
; %bb.10:
	;; [unrolled: 12-line block ×6, first 2 shown]
	v_add_co_u32_e32 v2, vcc, 0xe000, v2
	s_nop 1
	v_addc_co_u32_e32 v3, vcc, 0, v3, vcc
	global_load_dwordx4 v[6:9], v[2:3], off
	s_waitcnt vmcnt(0)
	ds_write_b128 v0, v[6:9] offset:57344
.LBB45_15:
	s_or_b64 exec, exec, s[2:3]
	v_cmp_gt_u32_e32 vcc, s22, v4
	v_cmp_gt_u32_e64 s[2:3], s11, v44
	s_and_b64 s[2:3], vcc, s[2:3]
	s_waitcnt lgkmcnt(0)
	s_barrier
	s_and_saveexec_b64 s[4:5], s[2:3]
	s_cbranch_execz .LBB45_62
; %bb.16:
	v_cvt_f32_u32_e32 v0, s18
	s_load_dwordx4 s[12:15], s[0:1], 0x28
	s_load_dwordx2 s[20:21], s[0:1], 0x18
	s_cmp_lg_u32 s8, 0
	s_cselect_b64 s[2:3], -1, 0
	v_rcp_iflag_f32_e32 v0, v0
	s_add_i32 s33, s8, -8
	s_add_i32 s36, s11, -1
	s_waitcnt lgkmcnt(0)
	s_cmp_lg_u64 s[12:13], 0
	v_mul_f32_e32 v0, 0x4f7ffffe, v0
	v_cvt_u32_f32_e32 v0, v0
	s_cselect_b64 s[24:25], -1, 0
	s_sub_i32 s4, 0, s18
	s_add_i32 s38, s11, -3
	v_mul_lo_u32 v1, s4, v0
	s_abs_i32 s4, s19
	s_sub_i32 s5, 1, s4
	s_cmp_lt_u32 s4, 2
	s_cselect_b32 s5, s5, 1
	s_sub_i32 s6, s5, s4
	v_mul_hi_u32 v1, v0, v1
	s_cmp_ge_u32 s5, s4
	s_mul_i32 s37, s22, s23
	v_add_u32_e32 v62, v0, v1
	s_cselect_b32 s19, s6, s5
	v_cndmask_b32_e64 v0, 0, 1, s[2:3]
	v_cmp_eq_u32_e64 s[0:1], 31, v5
	s_mov_b64 s[22:23], 0
	s_mul_i32 s37, s37, 3
	v_mov_b32_e32 v47, 0
	s_mul_i32 s19, s19, s18
	v_cmp_ne_u32_e64 s[2:3], 1, v0
	s_movk_i32 s39, 0x7fff
	s_mov_b32 s26, 0
	s_branch .LBB45_19
.LBB45_17:                              ;   in Loop: Header=BB45_19 Depth=1
	s_or_b64 exec, exec, s[28:29]
	v_mov_b32_e32 v44, s38
.LBB45_18:                              ;   in Loop: Header=BB45_19 Depth=1
	s_or_b64 exec, exec, s[6:7]
	v_cmp_le_u32_e32 vcc, s11, v44
	s_or_b64 s[22:23], vcc, s[22:23]
	s_andn2_b64 exec, exec, s[22:23]
	s_cbranch_execz .LBB45_62
.LBB45_19:                              ; =>This Loop Header: Depth=1
                                        ;     Child Loop BB45_24 Depth 2
                                        ;     Child Loop BB45_55 Depth 2
	s_and_b64 vcc, exec, s[2:3]
	v_add_u32_e32 v50, 1, v44
	v_add_u32_e32 v48, 2, v44
	v_mov_b32_e32 v65, v47
	v_mov_b32_e32 v64, v47
	;; [unrolled: 1-line block ×6, first 2 shown]
	s_cbranch_vccnz .LBB45_42
; %bb.20:                               ;   in Loop: Header=BB45_19 Depth=1
	v_min_u32_e32 v0, s36, v44
	v_mul_lo_u32 v46, v0, s9
	v_min_u32_e32 v0, s36, v50
	v_min_u32_e32 v2, s36, v48
	v_mul_lo_u32 v0, v0, s9
	v_mov_b32_e32 v1, v47
	v_mul_lo_u32 v2, v2, s9
	v_mov_b32_e32 v3, v47
	v_mov_b32_e32 v45, 0
	v_lshlrev_b64 v[52:53], 1, v[46:47]
	v_lshlrev_b64 v[54:55], 1, v[0:1]
	;; [unrolled: 1-line block ×3, first 2 shown]
	v_mov_b32_e32 v49, 0
	v_mov_b32_e32 v51, 0
	;; [unrolled: 1-line block ×5, first 2 shown]
	s_mov_b32 s30, s26
	s_branch .LBB45_24
.LBB45_21:                              ;   in Loop: Header=BB45_24 Depth=2
	s_or_b64 exec, exec, s[28:29]
.LBB45_22:                              ;   in Loop: Header=BB45_24 Depth=2
	s_or_b64 exec, exec, s[6:7]
.LBB45_23:                              ;   in Loop: Header=BB45_24 Depth=2
	s_or_b64 exec, exec, s[4:5]
	s_waitcnt vmcnt(0) lgkmcnt(0)
	;;#ASMSTART
	v_dot2c_f32_f16 v65, v28, v20
	;;#ASMEND
	;;#ASMSTART
	v_dot2c_f32_f16 v64, v28, v16
	;;#ASMEND
	;;#ASMSTART
	v_dot2c_f32_f16 v63, v28, v12
	;;#ASMEND
	;;#ASMSTART
	v_dot2c_f32_f16 v51, v24, v20
	;;#ASMEND
	;;#ASMSTART
	v_dot2c_f32_f16 v49, v24, v16
	;;#ASMEND
	;;#ASMSTART
	v_dot2c_f32_f16 v45, v24, v12
	;;#ASMEND
	s_nop 0
	;;#ASMSTART
	v_dot2c_f32_f16 v65, v29, v21
	;;#ASMEND
	;;#ASMSTART
	v_dot2c_f32_f16 v64, v29, v17
	;;#ASMEND
	;;#ASMSTART
	v_dot2c_f32_f16 v63, v29, v13
	;;#ASMEND
	;;#ASMSTART
	v_dot2c_f32_f16 v51, v25, v21
	;;#ASMEND
	;;#ASMSTART
	v_dot2c_f32_f16 v49, v25, v17
	;;#ASMEND
	;;#ASMSTART
	v_dot2c_f32_f16 v45, v25, v13
	;;#ASMEND
	s_nop 0
	;; [unrolled: 19-line block ×5, first 2 shown]
	;;#ASMSTART
	v_dot2c_f32_f16 v65, v37, v9
	;;#ASMEND
	;;#ASMSTART
	v_dot2c_f32_f16 v64, v37, v5
	;;#ASMEND
	;; [unrolled: 3-line block ×6, first 2 shown]
	s_addk_i32 s30, 0x200
	;;#ASMSTART
	v_dot2c_f32_f16 v65, v38, v10
	;;#ASMEND
	;;#ASMSTART
	v_dot2c_f32_f16 v64, v38, v6
	;;#ASMEND
	;; [unrolled: 3-line block ×6, first 2 shown]
	s_cmp_ge_u32 s30, s8
	;;#ASMSTART
	v_dot2c_f32_f16 v65, v39, v11
	;;#ASMEND
	;;#ASMSTART
	v_dot2c_f32_f16 v64, v39, v7
	;;#ASMEND
	;; [unrolled: 3-line block ×6, first 2 shown]
	s_cbranch_scc1 .LBB45_42
.LBB45_24:                              ;   Parent Loop BB45_19 Depth=1
                                        ; =>  This Inner Loop Header: Depth=2
	v_add_u32_e32 v60, s30, v43
	v_min_u32_e32 v46, s33, v60
	v_lshl_add_u64 v[0:1], v[46:47], 1, s[20:21]
	v_add_u32_e32 v58, 0x100, v60
	v_lshl_add_u64 v[2:3], v[0:1], 0, v[52:53]
	v_min_u32_e32 v46, s33, v58
	v_lshl_add_u64 v[4:5], v[0:1], 0, v[54:55]
	global_load_dwordx4 v[20:23], v[2:3], off nt
	global_load_dwordx4 v[16:19], v[4:5], off nt
	v_lshl_add_u64 v[2:3], v[46:47], 1, s[20:21]
	v_lshl_add_u64 v[0:1], v[0:1], 0, v[56:57]
	;; [unrolled: 1-line block ×4, first 2 shown]
	global_load_dwordx4 v[12:15], v[0:1], off nt
	global_load_dwordx4 v[8:11], v[4:5], off nt
	v_lshl_add_u64 v[26:27], v[2:3], 0, v[56:57]
	global_load_dwordx4 v[4:7], v[24:25], off nt
	global_load_dwordx4 v[0:3], v[26:27], off nt
	s_mov_b32 s27, s26
	v_cmp_gt_u32_e32 vcc, s8, v60
	v_mov_b64_e32 v[38:39], s[26:27]
	v_mov_b32_e32 v35, 0
	v_mov_b32_e32 v34, 0
	;; [unrolled: 1-line block ×4, first 2 shown]
	v_mov_b64_e32 v[36:37], s[26:27]
	v_mov_b64_e32 v[26:27], s[26:27]
	;; [unrolled: 1-line block ×5, first 2 shown]
	s_and_saveexec_b64 s[4:5], vcc
	s_cbranch_execz .LBB45_23
; %bb.25:                               ;   in Loop: Header=BB45_24 Depth=2
	v_cmp_lt_u32_e32 vcc, s39, v60
                                        ; implicit-def: $vgpr30_vgpr31
	s_and_saveexec_b64 s[6:7], vcc
	s_xor_b64 s[6:7], exec, s[6:7]
	s_cbranch_execz .LBB45_27
; %bb.26:                               ;   in Loop: Header=BB45_24 Depth=2
	v_mov_b32_e32 v61, v47
	v_lshl_add_u64 v[24:25], v[60:61], 1, s[16:17]
	global_load_dwordx4 v[28:31], v[24:25], off
.LBB45_27:                              ;   in Loop: Header=BB45_24 Depth=2
	s_andn2_saveexec_b64 s[6:7], s[6:7]
	s_cbranch_execz .LBB45_29
; %bb.28:                               ;   in Loop: Header=BB45_24 Depth=2
	v_lshlrev_b32_e32 v24, 1, v60
	s_waitcnt vmcnt(0)
	ds_read_b128 v[28:31], v24
.LBB45_29:                              ;   in Loop: Header=BB45_24 Depth=2
	s_or_b64 exec, exec, s[6:7]
	v_add_u32_e32 v46, s10, v60
	v_cmp_lt_u32_e32 vcc, s39, v46
                                        ; implicit-def: $vgpr26_vgpr27
	s_and_saveexec_b64 s[6:7], vcc
	s_xor_b64 s[6:7], exec, s[6:7]
	s_cbranch_execz .LBB45_31
; %bb.30:                               ;   in Loop: Header=BB45_24 Depth=2
	v_lshl_add_u64 v[24:25], v[46:47], 1, s[16:17]
	global_load_dwordx4 v[24:27], v[24:25], off
.LBB45_31:                              ;   in Loop: Header=BB45_24 Depth=2
	s_andn2_saveexec_b64 s[6:7], s[6:7]
	s_cbranch_execz .LBB45_33
; %bb.32:                               ;   in Loop: Header=BB45_24 Depth=2
	s_waitcnt vmcnt(0)
	v_lshlrev_b32_e32 v24, 1, v46
	ds_read_b128 v[24:27], v24
.LBB45_33:                              ;   in Loop: Header=BB45_24 Depth=2
	s_or_b64 exec, exec, s[6:7]
	s_mov_b32 s27, s26
	v_cmp_gt_u32_e32 vcc, s8, v58
	v_mov_b32_e32 v35, 0
	v_mov_b64_e32 v[38:39], s[26:27]
	v_mov_b32_e32 v34, 0
	v_mov_b32_e32 v33, 0
	;; [unrolled: 1-line block ×3, first 2 shown]
	v_mov_b64_e32 v[36:37], s[26:27]
	s_and_saveexec_b64 s[6:7], vcc
	s_cbranch_execz .LBB45_22
; %bb.34:                               ;   in Loop: Header=BB45_24 Depth=2
	v_cmp_lt_u32_e32 vcc, s39, v58
                                        ; implicit-def: $vgpr38_vgpr39
	s_and_saveexec_b64 s[28:29], vcc
	s_xor_b64 s[28:29], exec, s[28:29]
	s_cbranch_execz .LBB45_36
; %bb.35:                               ;   in Loop: Header=BB45_24 Depth=2
	v_mov_b32_e32 v59, v47
	v_lshl_add_u64 v[32:33], v[58:59], 1, s[16:17]
	global_load_dwordx4 v[36:39], v[32:33], off
                                        ; implicit-def: $vgpr60
.LBB45_36:                              ;   in Loop: Header=BB45_24 Depth=2
	s_andn2_saveexec_b64 s[28:29], s[28:29]
	s_cbranch_execz .LBB45_38
; %bb.37:                               ;   in Loop: Header=BB45_24 Depth=2
	v_lshlrev_b32_e32 v32, 1, v60
	s_waitcnt vmcnt(0)
	ds_read_b128 v[36:39], v32 offset:512
.LBB45_38:                              ;   in Loop: Header=BB45_24 Depth=2
	s_or_b64 exec, exec, s[28:29]
	v_add_u32_e32 v32, s10, v58
	v_cmp_lt_u32_e32 vcc, s39, v32
                                        ; implicit-def: $vgpr35
	s_and_saveexec_b64 s[28:29], vcc
	s_xor_b64 s[28:29], exec, s[28:29]
	s_cbranch_execz .LBB45_40
; %bb.39:                               ;   in Loop: Header=BB45_24 Depth=2
	v_mov_b32_e32 v33, v47
	v_lshl_add_u64 v[32:33], v[32:33], 1, s[16:17]
	global_load_dwordx4 v[32:35], v[32:33], off
.LBB45_40:                              ;   in Loop: Header=BB45_24 Depth=2
	s_andn2_saveexec_b64 s[28:29], s[28:29]
	s_cbranch_execz .LBB45_21
; %bb.41:                               ;   in Loop: Header=BB45_24 Depth=2
	s_waitcnt vmcnt(0)
	v_lshlrev_b32_e32 v32, 1, v46
	ds_read_b128 v[32:35], v32 offset:512
	s_branch .LBB45_21
.LBB45_42:                              ;   in Loop: Header=BB45_19 Depth=1
	v_cvt_i32_f32_e32 v0, v65
	v_cvt_i32_f32_e32 v1, v64
	;; [unrolled: 1-line block ×4, first 2 shown]
	v_cvt_f32_i32_dpp v0, v0 row_shr:8 row_mask:0xf bank_mask:0xf bound_ctrl:1
	v_cvt_f32_i32_dpp v1, v1 row_shr:8 row_mask:0xf bank_mask:0xf bound_ctrl:1
	;; [unrolled: 1-line block ×4, first 2 shown]
	v_add_f32_e32 v0, v65, v0
	v_add_f32_e32 v1, v64, v1
	v_cvt_i32_f32_e32 v2, v0
	v_cvt_i32_f32_e32 v3, v1
	v_add_f32_e32 v4, v63, v4
	v_cvt_i32_f32_e32 v6, v4
	v_cvt_f32_i32_dpp v2, v2 row_shr:4 row_mask:0xf bank_mask:0xf bound_ctrl:1
	v_cvt_f32_i32_dpp v3, v3 row_shr:4 row_mask:0xf bank_mask:0xf bound_ctrl:1
	v_add_f32_e32 v5, v51, v5
	v_cvt_f32_i32_dpp v6, v6 row_shr:4 row_mask:0xf bank_mask:0xf bound_ctrl:1
	v_add_f32_e32 v0, v0, v2
	v_add_f32_e32 v1, v1, v3
	v_cvt_i32_f32_e32 v2, v0
	v_cvt_i32_f32_e32 v3, v1
	v_add_f32_e32 v4, v4, v6
	v_cvt_i32_f32_e32 v6, v4
	v_cvt_f32_i32_dpp v2, v2 row_shr:2 row_mask:0xf bank_mask:0xf bound_ctrl:1
	v_cvt_f32_i32_dpp v3, v3 row_shr:2 row_mask:0xf bank_mask:0xf bound_ctrl:1
	v_cvt_i32_f32_e32 v7, v5
	v_cvt_f32_i32_dpp v6, v6 row_shr:2 row_mask:0xf bank_mask:0xf bound_ctrl:1
	v_add_f32_e32 v0, v0, v2
	v_add_f32_e32 v1, v1, v3
	v_cvt_i32_f32_e32 v2, v0
	v_cvt_i32_f32_e32 v3, v1
	v_add_f32_e32 v8, v4, v6
	v_cvt_i32_f32_e32 v6, v8
	v_cvt_f32_i32_dpp v2, v2 row_shr:1 row_mask:0xf bank_mask:0xf bound_ctrl:1
	v_cvt_f32_i32_dpp v3, v3 row_shr:1 row_mask:0xf bank_mask:0xf bound_ctrl:1
	v_add_f32_e32 v0, v0, v2
	v_add_f32_e32 v1, v1, v3
	v_cvt_i32_f32_e32 v2, v0
	v_cvt_i32_f32_e32 v3, v1
	s_nop 0
	v_cvt_f32_i32_dpp v2, v2 row_bcast:15 row_mask:0xf bank_mask:0xf bound_ctrl:1
	v_cvt_f32_i32_dpp v3, v3 row_bcast:15 row_mask:0xf bank_mask:0xf bound_ctrl:1
	v_add_f32_e32 v4, v0, v2
	v_add_f32_e32 v0, v1, v3
	v_cvt_i32_f32_e32 v1, v4
	v_cvt_f32_i32_dpp v3, v7 row_shr:4 row_mask:0xf bank_mask:0xf bound_ctrl:1
	v_cvt_f32_i32_dpp v7, v6 row_shr:1 row_mask:0xf bank_mask:0xf bound_ctrl:1
	v_cvt_i32_f32_e32 v2, v0
	v_mov_b32_dpp v6, v1 row_bcast:31 row_mask:0xf bank_mask:0xf bound_ctrl:1
	v_cvt_i32_f32_e32 v1, v49
	v_add_f32_e32 v3, v5, v3
	v_cvt_i32_f32_e32 v5, v45
	v_cvt_i32_f32_e32 v9, v3
	v_cvt_f32_i32_dpp v1, v1 row_shr:8 row_mask:0xf bank_mask:0xf bound_ctrl:1
	v_add_f32_e32 v7, v8, v7
	v_cvt_f32_i32_dpp v5, v5 row_shr:8 row_mask:0xf bank_mask:0xf bound_ctrl:1
	v_cvt_f32_i32_dpp v8, v9 row_shr:2 row_mask:0xf bank_mask:0xf bound_ctrl:1
	v_add_f32_e32 v1, v49, v1
	v_cvt_i32_f32_e32 v9, v1
	v_add_f32_e32 v5, v45, v5
	v_cvt_i32_f32_e32 v10, v5
	v_add_f32_e32 v3, v3, v8
	v_cvt_f32_i32_dpp v9, v9 row_shr:4 row_mask:0xf bank_mask:0xf bound_ctrl:1
	v_cvt_i32_f32_e32 v11, v7
	v_cvt_f32_i32_dpp v8, v10 row_shr:4 row_mask:0xf bank_mask:0xf bound_ctrl:1
	v_cvt_i32_f32_e32 v10, v3
	v_add_f32_e32 v1, v1, v9
	v_cvt_i32_f32_e32 v9, v1
	v_add_f32_e32 v5, v5, v8
	v_cvt_i32_f32_e32 v8, v5
	v_cvt_f32_i32_dpp v10, v10 row_shr:1 row_mask:0xf bank_mask:0xf bound_ctrl:1
	v_cvt_f32_i32_dpp v9, v9 row_shr:2 row_mask:0xf bank_mask:0xf bound_ctrl:1
	v_cvt_f32_i32_dpp v11, v11 row_bcast:15 row_mask:0xf bank_mask:0xf bound_ctrl:1
	v_cvt_f32_i32_dpp v8, v8 row_shr:2 row_mask:0xf bank_mask:0xf bound_ctrl:1
	v_add_f32_e32 v3, v3, v10
	v_add_f32_e32 v1, v1, v9
	v_cvt_i32_f32_e32 v9, v1
	v_add_f32_e32 v5, v5, v8
	v_cvt_i32_f32_e32 v8, v5
	v_cvt_i32_f32_e32 v10, v3
	s_waitcnt vmcnt(0)
	v_cvt_f32_i32_dpp v12, v9 row_shr:1 row_mask:0xf bank_mask:0xf bound_ctrl:1
	v_add_f32_e32 v9, v7, v11
	v_cvt_f32_i32_dpp v7, v8 row_shr:1 row_mask:0xf bank_mask:0xf bound_ctrl:1
	v_cvt_f32_i32_dpp v8, v10 row_bcast:15 row_mask:0xf bank_mask:0xf bound_ctrl:1
	v_add_f32_e32 v1, v1, v12
	v_cvt_i32_f32_e32 v10, v1
	v_add_f32_e32 v7, v5, v7
	v_cvt_i32_f32_e32 v5, v7
	v_add_f32_e32 v8, v3, v8
	v_cvt_f32_i32_dpp v10, v10 row_bcast:15 row_mask:0xf bank_mask:0xf bound_ctrl:1
	v_cvt_i32_f32_e32 v11, v9
	v_cvt_f32_i32_dpp v3, v5 row_bcast:15 row_mask:0xf bank_mask:0xf bound_ctrl:1
	v_cvt_i32_f32_e32 v12, v8
	v_add_f32_e32 v5, v1, v10
	v_cvt_i32_f32_e32 v13, v5
	v_add_f32_e32 v1, v7, v3
	v_cvt_i32_f32_e32 v3, v1
	v_mov_b32_dpp v2, v2 row_bcast:31 row_mask:0xf bank_mask:0xf bound_ctrl:1
	v_mov_b32_dpp v11, v11 row_bcast:31 row_mask:0xf bank_mask:0xf bound_ctrl:1
	;; [unrolled: 1-line block ×5, first 2 shown]
	s_and_saveexec_b64 s[28:29], s[0:1]
	s_cbranch_execz .LBB45_52
; %bb.43:                               ;   in Loop: Header=BB45_19 Depth=1
	s_andn2_b64 vcc, exec, s[24:25]
	v_mov_b32_e32 v17, 0
	v_mov_b32_e32 v16, 0
	;; [unrolled: 1-line block ×6, first 2 shown]
	s_cbranch_vccnz .LBB45_45
; %bb.44:                               ;   in Loop: Header=BB45_19 Depth=1
	v_mul_hi_u32 v12, v44, v62
	v_mul_lo_u32 v12, v12, s18
	v_sub_u32_e32 v12, v44, v12
	v_subrev_u32_e32 v13, s18, v12
	v_cmp_le_u32_e32 vcc, s18, v12
	v_mov_b32_e32 v15, v47
	s_nop 0
	v_cndmask_b32_e32 v12, v12, v13, vcc
	v_subrev_u32_e32 v13, s18, v12
	v_cmp_le_u32_e32 vcc, s18, v12
	s_nop 1
	v_cndmask_b32_e32 v46, v12, v13, vcc
	v_mul_hi_u32 v12, v50, v62
	v_mul_lo_u32 v12, v12, s18
	v_sub_u32_e32 v12, v50, v12
	v_subrev_u32_e32 v13, s18, v12
	v_cmp_le_u32_e32 vcc, s18, v12
	v_lshl_add_u64 v[18:19], v[46:47], 1, s[12:13]
	v_add_u32_e32 v46, s19, v46
	v_cndmask_b32_e32 v12, v12, v13, vcc
	v_subrev_u32_e32 v13, s18, v12
	v_cmp_le_u32_e32 vcc, s18, v12
	v_lshl_add_u64 v[24:25], v[46:47], 1, s[12:13]
	s_nop 0
	v_cndmask_b32_e32 v12, v12, v13, vcc
	v_mov_b32_e32 v13, v47
	v_lshl_add_u64 v[20:21], v[12:13], 1, s[12:13]
	v_mul_hi_u32 v13, v48, v62
	v_mul_lo_u32 v13, v13, s18
	v_sub_u32_e32 v13, v48, v13
	v_subrev_u32_e32 v14, s18, v13
	v_cmp_le_u32_e32 vcc, s18, v13
	v_add_u32_e32 v46, s19, v12
	v_lshl_add_u64 v[26:27], v[46:47], 1, s[12:13]
	v_cndmask_b32_e32 v13, v13, v14, vcc
	v_subrev_u32_e32 v14, s18, v13
	v_cmp_le_u32_e32 vcc, s18, v13
	s_nop 1
	v_cndmask_b32_e32 v14, v13, v14, vcc
	v_add_u32_e32 v46, s19, v14
	v_lshl_add_u64 v[22:23], v[14:15], 1, s[12:13]
	v_lshl_add_u64 v[28:29], v[46:47], 1, s[12:13]
	global_load_ushort v17, v[18:19], off
	global_load_ushort v16, v[20:21], off
	;; [unrolled: 1-line block ×6, first 2 shown]
.LBB45_45:                              ;   in Loop: Header=BB45_19 Depth=1
	v_cmp_ne_u32_e32 vcc, 0, v40
	s_and_saveexec_b64 s[4:5], vcc
	s_cbranch_execnz .LBB45_57
; %bb.46:                               ;   in Loop: Header=BB45_19 Depth=1
	s_or_b64 exec, exec, s[4:5]
	v_cmp_ne_u32_e64 s[4:5], 0, v41
	s_and_saveexec_b64 s[6:7], s[4:5]
	s_cbranch_execnz .LBB45_58
.LBB45_47:                              ;   in Loop: Header=BB45_19 Depth=1
	s_or_b64 exec, exec, s[6:7]
	v_cmp_ne_u32_e64 s[6:7], 0, v42
	s_and_saveexec_b64 s[30:31], s[6:7]
	s_cbranch_execnz .LBB45_59
.LBB45_48:                              ;   in Loop: Header=BB45_19 Depth=1
	s_or_b64 exec, exec, s[30:31]
	v_add_u32_e32 v46, s11, v44
	s_and_saveexec_b64 s[30:31], vcc
	s_cbranch_execnz .LBB45_60
.LBB45_49:                              ;   in Loop: Header=BB45_19 Depth=1
	s_or_b64 exec, exec, s[30:31]
	s_and_saveexec_b64 s[30:31], s[4:5]
	s_cbranch_execnz .LBB45_61
.LBB45_50:                              ;   in Loop: Header=BB45_19 Depth=1
	s_or_b64 exec, exec, s[30:31]
	s_and_b64 exec, exec, s[6:7]
	s_cbranch_execz .LBB45_52
.LBB45_51:                              ;   in Loop: Header=BB45_19 Depth=1
	v_cvt_f32_i32_e32 v0, v3
	s_waitcnt vmcnt(0)
	v_cvt_f32_f16_e32 v2, v12
	v_add_u32_e32 v46, 2, v46
	v_add_f32_e32 v0, v1, v0
	v_add_f32_e32 v0, v0, v2
	v_cvt_f16_f32_e32 v2, v0
	v_lshl_add_u64 v[0:1], v[46:47], 1, s[14:15]
	global_store_short v[0:1], v2, off
.LBB45_52:                              ;   in Loop: Header=BB45_19 Depth=1
	s_or_b64 exec, exec, s[28:29]
	v_add_u32_e32 v44, s37, v44
	v_add_u32_e32 v0, 3, v44
	v_cmp_gt_u32_e32 vcc, s11, v44
	v_cmp_le_u32_e64 s[4:5], s11, v0
	s_and_b64 s[4:5], vcc, s[4:5]
	s_and_saveexec_b64 s[6:7], s[4:5]
	s_cbranch_execz .LBB45_18
; %bb.53:                               ;   in Loop: Header=BB45_19 Depth=1
	v_cmp_ne_u32_e32 vcc, s38, v44
	s_and_saveexec_b64 s[28:29], vcc
	s_cbranch_execz .LBB45_17
; %bb.54:                               ;   in Loop: Header=BB45_19 Depth=1
	v_subrev_u32_e32 v0, s38, v44
	v_cmp_lt_u32_e32 vcc, 1, v0
	s_mov_b64 s[30:31], 0
	s_mov_b64 s[34:35], 0
	v_cndmask_b32_e32 v0, 1, v0, vcc
.LBB45_55:                              ;   Parent Loop BB45_19 Depth=1
                                        ; =>  This Inner Loop Header: Depth=2
	s_cmp_lg_u32 s34, 2
	s_cselect_b64 vcc, -1, 0
	s_cmp_lg_u32 s34, 1
	v_cndmask_b32_e32 v42, 0, v42, vcc
	s_cselect_b64 vcc, -1, 0
	s_cmp_lg_u32 s34, 0
	v_cndmask_b32_e32 v41, 0, v41, vcc
	s_cselect_b64 vcc, -1, 0
	s_add_u32 s34, s34, 1
	s_addc_u32 s35, s35, 0
	v_cmp_eq_u32_e64 s[4:5], s34, v0
	s_or_b64 s[30:31], s[4:5], s[30:31]
	v_cndmask_b32_e32 v40, 0, v40, vcc
	s_andn2_b64 exec, exec, s[30:31]
	s_cbranch_execnz .LBB45_55
; %bb.56:                               ;   in Loop: Header=BB45_19 Depth=1
	s_or_b64 exec, exec, s[30:31]
	s_branch .LBB45_17
.LBB45_57:                              ;   in Loop: Header=BB45_19 Depth=1
	v_cvt_f32_i32_e32 v6, v6
	s_waitcnt vmcnt(5)
	v_cvt_f32_f16_e32 v17, v17
	v_mov_b32_e32 v45, v47
	v_lshl_add_u64 v[18:19], v[44:45], 1, s[14:15]
	v_add_f32_e32 v4, v4, v6
	v_add_f32_e32 v4, v4, v17
	v_cvt_f16_f32_e32 v4, v4
	global_store_short v[18:19], v4, off
	s_or_b64 exec, exec, s[4:5]
	v_cmp_ne_u32_e64 s[4:5], 0, v41
	s_and_saveexec_b64 s[6:7], s[4:5]
	s_cbranch_execz .LBB45_47
.LBB45_58:                              ;   in Loop: Header=BB45_19 Depth=1
	v_cvt_f32_i32_e32 v2, v2
	s_waitcnt vmcnt(4)
	v_cvt_f32_f16_e32 v4, v16
	v_mov_b32_e32 v51, v47
	v_lshl_add_u64 v[16:17], v[50:51], 1, s[14:15]
	v_add_f32_e32 v0, v0, v2
	v_add_f32_e32 v0, v0, v4
	v_cvt_f16_f32_e32 v0, v0
	global_store_short v[16:17], v0, off
	s_or_b64 exec, exec, s[6:7]
	v_cmp_ne_u32_e64 s[6:7], 0, v42
	s_and_saveexec_b64 s[30:31], s[6:7]
	s_cbranch_execz .LBB45_48
.LBB45_59:                              ;   in Loop: Header=BB45_19 Depth=1
	v_cvt_f32_i32_e32 v0, v11
	s_waitcnt vmcnt(3)
	v_cvt_f32_f16_e32 v2, v15
	v_mov_b32_e32 v49, v47
	v_lshl_add_u64 v[16:17], v[48:49], 1, s[14:15]
	v_add_f32_e32 v0, v9, v0
	v_add_f32_e32 v0, v0, v2
	v_cvt_f16_f32_e32 v0, v0
	global_store_short v[16:17], v0, off
	s_or_b64 exec, exec, s[30:31]
	v_add_u32_e32 v46, s11, v44
	s_and_saveexec_b64 s[30:31], vcc
	s_cbranch_execz .LBB45_49
.LBB45_60:                              ;   in Loop: Header=BB45_19 Depth=1
	v_cvt_f32_i32_e32 v0, v10
	s_waitcnt vmcnt(2)
	v_cvt_f32_f16_e32 v2, v14
	v_add_f32_e32 v0, v8, v0
	v_add_f32_e32 v0, v0, v2
	v_cvt_f16_f32_e32 v0, v0
	v_lshl_add_u64 v[8:9], v[46:47], 1, s[14:15]
	global_store_short v[8:9], v0, off
	s_or_b64 exec, exec, s[30:31]
	s_and_saveexec_b64 s[30:31], s[4:5]
	s_cbranch_execz .LBB45_50
.LBB45_61:                              ;   in Loop: Header=BB45_19 Depth=1
	v_cvt_f32_i32_e32 v0, v7
	s_waitcnt vmcnt(1)
	v_cvt_f32_f16_e32 v2, v13
	v_add_u32_e32 v4, 1, v46
	v_add_f32_e32 v0, v5, v0
	v_add_f32_e32 v0, v0, v2
	v_cvt_f16_f32_e32 v0, v0
	v_mov_b32_e32 v5, v47
	v_lshl_add_u64 v[4:5], v[4:5], 1, s[14:15]
	global_store_short v[4:5], v0, off
	s_or_b64 exec, exec, s[30:31]
	s_and_b64 exec, exec, s[6:7]
	s_cbranch_execnz .LBB45_51
	s_branch .LBB45_52
.LBB45_62:
	s_endpgm
	.section	.rodata,"a",@progbits
	.p2align	6, 0x0
	.amdhsa_kernel _Z12wvSplitK_hf_I6__halfLi32ELi3ELi16ELi8ELi2ELi2EEviiiiiiPKT_S3_S3_PS1_ii
		.amdhsa_group_segment_fixed_size 65536
		.amdhsa_private_segment_fixed_size 0
		.amdhsa_kernarg_size 64
		.amdhsa_user_sgpr_count 2
		.amdhsa_user_sgpr_dispatch_ptr 0
		.amdhsa_user_sgpr_queue_ptr 0
		.amdhsa_user_sgpr_kernarg_segment_ptr 1
		.amdhsa_user_sgpr_dispatch_id 0
		.amdhsa_user_sgpr_kernarg_preload_length 0
		.amdhsa_user_sgpr_kernarg_preload_offset 0
		.amdhsa_user_sgpr_private_segment_size 0
		.amdhsa_uses_dynamic_stack 0
		.amdhsa_enable_private_segment 0
		.amdhsa_system_sgpr_workgroup_id_x 1
		.amdhsa_system_sgpr_workgroup_id_y 0
		.amdhsa_system_sgpr_workgroup_id_z 0
		.amdhsa_system_sgpr_workgroup_info 0
		.amdhsa_system_vgpr_workitem_id 1
		.amdhsa_next_free_vgpr 66
		.amdhsa_next_free_sgpr 40
		.amdhsa_accum_offset 68
		.amdhsa_reserve_vcc 1
		.amdhsa_float_round_mode_32 0
		.amdhsa_float_round_mode_16_64 0
		.amdhsa_float_denorm_mode_32 3
		.amdhsa_float_denorm_mode_16_64 3
		.amdhsa_dx10_clamp 1
		.amdhsa_ieee_mode 1
		.amdhsa_fp16_overflow 0
		.amdhsa_tg_split 0
		.amdhsa_exception_fp_ieee_invalid_op 0
		.amdhsa_exception_fp_denorm_src 0
		.amdhsa_exception_fp_ieee_div_zero 0
		.amdhsa_exception_fp_ieee_overflow 0
		.amdhsa_exception_fp_ieee_underflow 0
		.amdhsa_exception_fp_ieee_inexact 0
		.amdhsa_exception_int_div_zero 0
	.end_amdhsa_kernel
	.section	.text._Z12wvSplitK_hf_I6__halfLi32ELi3ELi16ELi8ELi2ELi2EEviiiiiiPKT_S3_S3_PS1_ii,"axG",@progbits,_Z12wvSplitK_hf_I6__halfLi32ELi3ELi16ELi8ELi2ELi2EEviiiiiiPKT_S3_S3_PS1_ii,comdat
.Lfunc_end45:
	.size	_Z12wvSplitK_hf_I6__halfLi32ELi3ELi16ELi8ELi2ELi2EEviiiiiiPKT_S3_S3_PS1_ii, .Lfunc_end45-_Z12wvSplitK_hf_I6__halfLi32ELi3ELi16ELi8ELi2ELi2EEviiiiiiPKT_S3_S3_PS1_ii
                                        ; -- End function
	.section	.AMDGPU.csdata,"",@progbits
; Kernel info:
; codeLenInByte = 3492
; NumSgprs: 46
; NumVgprs: 66
; NumAgprs: 0
; TotalNumVgprs: 66
; ScratchSize: 0
; MemoryBound: 1
; FloatMode: 240
; IeeeMode: 1
; LDSByteSize: 65536 bytes/workgroup (compile time only)
; SGPRBlocks: 5
; VGPRBlocks: 8
; NumSGPRsForWavesPerEU: 46
; NumVGPRsForWavesPerEU: 66
; AccumOffset: 68
; Occupancy: 2
; WaveLimiterHint : 0
; COMPUTE_PGM_RSRC2:SCRATCH_EN: 0
; COMPUTE_PGM_RSRC2:USER_SGPR: 2
; COMPUTE_PGM_RSRC2:TRAP_HANDLER: 0
; COMPUTE_PGM_RSRC2:TGID_X_EN: 1
; COMPUTE_PGM_RSRC2:TGID_Y_EN: 0
; COMPUTE_PGM_RSRC2:TGID_Z_EN: 0
; COMPUTE_PGM_RSRC2:TIDIG_COMP_CNT: 1
; COMPUTE_PGM_RSRC3_GFX90A:ACCUM_OFFSET: 16
; COMPUTE_PGM_RSRC3_GFX90A:TG_SPLIT: 0
	.section	.text._Z16wvSplitK_hf_big_I6__halfLi32ELi3ELi16ELi8ELi2ELi2EEviiiiiiPKT_S3_S3_PS1_ii,"axG",@progbits,_Z16wvSplitK_hf_big_I6__halfLi32ELi3ELi16ELi8ELi2ELi2EEviiiiiiPKT_S3_S3_PS1_ii,comdat
	.protected	_Z16wvSplitK_hf_big_I6__halfLi32ELi3ELi16ELi8ELi2ELi2EEviiiiiiPKT_S3_S3_PS1_ii ; -- Begin function _Z16wvSplitK_hf_big_I6__halfLi32ELi3ELi16ELi8ELi2ELi2EEviiiiiiPKT_S3_S3_PS1_ii
	.globl	_Z16wvSplitK_hf_big_I6__halfLi32ELi3ELi16ELi8ELi2ELi2EEviiiiiiPKT_S3_S3_PS1_ii
	.p2align	8
	.type	_Z16wvSplitK_hf_big_I6__halfLi32ELi3ELi16ELi8ELi2ELi2EEviiiiiiPKT_S3_S3_PS1_ii,@function
_Z16wvSplitK_hf_big_I6__halfLi32ELi3ELi16ELi8ELi2ELi2EEviiiiiiPKT_S3_S3_PS1_ii: ; @_Z16wvSplitK_hf_big_I6__halfLi32ELi3ELi16ELi8ELi2ELi2EEviiiiiiPKT_S3_S3_PS1_ii
; %bb.0:
	s_load_dwordx2 s[8:9], s[0:1], 0x38
	v_bfe_u32 v1, v0, 10, 10
	s_waitcnt lgkmcnt(0)
	v_cmp_gt_u32_e32 vcc, s8, v1
	s_and_saveexec_b64 s[4:5], vcc
	s_cbranch_execz .LBB46_52
; %bb.1:
	s_load_dwordx4 s[20:23], s[0:1], 0x0
	s_mul_i32 s2, s2, s8
	v_add_u32_e32 v2, s2, v1
	v_lshl_add_u32 v44, v2, 1, v2
	s_mov_b32 s4, 1
	v_add_u32_e32 v2, 3, v44
	s_mov_b32 s6, s4
	s_waitcnt lgkmcnt(0)
	v_cmp_gt_u32_e32 vcc, s23, v44
	v_cmp_le_u32_e64 s[2:3], s23, v2
	s_mov_b32 s5, s4
	v_mov_b32_e32 v42, s6
	s_and_b64 s[10:11], vcc, s[2:3]
	v_mov_b32_e32 v41, s5
	v_mov_b32_e32 v40, s4
	s_and_saveexec_b64 s[2:3], s[10:11]
	s_cbranch_execz .LBB46_7
; %bb.2:
	s_add_i32 s7, s23, -3
	v_mov_b32_e32 v42, s6
	v_cmp_ne_u32_e32 vcc, s7, v44
	v_mov_b32_e32 v41, s5
	v_mov_b32_e32 v40, s4
	s_and_saveexec_b64 s[10:11], vcc
	s_cbranch_execz .LBB46_6
; %bb.3:
	v_subrev_u32_e32 v2, s7, v44
	v_cmp_lt_u32_e32 vcc, 1, v2
	s_mov_b64 s[12:13], 0
	s_mov_b64 s[14:15], 0
	v_cndmask_b32_e32 v2, 1, v2, vcc
	s_mov_b32 s5, s4
	s_mov_b32 s6, s4
.LBB46_4:                               ; =>This Inner Loop Header: Depth=1
	s_cmp_lg_u32 s14, 2
	s_cselect_b32 s6, s6, 0
	s_cmp_lg_u32 s14, 1
	s_cselect_b32 s5, s5, 0
	;; [unrolled: 2-line block ×3, first 2 shown]
	s_add_u32 s14, s14, 1
	s_addc_u32 s15, s15, 0
	v_cmp_eq_u32_e32 vcc, s14, v2
	v_mov_b32_e32 v42, s6
	s_or_b64 s[12:13], vcc, s[12:13]
	v_mov_b32_e32 v41, s5
	v_mov_b32_e32 v40, s4
	s_andn2_b64 exec, exec, s[12:13]
	s_cbranch_execnz .LBB46_4
; %bb.5:
	s_or_b64 exec, exec, s[12:13]
	v_mov_b32_e32 v44, s7
.LBB46_6:
	s_or_b64 exec, exec, s[10:11]
.LBB46_7:
	s_or_b64 exec, exec, s[2:3]
	s_mul_i32 s44, s8, 3
	s_abs_i32 s2, s44
	v_cvt_f32_u32_e32 v2, s2
	s_sub_i32 s5, 0, s2
	s_abs_i32 s4, s23
	s_ashr_i32 s3, s23, 31
	v_rcp_iflag_f32_e32 v2, v2
	s_nop 0
	v_mul_f32_e32 v2, 0x4f7ffffe, v2
	v_cvt_u32_f32_e32 v2, v2
	s_nop 0
	v_readfirstlane_b32 s6, v2
	s_mul_i32 s5, s5, s6
	s_mul_hi_u32 s5, s6, s5
	s_add_i32 s6, s6, s5
	s_mul_hi_u32 s5, s4, s6
	s_mul_i32 s5, s5, s2
	s_sub_i32 s4, s4, s5
	s_sub_i32 s5, s4, s2
	s_cmp_ge_u32 s4, s2
	s_cselect_b32 s4, s5, s4
	s_sub_i32 s5, s4, s2
	s_cmp_ge_u32 s4, s2
	s_cselect_b32 s2, s5, s4
	s_xor_b32 s2, s2, s3
	s_sub_i32 s2, s2, s3
	s_add_i32 s3, s44, s23
	s_sub_i32 s3, s3, s2
	s_cmp_eq_u32 s2, 0
	s_cselect_b32 s33, s23, s3
	v_cmp_gt_u32_e32 vcc, s33, v44
	s_and_b64 exec, exec, vcc
	s_cbranch_execz .LBB46_52
; %bb.8:
	s_load_dwordx8 s[12:19], s[0:1], 0x10
	s_min_u32 s40, s22, 0x4000
	s_cmp_lg_u32 s20, 0
	s_cselect_b64 s[2:3], -1, 0
	s_cmp_lg_u32 s22, 0
	s_waitcnt lgkmcnt(0)
	v_cvt_f32_u32_e32 v2, s12
	s_cselect_b64 s[4:5], -1, 0
	s_lshl_b32 s41, s8, 8
	s_add_i32 s42, s20, -8
	v_rcp_iflag_f32_e32 v2, v2
	s_add_i32 s43, s23, -1
	s_cmp_lg_u64 s[18:19], 0
	s_cselect_b64 s[26:27], -1, 0
	v_mul_f32_e32 v2, 0x4f7ffffe, v2
	v_cvt_u32_f32_e32 v2, v2
	s_sub_i32 s6, 0, s12
	s_load_dwordx2 s[10:11], s[0:1], 0x30
	s_add_i32 s45, s23, -3
	v_mul_lo_u32 v3, s6, v2
	s_abs_i32 s6, s13
	s_sub_i32 s7, 1, s6
	s_cmp_lt_u32 s6, 2
	v_and_b32_e32 v0, 0x3ff, v0
	s_cselect_b32 s7, s7, 1
	v_lshlrev_b32_e32 v43, 3, v0
	s_mul_i32 s44, s44, s9
	v_cmp_eq_u32_e64 s[0:1], 31, v0
	s_sub_i32 s9, s7, s6
	v_lshlrev_b32_e32 v0, 4, v0
	s_cmp_ge_u32 s7, s6
	v_lshl_add_u32 v55, v1, 9, v0
	v_cndmask_b32_e64 v0, 0, 1, s[2:3]
	v_mul_hi_u32 v3, v2, v3
	s_cselect_b32 s13, s9, s7
	s_waitcnt lgkmcnt(0)
	s_add_u32 s28, s10, 2
	v_lshl_add_u32 v56, v1, 8, v43
	v_cmp_ne_u32_e64 s[2:3], 1, v0
	v_cndmask_b32_e64 v0, 0, 1, s[4:5]
	s_mov_b64 s[24:25], 0
	v_add_u32_e32 v54, v2, v3
	v_mov_b32_e32 v47, 0
	s_mul_i32 s13, s13, s12
	s_addc_u32 s29, s11, 0
	s_lshl_b32 s46, s40, 1
	s_lshl_b32 s47, s8, 9
	v_add_u32_e32 v57, s22, v56
	v_cmp_ne_u32_e64 s[4:5], 1, v0
	s_branch .LBB46_12
.LBB46_9:                               ;   in Loop: Header=BB46_12 Depth=1
	s_or_b64 exec, exec, s[34:35]
	v_mov_b32_e32 v44, s45
.LBB46_10:                              ;   in Loop: Header=BB46_12 Depth=1
	s_or_b64 exec, exec, s[8:9]
.LBB46_11:                              ;   in Loop: Header=BB46_12 Depth=1
	s_or_b64 exec, exec, s[30:31]
	v_cmp_le_u32_e32 vcc, s33, v44
	s_or_b64 s[24:25], vcc, s[24:25]
	s_andn2_b64 exec, exec, s[24:25]
	s_cbranch_execz .LBB46_52
.LBB46_12:                              ; =>This Loop Header: Depth=1
                                        ;     Child Loop BB46_17 Depth 2
                                        ;       Child Loop BB46_22 Depth 3
                                        ;     Child Loop BB46_45 Depth 2
	s_mov_b32 s36, 0
	s_and_b64 vcc, exec, s[2:3]
	v_mov_b32_e32 v62, v47
	v_mov_b32_e32 v61, v47
	;; [unrolled: 1-line block ×6, first 2 shown]
	s_cbranch_vccnz .LBB46_29
; %bb.13:                               ;   in Loop: Header=BB46_12 Depth=1
	v_min_u32_e32 v0, s43, v44
	v_mul_lo_u32 v46, v0, s21
	v_add_u32_e32 v0, 1, v44
	v_add_u32_e32 v2, 2, v44
	v_min_u32_e32 v0, s43, v0
	v_min_u32_e32 v2, s43, v2
	v_mul_lo_u32 v0, v0, s21
	v_mov_b32_e32 v1, v47
	v_mul_lo_u32 v2, v2, s21
	v_mov_b32_e32 v3, v47
	v_cmp_gt_u32_e64 s[6:7], s23, v44
	v_mov_b32_e32 v45, 0
	v_lshlrev_b64 v[48:49], 1, v[46:47]
	v_lshlrev_b64 v[50:51], 1, v[0:1]
	;; [unrolled: 1-line block ×3, first 2 shown]
	v_mov_b32_e32 v58, 0
	v_mov_b32_e32 v59, 0
	;; [unrolled: 1-line block ×5, first 2 shown]
	s_mov_b32 s37, 0
	s_branch .LBB46_17
.LBB46_14:                              ;   in Loop: Header=BB46_17 Depth=2
	s_or_b64 exec, exec, s[34:35]
.LBB46_15:                              ;   in Loop: Header=BB46_17 Depth=2
	s_or_b64 exec, exec, s[30:31]
	s_waitcnt vmcnt(5) lgkmcnt(1)
	;;#ASMSTART
	v_dot2c_f32_f16 v62, v36, v28
	;;#ASMEND
	s_waitcnt vmcnt(4)
	;;#ASMSTART
	v_dot2c_f32_f16 v61, v36, v24
	;;#ASMEND
	s_waitcnt vmcnt(3)
	;;#ASMSTART
	v_dot2c_f32_f16 v60, v36, v20
	;;#ASMEND
	s_waitcnt lgkmcnt(0)
	;;#ASMSTART
	v_dot2c_f32_f16 v59, v32, v28
	;;#ASMEND
	;;#ASMSTART
	v_dot2c_f32_f16 v58, v32, v24
	;;#ASMEND
	;;#ASMSTART
	v_dot2c_f32_f16 v45, v32, v20
	;;#ASMEND
	;;#ASMSTART
	v_dot2c_f32_f16 v62, v37, v29
	;;#ASMEND
	;;#ASMSTART
	v_dot2c_f32_f16 v61, v37, v25
	;;#ASMEND
	;;#ASMSTART
	v_dot2c_f32_f16 v60, v37, v21
	;;#ASMEND
	s_nop 0
	;;#ASMSTART
	v_dot2c_f32_f16 v59, v33, v29
	;;#ASMEND
	;;#ASMSTART
	v_dot2c_f32_f16 v58, v33, v25
	;;#ASMEND
	;;#ASMSTART
	v_dot2c_f32_f16 v45, v33, v21
	;;#ASMEND
	;;#ASMSTART
	v_dot2c_f32_f16 v62, v38, v30
	;;#ASMEND
	;;#ASMSTART
	v_dot2c_f32_f16 v61, v38, v26
	;;#ASMEND
	;;#ASMSTART
	v_dot2c_f32_f16 v60, v38, v22
	;;#ASMEND
	s_nop 0
	;; [unrolled: 19-line block ×3, first 2 shown]
	;;#ASMSTART
	v_dot2c_f32_f16 v59, v35, v31
	;;#ASMEND
	;;#ASMSTART
	v_dot2c_f32_f16 v58, v35, v27
	;;#ASMEND
	;; [unrolled: 3-line block ×3, first 2 shown]
	s_waitcnt vmcnt(2)
	;;#ASMSTART
	v_dot2c_f32_f16 v62, v16, v8
	;;#ASMEND
	s_waitcnt vmcnt(1)
	;;#ASMSTART
	v_dot2c_f32_f16 v61, v16, v4
	;;#ASMEND
	s_waitcnt vmcnt(0)
	;;#ASMSTART
	v_dot2c_f32_f16 v60, v16, v0
	;;#ASMEND
	;;#ASMSTART
	v_dot2c_f32_f16 v59, v12, v8
	;;#ASMEND
	;;#ASMSTART
	v_dot2c_f32_f16 v58, v12, v4
	;;#ASMEND
	;;#ASMSTART
	v_dot2c_f32_f16 v45, v12, v0
	;;#ASMEND
	;;#ASMSTART
	v_dot2c_f32_f16 v62, v17, v9
	;;#ASMEND
	;;#ASMSTART
	v_dot2c_f32_f16 v61, v17, v5
	;;#ASMEND
	s_nop 0
	;;#ASMSTART
	v_dot2c_f32_f16 v60, v17, v1
	;;#ASMEND
	;;#ASMSTART
	v_dot2c_f32_f16 v59, v13, v9
	;;#ASMEND
	;;#ASMSTART
	v_dot2c_f32_f16 v58, v13, v5
	;;#ASMEND
	;;#ASMSTART
	v_dot2c_f32_f16 v45, v13, v1
	;;#ASMEND
	;;#ASMSTART
	v_dot2c_f32_f16 v62, v18, v10
	;;#ASMEND
	;;#ASMSTART
	v_dot2c_f32_f16 v61, v18, v6
	;;#ASMEND
	s_nop 0
	;;#ASMSTART
	v_dot2c_f32_f16 v60, v18, v2
	;;#ASMEND
	;; [unrolled: 19-line block ×3, first 2 shown]
	;;#ASMSTART
	v_dot2c_f32_f16 v59, v15, v11
	;;#ASMEND
	;;#ASMSTART
	v_dot2c_f32_f16 v58, v15, v7
	;;#ASMEND
	;; [unrolled: 3-line block ×3, first 2 shown]
.LBB46_16:                              ;   in Loop: Header=BB46_17 Depth=2
	s_or_b64 exec, exec, s[8:9]
	s_addk_i32 s37, 0x200
	s_cmp_ge_u32 s37, s20
	s_cbranch_scc1 .LBB46_29
.LBB46_17:                              ;   Parent Loop BB46_12 Depth=1
                                        ; =>  This Loop Header: Depth=2
                                        ;       Child Loop BB46_22 Depth 3
	s_cmp_eq_u32 s37, 0
	s_cselect_b64 s[8:9], -1, 0
	s_add_i32 s30, s36, s40
	s_cmp_eq_u32 s37, s30
	s_cselect_b64 s[34:35], -1, 0
	s_or_b64 s[34:35], s[8:9], s[34:35]
	s_andn2_b64 vcc, exec, s[34:35]
	s_cbranch_vccz .LBB46_19
; %bb.18:                               ;   in Loop: Header=BB46_17 Depth=2
	s_and_saveexec_b64 s[8:9], s[6:7]
	s_cbranch_execz .LBB46_16
	s_branch .LBB46_26
.LBB46_19:                              ;   in Loop: Header=BB46_17 Depth=2
	s_and_b64 s[8:9], s[8:9], exec
	s_cselect_b32 s36, s36, s30
	s_and_b64 vcc, exec, s[4:5]
	s_barrier
	s_cbranch_vccnz .LBB46_25
; %bb.20:                               ;   in Loop: Header=BB46_17 Depth=2
	v_add_u32_e32 v0, s36, v57
	v_add_u32_e32 v1, s36, v56
	s_mov_b32 s38, 0
	s_mov_b64 s[30:31], 0
	v_mov_b32_e32 v2, v55
                                        ; implicit-def: $sgpr34_sgpr35
	s_branch .LBB46_22
.LBB46_21:                              ;   in Loop: Header=BB46_22 Depth=3
	s_or_b64 exec, exec, s[8:9]
	s_and_b64 s[8:9], exec, s[34:35]
	s_or_b64 s[30:31], s[8:9], s[30:31]
	s_andn2_b64 exec, exec, s[30:31]
	s_cbranch_execz .LBB46_24
.LBB46_22:                              ;   Parent Loop BB46_12 Depth=1
                                        ;     Parent Loop BB46_17 Depth=2
                                        ; =>    This Inner Loop Header: Depth=3
	v_add_u32_e32 v3, s38, v56
	v_add_u32_e32 v46, s38, v1
	v_cmp_gt_u32_e32 vcc, s22, v46
	v_cmp_gt_u32_e64 s[8:9], s40, v3
	s_and_b64 s[48:49], s[8:9], vcc
	s_or_b64 s[34:35], s[34:35], exec
	s_and_saveexec_b64 s[8:9], s[48:49]
	s_cbranch_execz .LBB46_21
; %bb.23:                               ;   in Loop: Header=BB46_22 Depth=3
	v_lshl_add_u64 v[4:5], v[46:47], 1, s[16:17]
	v_add_u32_e32 v46, s38, v0
	global_load_dwordx4 v[4:7], v[4:5], off
	v_lshl_add_u64 v[8:9], v[46:47], 1, s[16:17]
	global_load_dwordx4 v[8:11], v[8:9], off
	s_add_i32 s38, s38, s41
	s_cmp_ge_u32 s38, s40
	s_cselect_b64 s[48:49], -1, 0
	s_andn2_b64 s[34:35], s[34:35], exec
	s_and_b64 s[48:49], s[48:49], exec
	v_add_u32_e32 v3, s46, v2
	s_or_b64 s[34:35], s[34:35], s[48:49]
	s_waitcnt vmcnt(1)
	ds_write_b128 v2, v[4:7]
	v_add_u32_e32 v2, s47, v2
	s_waitcnt vmcnt(0)
	ds_write2_b64 v3, v[8:9], v[10:11] offset1:1
	s_branch .LBB46_21
.LBB46_24:                              ;   in Loop: Header=BB46_17 Depth=2
	s_or_b64 exec, exec, s[30:31]
.LBB46_25:                              ;   in Loop: Header=BB46_17 Depth=2
	s_waitcnt lgkmcnt(0)
	s_barrier
	s_and_saveexec_b64 s[8:9], s[6:7]
	s_cbranch_execz .LBB46_16
.LBB46_26:                              ;   in Loop: Header=BB46_17 Depth=2
	v_add_u32_e32 v63, s37, v43
	v_min_u32_e32 v46, s42, v63
	v_lshl_add_u64 v[0:1], v[46:47], 1, s[14:15]
	v_add_u32_e32 v64, 0x100, v63
	v_lshl_add_u64 v[2:3], v[0:1], 0, v[48:49]
	v_min_u32_e32 v46, s42, v64
	v_lshl_add_u64 v[4:5], v[0:1], 0, v[50:51]
	global_load_dwordx4 v[28:31], v[2:3], off nt
	global_load_dwordx4 v[24:27], v[4:5], off nt
	v_lshl_add_u64 v[2:3], v[46:47], 1, s[14:15]
	v_lshl_add_u64 v[0:1], v[0:1], 0, v[52:53]
	;; [unrolled: 1-line block ×3, first 2 shown]
	s_waitcnt vmcnt(2)
	v_lshl_add_u64 v[12:13], v[2:3], 0, v[50:51]
	global_load_dwordx4 v[20:23], v[0:1], off nt
	global_load_dwordx4 v[8:11], v[4:5], off nt
	v_lshl_add_u64 v[14:15], v[2:3], 0, v[52:53]
	global_load_dwordx4 v[4:7], v[12:13], off nt
	global_load_dwordx4 v[0:3], v[14:15], off nt
	v_cmp_gt_u32_e32 vcc, s20, v63
	v_mov_b32_e32 v36, 0
	v_mov_b32_e32 v37, 0
	;; [unrolled: 1-line block ×16, first 2 shown]
	s_and_saveexec_b64 s[30:31], vcc
	s_cbranch_execz .LBB46_15
; %bb.27:                               ;   in Loop: Header=BB46_17 Depth=2
	v_subrev_u32_e32 v12, s36, v63
	v_lshlrev_b32_e32 v63, 1, v12
	v_lshl_add_u32 v46, s40, 1, v63
	ds_read_b128 v[36:39], v63
	ds_read_b128 v[32:35], v46
	v_cmp_gt_u32_e32 vcc, s20, v64
	v_mov_b32_e32 v15, 0
	v_mov_b32_e32 v14, 0
	;; [unrolled: 1-line block ×8, first 2 shown]
	s_and_saveexec_b64 s[34:35], vcc
	s_cbranch_execz .LBB46_14
; %bb.28:                               ;   in Loop: Header=BB46_17 Depth=2
	ds_read_b128 v[16:19], v63 offset:512
	ds_read_b128 v[12:15], v46 offset:512
	s_branch .LBB46_14
.LBB46_29:                              ;   in Loop: Header=BB46_12 Depth=1
	v_cmp_le_u32_e32 vcc, s23, v44
	s_and_saveexec_b64 s[6:7], vcc
	s_xor_b64 s[6:7], exec, s[6:7]
; %bb.30:                               ;   in Loop: Header=BB46_12 Depth=1
	v_add_u32_e32 v44, s44, v44
                                        ; implicit-def: $vgpr62
                                        ; implicit-def: $vgpr61
                                        ; implicit-def: $vgpr60
                                        ; implicit-def: $vgpr59
                                        ; implicit-def: $vgpr58
                                        ; implicit-def: $vgpr45
; %bb.31:                               ;   in Loop: Header=BB46_12 Depth=1
	s_andn2_saveexec_b64 s[30:31], s[6:7]
	s_cbranch_execz .LBB46_11
; %bb.32:                               ;   in Loop: Header=BB46_12 Depth=1
	v_cvt_i32_f32_e32 v0, v62
	v_cvt_i32_f32_e32 v1, v61
	;; [unrolled: 1-line block ×4, first 2 shown]
	v_cvt_f32_i32_dpp v0, v0 row_shr:8 row_mask:0xf bank_mask:0xf bound_ctrl:1
	v_cvt_f32_i32_dpp v1, v1 row_shr:8 row_mask:0xf bank_mask:0xf bound_ctrl:1
	;; [unrolled: 1-line block ×4, first 2 shown]
	v_add_f32_e32 v0, v62, v0
	v_add_f32_e32 v1, v61, v1
	v_cvt_i32_f32_e32 v2, v0
	v_cvt_i32_f32_e32 v3, v1
	v_add_f32_e32 v4, v60, v4
	v_cvt_i32_f32_e32 v6, v4
	v_cvt_f32_i32_dpp v2, v2 row_shr:4 row_mask:0xf bank_mask:0xf bound_ctrl:1
	v_cvt_f32_i32_dpp v3, v3 row_shr:4 row_mask:0xf bank_mask:0xf bound_ctrl:1
	v_add_f32_e32 v8, v59, v5
	v_cvt_f32_i32_dpp v6, v6 row_shr:4 row_mask:0xf bank_mask:0xf bound_ctrl:1
	v_add_f32_e32 v0, v0, v2
	v_add_f32_e32 v1, v1, v3
	v_cvt_i32_f32_e32 v2, v0
	v_cvt_i32_f32_e32 v3, v1
	v_add_f32_e32 v4, v4, v6
	v_cvt_i32_f32_e32 v5, v4
	v_cvt_f32_i32_dpp v2, v2 row_shr:2 row_mask:0xf bank_mask:0xf bound_ctrl:1
	v_cvt_f32_i32_dpp v3, v3 row_shr:2 row_mask:0xf bank_mask:0xf bound_ctrl:1
	v_cvt_i32_f32_e32 v6, v8
	v_cvt_f32_i32_dpp v5, v5 row_shr:2 row_mask:0xf bank_mask:0xf bound_ctrl:1
	v_add_f32_e32 v0, v0, v2
	v_add_f32_e32 v1, v1, v3
	v_cvt_i32_f32_e32 v2, v0
	v_cvt_i32_f32_e32 v3, v1
	v_add_f32_e32 v4, v4, v5
	v_cvt_i32_f32_e32 v7, v4
	v_cvt_f32_i32_dpp v2, v2 row_shr:1 row_mask:0xf bank_mask:0xf bound_ctrl:1
	v_cvt_f32_i32_dpp v3, v3 row_shr:1 row_mask:0xf bank_mask:0xf bound_ctrl:1
	;; [unrolled: 1-line block ×4, first 2 shown]
	v_add_f32_e32 v0, v0, v2
	v_add_f32_e32 v1, v1, v3
	v_cvt_i32_f32_e32 v2, v0
	v_cvt_i32_f32_e32 v3, v1
	v_add_f32_e32 v4, v4, v9
	v_cvt_i32_f32_e32 v11, v4
	v_cvt_f32_i32_dpp v2, v2 row_bcast:15 row_mask:0xf bank_mask:0xf bound_ctrl:1
	v_cvt_f32_i32_dpp v3, v3 row_bcast:15 row_mask:0xf bank_mask:0xf bound_ctrl:1
	;; [unrolled: 1-line block ×3, first 2 shown]
	v_add_f32_e32 v5, v0, v2
	v_add_f32_e32 v1, v1, v3
	v_cvt_i32_f32_e32 v0, v5
	v_cvt_i32_f32_e32 v2, v1
	s_nop 0
	v_mov_b32_dpp v7, v0 row_bcast:31 row_mask:0xf bank_mask:0xf bound_ctrl:1
	v_mov_b32_dpp v3, v2 row_bcast:31 row_mask:0xf bank_mask:0xf bound_ctrl:1
	v_cvt_i32_f32_e32 v0, v58
	v_add_f32_e32 v2, v8, v6
	v_cvt_i32_f32_e32 v6, v45
	v_cvt_i32_f32_e32 v8, v2
	v_cvt_f32_i32_dpp v0, v0 row_shr:8 row_mask:0xf bank_mask:0xf bound_ctrl:1
	v_cvt_f32_i32_dpp v6, v6 row_shr:8 row_mask:0xf bank_mask:0xf bound_ctrl:1
	;; [unrolled: 1-line block ×3, first 2 shown]
	v_add_f32_e32 v0, v58, v0
	v_cvt_i32_f32_e32 v9, v0
	v_add_f32_e32 v6, v45, v6
	v_cvt_i32_f32_e32 v10, v6
	v_add_f32_e32 v2, v2, v8
	v_cvt_f32_i32_dpp v9, v9 row_shr:4 row_mask:0xf bank_mask:0xf bound_ctrl:1
	v_cvt_f32_i32_dpp v8, v10 row_shr:4 row_mask:0xf bank_mask:0xf bound_ctrl:1
	v_cvt_i32_f32_e32 v10, v2
	v_add_f32_e32 v0, v0, v9
	v_cvt_i32_f32_e32 v9, v0
	v_add_f32_e32 v6, v6, v8
	v_cvt_i32_f32_e32 v8, v6
	v_cvt_f32_i32_dpp v10, v10 row_shr:1 row_mask:0xf bank_mask:0xf bound_ctrl:1
	v_cvt_f32_i32_dpp v9, v9 row_shr:2 row_mask:0xf bank_mask:0xf bound_ctrl:1
	v_cvt_f32_i32_dpp v8, v8 row_shr:2 row_mask:0xf bank_mask:0xf bound_ctrl:1
	v_add_f32_e32 v2, v2, v10
	v_add_f32_e32 v0, v0, v9
	v_cvt_i32_f32_e32 v9, v0
	v_add_f32_e32 v6, v6, v8
	v_cvt_i32_f32_e32 v8, v6
	v_add_f32_e32 v10, v4, v11
	v_cvt_f32_i32_dpp v9, v9 row_shr:1 row_mask:0xf bank_mask:0xf bound_ctrl:1
	v_cvt_i32_f32_e32 v12, v2
	v_cvt_f32_i32_dpp v4, v8 row_shr:1 row_mask:0xf bank_mask:0xf bound_ctrl:1
	v_cvt_i32_f32_e32 v11, v10
	v_add_f32_e32 v0, v0, v9
	v_cvt_f32_i32_dpp v8, v12 row_bcast:15 row_mask:0xf bank_mask:0xf bound_ctrl:1
	v_add_f32_e32 v4, v6, v4
	v_cvt_i32_f32_e32 v9, v0
	v_cvt_i32_f32_e32 v6, v4
	s_nop 0
	v_cvt_f32_i32_dpp v12, v9 row_bcast:15 row_mask:0xf bank_mask:0xf bound_ctrl:1
	v_add_f32_e32 v9, v2, v8
	v_cvt_f32_i32_dpp v2, v6 row_bcast:15 row_mask:0xf bank_mask:0xf bound_ctrl:1
	v_cvt_i32_f32_e32 v8, v9
	v_add_f32_e32 v6, v0, v12
	v_cvt_i32_f32_e32 v0, v6
	v_add_f32_e32 v2, v4, v2
	v_cvt_i32_f32_e32 v4, v2
	v_mov_b32_dpp v12, v11 row_bcast:31 row_mask:0xf bank_mask:0xf bound_ctrl:1
	v_mov_b32_dpp v11, v8 row_bcast:31 row_mask:0xf bank_mask:0xf bound_ctrl:1
	;; [unrolled: 1-line block ×4, first 2 shown]
	s_and_saveexec_b64 s[34:35], s[0:1]
	s_cbranch_execz .LBB46_42
; %bb.33:                               ;   in Loop: Header=BB46_12 Depth=1
	s_andn2_b64 vcc, exec, s[26:27]
	s_waitcnt vmcnt(5)
	v_mov_b32_e32 v18, 0
	v_add_u32_e32 v0, 2, v44
	s_waitcnt vmcnt(4)
	v_mov_b32_e32 v17, 0
	s_waitcnt vmcnt(3)
	v_mov_b32_e32 v16, 0
	;; [unrolled: 2-line block ×5, first 2 shown]
	s_cbranch_vccnz .LBB46_35
; %bb.34:                               ;   in Loop: Header=BB46_12 Depth=1
	v_mul_hi_u32 v13, v44, v54
	v_mul_lo_u32 v13, v13, s12
	v_sub_u32_e32 v13, v44, v13
	v_subrev_u32_e32 v14, s12, v13
	v_cmp_le_u32_e32 vcc, s12, v13
	v_mov_b32_e32 v15, v47
	v_mov_b32_e32 v17, v47
	v_cndmask_b32_e32 v13, v13, v14, vcc
	v_subrev_u32_e32 v14, s12, v13
	v_cmp_le_u32_e32 vcc, s12, v13
	s_nop 1
	v_cndmask_b32_e32 v46, v13, v14, vcc
	v_add_u32_e32 v13, 1, v44
	v_mul_hi_u32 v14, v13, v54
	v_mul_lo_u32 v14, v14, s12
	v_sub_u32_e32 v13, v13, v14
	v_subrev_u32_e32 v14, s12, v13
	v_cmp_le_u32_e32 vcc, s12, v13
	v_lshl_add_u64 v[20:21], v[46:47], 1, s[18:19]
	v_add_u32_e32 v46, s13, v46
	v_cndmask_b32_e32 v13, v13, v14, vcc
	v_subrev_u32_e32 v14, s12, v13
	v_cmp_le_u32_e32 vcc, s12, v13
	v_lshl_add_u64 v[26:27], v[46:47], 1, s[18:19]
	s_nop 0
	v_cndmask_b32_e32 v14, v13, v14, vcc
	v_mul_hi_u32 v13, v0, v54
	v_mul_lo_u32 v13, v13, s12
	v_sub_u32_e32 v13, v0, v13
	v_lshl_add_u64 v[22:23], v[14:15], 1, s[18:19]
	v_subrev_u32_e32 v15, s12, v13
	v_cmp_le_u32_e32 vcc, s12, v13
	v_add_u32_e32 v46, s13, v14
	v_lshl_add_u64 v[28:29], v[46:47], 1, s[18:19]
	v_cndmask_b32_e32 v13, v13, v15, vcc
	v_subrev_u32_e32 v15, s12, v13
	v_cmp_le_u32_e32 vcc, s12, v13
	s_nop 1
	v_cndmask_b32_e32 v16, v13, v15, vcc
	v_add_u32_e32 v46, s13, v16
	v_lshl_add_u64 v[24:25], v[16:17], 1, s[18:19]
	v_lshl_add_u64 v[30:31], v[46:47], 1, s[18:19]
	global_load_ushort v18, v[20:21], off
	global_load_ushort v17, v[22:23], off
	;; [unrolled: 1-line block ×6, first 2 shown]
.LBB46_35:                              ;   in Loop: Header=BB46_12 Depth=1
	v_cmp_ne_u32_e32 vcc, 0, v40
	s_and_saveexec_b64 s[6:7], vcc
	s_cbranch_execnz .LBB46_47
; %bb.36:                               ;   in Loop: Header=BB46_12 Depth=1
	s_or_b64 exec, exec, s[6:7]
	v_cmp_ne_u32_e64 s[6:7], 0, v41
	s_and_saveexec_b64 s[8:9], s[6:7]
	s_cbranch_execnz .LBB46_48
.LBB46_37:                              ;   in Loop: Header=BB46_12 Depth=1
	s_or_b64 exec, exec, s[8:9]
	v_cmp_ne_u32_e64 s[8:9], 0, v42
	s_and_saveexec_b64 s[36:37], s[8:9]
	s_cbranch_execnz .LBB46_49
.LBB46_38:                              ;   in Loop: Header=BB46_12 Depth=1
	s_or_b64 exec, exec, s[36:37]
	v_add_u32_e32 v46, s23, v44
	s_and_saveexec_b64 s[36:37], vcc
	s_cbranch_execnz .LBB46_50
.LBB46_39:                              ;   in Loop: Header=BB46_12 Depth=1
	s_or_b64 exec, exec, s[36:37]
	s_and_saveexec_b64 s[36:37], s[6:7]
	s_cbranch_execnz .LBB46_51
.LBB46_40:                              ;   in Loop: Header=BB46_12 Depth=1
	s_or_b64 exec, exec, s[36:37]
	s_and_b64 exec, exec, s[8:9]
	s_cbranch_execz .LBB46_42
.LBB46_41:                              ;   in Loop: Header=BB46_12 Depth=1
	v_cvt_f32_i32_e32 v0, v4
	s_waitcnt vmcnt(0)
	v_cvt_f32_f16_e32 v1, v13
	v_add_u32_e32 v46, 2, v46
	v_add_f32_e32 v0, v2, v0
	v_add_f32_e32 v0, v0, v1
	v_cvt_f16_f32_e32 v2, v0
	v_lshl_add_u64 v[0:1], v[46:47], 1, s[10:11]
	global_store_short v[0:1], v2, off
.LBB46_42:                              ;   in Loop: Header=BB46_12 Depth=1
	s_or_b64 exec, exec, s[34:35]
	v_add_u32_e32 v44, s44, v44
	v_add_u32_e32 v0, 3, v44
	v_cmp_gt_u32_e32 vcc, s23, v44
	v_cmp_le_u32_e64 s[6:7], s23, v0
	s_and_b64 s[6:7], vcc, s[6:7]
	s_and_saveexec_b64 s[8:9], s[6:7]
	s_cbranch_execz .LBB46_10
; %bb.43:                               ;   in Loop: Header=BB46_12 Depth=1
	v_cmp_ne_u32_e32 vcc, s45, v44
	s_and_saveexec_b64 s[34:35], vcc
	s_cbranch_execz .LBB46_9
; %bb.44:                               ;   in Loop: Header=BB46_12 Depth=1
	v_subrev_u32_e32 v0, s45, v44
	v_cmp_lt_u32_e32 vcc, 1, v0
	s_mov_b64 s[36:37], 0
	s_mov_b64 s[38:39], 0
	v_cndmask_b32_e32 v0, 1, v0, vcc
.LBB46_45:                              ;   Parent Loop BB46_12 Depth=1
                                        ; =>  This Inner Loop Header: Depth=2
	s_cmp_lg_u32 s38, 2
	s_cselect_b64 vcc, -1, 0
	s_cmp_lg_u32 s38, 1
	v_cndmask_b32_e32 v42, 0, v42, vcc
	s_cselect_b64 vcc, -1, 0
	s_cmp_lg_u32 s38, 0
	v_cndmask_b32_e32 v41, 0, v41, vcc
	s_cselect_b64 vcc, -1, 0
	s_add_u32 s38, s38, 1
	s_addc_u32 s39, s39, 0
	v_cmp_eq_u32_e64 s[6:7], s38, v0
	s_or_b64 s[36:37], s[6:7], s[36:37]
	v_cndmask_b32_e32 v40, 0, v40, vcc
	s_andn2_b64 exec, exec, s[36:37]
	s_cbranch_execnz .LBB46_45
; %bb.46:                               ;   in Loop: Header=BB46_12 Depth=1
	s_or_b64 exec, exec, s[36:37]
	s_branch .LBB46_9
.LBB46_47:                              ;   in Loop: Header=BB46_12 Depth=1
	v_cvt_f32_i32_e32 v7, v7
	s_waitcnt vmcnt(5)
	v_cvt_f32_f16_e32 v18, v18
	v_mov_b32_e32 v45, v47
	v_add_f32_e32 v5, v5, v7
	v_add_f32_e32 v5, v5, v18
	v_cvt_f16_f32_e32 v5, v5
	v_lshl_add_u64 v[18:19], v[44:45], 1, s[10:11]
	global_store_short v[18:19], v5, off
	s_or_b64 exec, exec, s[6:7]
	v_cmp_ne_u32_e64 s[6:7], 0, v41
	s_and_saveexec_b64 s[8:9], s[6:7]
	s_cbranch_execz .LBB46_37
.LBB46_48:                              ;   in Loop: Header=BB46_12 Depth=1
	v_cvt_f32_i32_e32 v3, v3
	s_waitcnt vmcnt(4)
	v_cvt_f32_f16_e32 v5, v17
	v_mov_b32_e32 v45, v47
	v_lshl_add_u64 v[18:19], v[44:45], 1, s[28:29]
	v_add_f32_e32 v1, v1, v3
	v_add_f32_e32 v1, v1, v5
	v_cvt_f16_f32_e32 v1, v1
	global_store_short v[18:19], v1, off
	s_or_b64 exec, exec, s[8:9]
	v_cmp_ne_u32_e64 s[8:9], 0, v42
	s_and_saveexec_b64 s[36:37], s[8:9]
	s_cbranch_execz .LBB46_38
.LBB46_49:                              ;   in Loop: Header=BB46_12 Depth=1
	v_cvt_f32_i32_e32 v1, v12
	s_waitcnt vmcnt(3)
	v_cvt_f32_f16_e32 v3, v16
	v_add_f32_e32 v1, v10, v1
	v_add_f32_e32 v1, v1, v3
	v_cvt_f16_f32_e32 v3, v1
	v_mov_b32_e32 v1, v47
	v_lshl_add_u64 v[0:1], v[0:1], 1, s[10:11]
	global_store_short v[0:1], v3, off
	s_or_b64 exec, exec, s[36:37]
	v_add_u32_e32 v46, s23, v44
	s_and_saveexec_b64 s[36:37], vcc
	s_cbranch_execz .LBB46_39
.LBB46_50:                              ;   in Loop: Header=BB46_12 Depth=1
	v_cvt_f32_i32_e32 v0, v11
	s_waitcnt vmcnt(2)
	v_cvt_f32_f16_e32 v1, v15
	v_add_f32_e32 v0, v9, v0
	v_add_f32_e32 v0, v0, v1
	v_cvt_f16_f32_e32 v3, v0
	v_lshl_add_u64 v[0:1], v[46:47], 1, s[10:11]
	global_store_short v[0:1], v3, off
	s_or_b64 exec, exec, s[36:37]
	s_and_saveexec_b64 s[36:37], s[6:7]
	s_cbranch_execz .LBB46_40
.LBB46_51:                              ;   in Loop: Header=BB46_12 Depth=1
	v_cvt_f32_i32_e32 v0, v8
	s_waitcnt vmcnt(1)
	v_cvt_f32_f16_e32 v1, v14
	v_add_f32_e32 v0, v6, v0
	v_add_f32_e32 v0, v0, v1
	v_cvt_f16_f32_e32 v3, v0
	v_add_u32_e32 v0, 1, v46
	v_mov_b32_e32 v1, v47
	v_lshl_add_u64 v[0:1], v[0:1], 1, s[10:11]
	global_store_short v[0:1], v3, off
	s_or_b64 exec, exec, s[36:37]
	s_and_b64 exec, exec, s[8:9]
	s_cbranch_execnz .LBB46_41
	s_branch .LBB46_42
.LBB46_52:
	s_endpgm
	.section	.rodata,"a",@progbits
	.p2align	6, 0x0
	.amdhsa_kernel _Z16wvSplitK_hf_big_I6__halfLi32ELi3ELi16ELi8ELi2ELi2EEviiiiiiPKT_S3_S3_PS1_ii
		.amdhsa_group_segment_fixed_size 65536
		.amdhsa_private_segment_fixed_size 0
		.amdhsa_kernarg_size 64
		.amdhsa_user_sgpr_count 2
		.amdhsa_user_sgpr_dispatch_ptr 0
		.amdhsa_user_sgpr_queue_ptr 0
		.amdhsa_user_sgpr_kernarg_segment_ptr 1
		.amdhsa_user_sgpr_dispatch_id 0
		.amdhsa_user_sgpr_kernarg_preload_length 0
		.amdhsa_user_sgpr_kernarg_preload_offset 0
		.amdhsa_user_sgpr_private_segment_size 0
		.amdhsa_uses_dynamic_stack 0
		.amdhsa_enable_private_segment 0
		.amdhsa_system_sgpr_workgroup_id_x 1
		.amdhsa_system_sgpr_workgroup_id_y 0
		.amdhsa_system_sgpr_workgroup_id_z 0
		.amdhsa_system_sgpr_workgroup_info 0
		.amdhsa_system_vgpr_workitem_id 1
		.amdhsa_next_free_vgpr 65
		.amdhsa_next_free_sgpr 50
		.amdhsa_accum_offset 68
		.amdhsa_reserve_vcc 1
		.amdhsa_float_round_mode_32 0
		.amdhsa_float_round_mode_16_64 0
		.amdhsa_float_denorm_mode_32 3
		.amdhsa_float_denorm_mode_16_64 3
		.amdhsa_dx10_clamp 1
		.amdhsa_ieee_mode 1
		.amdhsa_fp16_overflow 0
		.amdhsa_tg_split 0
		.amdhsa_exception_fp_ieee_invalid_op 0
		.amdhsa_exception_fp_denorm_src 0
		.amdhsa_exception_fp_ieee_div_zero 0
		.amdhsa_exception_fp_ieee_overflow 0
		.amdhsa_exception_fp_ieee_underflow 0
		.amdhsa_exception_fp_ieee_inexact 0
		.amdhsa_exception_int_div_zero 0
	.end_amdhsa_kernel
	.section	.text._Z16wvSplitK_hf_big_I6__halfLi32ELi3ELi16ELi8ELi2ELi2EEviiiiiiPKT_S3_S3_PS1_ii,"axG",@progbits,_Z16wvSplitK_hf_big_I6__halfLi32ELi3ELi16ELi8ELi2ELi2EEviiiiiiPKT_S3_S3_PS1_ii,comdat
.Lfunc_end46:
	.size	_Z16wvSplitK_hf_big_I6__halfLi32ELi3ELi16ELi8ELi2ELi2EEviiiiiiPKT_S3_S3_PS1_ii, .Lfunc_end46-_Z16wvSplitK_hf_big_I6__halfLi32ELi3ELi16ELi8ELi2ELi2EEviiiiiiPKT_S3_S3_PS1_ii
                                        ; -- End function
	.section	.AMDGPU.csdata,"",@progbits
; Kernel info:
; codeLenInByte = 3348
; NumSgprs: 56
; NumVgprs: 65
; NumAgprs: 0
; TotalNumVgprs: 65
; ScratchSize: 0
; MemoryBound: 0
; FloatMode: 240
; IeeeMode: 1
; LDSByteSize: 65536 bytes/workgroup (compile time only)
; SGPRBlocks: 6
; VGPRBlocks: 8
; NumSGPRsForWavesPerEU: 56
; NumVGPRsForWavesPerEU: 65
; AccumOffset: 68
; Occupancy: 2
; WaveLimiterHint : 0
; COMPUTE_PGM_RSRC2:SCRATCH_EN: 0
; COMPUTE_PGM_RSRC2:USER_SGPR: 2
; COMPUTE_PGM_RSRC2:TRAP_HANDLER: 0
; COMPUTE_PGM_RSRC2:TGID_X_EN: 1
; COMPUTE_PGM_RSRC2:TGID_Y_EN: 0
; COMPUTE_PGM_RSRC2:TGID_Z_EN: 0
; COMPUTE_PGM_RSRC2:TIDIG_COMP_CNT: 1
; COMPUTE_PGM_RSRC3_GFX90A:ACCUM_OFFSET: 16
; COMPUTE_PGM_RSRC3_GFX90A:TG_SPLIT: 0
	.section	.text._Z16wvSplitK_hf_sml_I6__halfLi32ELi4ELi16ELi8ELi1ELi2EEviiiiiiPKT_S3_S3_PS1_ii,"axG",@progbits,_Z16wvSplitK_hf_sml_I6__halfLi32ELi4ELi16ELi8ELi1ELi2EEviiiiiiPKT_S3_S3_PS1_ii,comdat
	.protected	_Z16wvSplitK_hf_sml_I6__halfLi32ELi4ELi16ELi8ELi1ELi2EEviiiiiiPKT_S3_S3_PS1_ii ; -- Begin function _Z16wvSplitK_hf_sml_I6__halfLi32ELi4ELi16ELi8ELi1ELi2EEviiiiiiPKT_S3_S3_PS1_ii
	.globl	_Z16wvSplitK_hf_sml_I6__halfLi32ELi4ELi16ELi8ELi1ELi2EEviiiiiiPKT_S3_S3_PS1_ii
	.p2align	8
	.type	_Z16wvSplitK_hf_sml_I6__halfLi32ELi4ELi16ELi8ELi1ELi2EEviiiiiiPKT_S3_S3_PS1_ii,@function
_Z16wvSplitK_hf_sml_I6__halfLi32ELi4ELi16ELi8ELi1ELi2EEviiiiiiPKT_S3_S3_PS1_ii: ; @_Z16wvSplitK_hf_sml_I6__halfLi32ELi4ELi16ELi8ELi1ELi2EEviiiiiiPKT_S3_S3_PS1_ii
; %bb.0:
	s_load_dwordx4 s[4:7], s[0:1], 0x0
	v_and_b32_e32 v4, 0x3ff, v0
	v_bfe_u32 v5, v0, 10, 10
	v_lshlrev_b32_e32 v36, 3, v4
	v_lshl_add_u32 v6, v5, 8, v36
	s_waitcnt lgkmcnt(0)
	s_lshl_b32 s6, s6, 1
	s_min_u32 s3, s6, 0x8000
	v_cmp_gt_u32_e32 vcc, s3, v6
	s_and_saveexec_b64 s[8:9], vcc
	s_cbranch_execz .LBB47_9
; %bb.1:
	s_load_dwordx2 s[10:11], s[0:1], 0x20
	v_lshlrev_b32_e32 v0, 1, v6
	v_add_u32_e32 v1, 0x1000, v6
	v_cmp_gt_u32_e32 vcc, s3, v1
	s_waitcnt lgkmcnt(0)
	global_load_dwordx4 v[8:11], v0, s[10:11]
	s_waitcnt vmcnt(0)
	ds_write_b128 v0, v[8:11]
	s_and_saveexec_b64 s[12:13], vcc
	s_xor_b64 s[12:13], exec, s[12:13]
	s_cbranch_execz .LBB47_9
; %bb.2:
	v_mov_b32_e32 v1, 0
	v_lshl_add_u64 v[2:3], s[10:11], 0, v[0:1]
	v_add_co_u32_e32 v8, vcc, 0x2000, v2
	v_add_u32_e32 v1, 0x2000, v6
	s_nop 0
	v_addc_co_u32_e32 v9, vcc, 0, v3, vcc
	global_load_dwordx4 v[8:11], v[8:9], off
	v_cmp_gt_u32_e32 vcc, s3, v1
	s_waitcnt vmcnt(0)
	ds_write_b128 v0, v[8:11] offset:8192
	s_and_saveexec_b64 s[10:11], vcc
	s_xor_b64 s[10:11], exec, s[10:11]
	s_cbranch_execz .LBB47_9
; %bb.3:
	v_add_co_u32_e32 v8, vcc, 0x4000, v2
	v_add_u32_e32 v1, 0x3000, v6
	s_nop 0
	v_addc_co_u32_e32 v9, vcc, 0, v3, vcc
	global_load_dwordx4 v[8:11], v[8:9], off
	v_cmp_gt_u32_e32 vcc, s3, v1
	s_waitcnt vmcnt(0)
	ds_write_b128 v0, v[8:11] offset:16384
	s_and_saveexec_b64 s[10:11], vcc
	s_xor_b64 s[10:11], exec, s[10:11]
	s_cbranch_execz .LBB47_9
; %bb.4:
	;; [unrolled: 12-line block ×6, first 2 shown]
	v_add_co_u32_e32 v2, vcc, 0xe000, v2
	s_nop 1
	v_addc_co_u32_e32 v3, vcc, 0, v3, vcc
	global_load_dwordx4 v[6:9], v[2:3], off
	s_waitcnt vmcnt(0)
	ds_write_b128 v0, v[6:9] offset:57344
.LBB47_9:
	s_or_b64 exec, exec, s[8:9]
	s_load_dwordx2 s[16:17], s[0:1], 0x38
	s_waitcnt lgkmcnt(0)
	s_barrier
	v_cmp_gt_u32_e32 vcc, s16, v5
	s_and_saveexec_b64 s[8:9], vcc
	s_cbranch_execz .LBB47_24
; %bb.10:
	s_load_dwordx2 s[12:13], s[0:1], 0x10
	s_mul_i32 s2, s2, s16
	v_add_lshl_u32 v24, s2, v5, 2
	v_cmp_gt_u32_e32 vcc, s7, v24
	s_and_b64 exec, exec, vcc
	s_cbranch_execz .LBB47_24
; %bb.11:
	s_waitcnt lgkmcnt(0)
	v_cvt_f32_u32_e32 v0, s12
	s_load_dwordx4 s[8:11], s[0:1], 0x28
	s_load_dwordx2 s[14:15], s[0:1], 0x18
	s_cmp_lg_u32 s4, 0
	s_cselect_b64 s[2:3], -1, 0
	v_rcp_iflag_f32_e32 v0, v0
	s_add_i32 s24, s4, -8
	s_add_i32 s25, s7, -1
	s_mul_i32 s20, s16, s17
	v_mul_f32_e32 v0, 0x4f7ffffe, v0
	v_cvt_u32_f32_e32 v0, v0
	s_waitcnt lgkmcnt(0)
	s_cmp_lg_u64 s[8:9], 0
	s_cselect_b64 s[18:19], -1, 0
	s_lshl_b32 s26, s20, 2
	s_sub_i32 s20, 0, s12
	s_abs_i32 s13, s13
	v_mul_lo_u32 v1, s20, v0
	s_sub_i32 s20, 1, s13
	s_cmp_lt_u32 s13, 2
	s_cselect_b32 s20, s20, 1
	s_sub_i32 s21, s20, s13
	v_mul_hi_u32 v1, v0, v1
	s_cmp_ge_u32 s20, s13
	v_add_u32_e32 v37, v0, v1
	s_cselect_b32 s13, s21, s20
	v_cndmask_b32_e64 v0, 0, 1, s[2:3]
	v_cmp_eq_u32_e64 s[0:1], 31, v4
	s_mov_b64 s[16:17], 0
	v_mov_b32_e32 v27, 0
	s_mul_i32 s13, s13, s12
	v_lshlrev_b32_e32 v38, 4, v4
	v_cmp_ne_u32_e64 s[2:3], 1, v0
	s_branch .LBB47_14
.LBB47_12:                              ;   in Loop: Header=BB47_14 Depth=1
	v_cvt_f32_i32_e32 v2, v2
	v_cvt_f32_i32_e32 v4, v4
	;; [unrolled: 1-line block ×4, first 2 shown]
	v_add_f32_e32 v0, v0, v2
	v_cvt_f32_i32_e32 v2, v15
	v_add_f32_e32 v1, v1, v4
	v_add_f32_e32 v4, v5, v7
	;; [unrolled: 1-line block ×4, first 2 shown]
	s_waitcnt vmcnt(7)
	v_cvt_f32_f16_e32 v8, v23
	v_cvt_f32_i32_e32 v2, v14
	v_cvt_f32_i32_e32 v6, v13
	v_add_u32_e32 v26, s7, v24
	v_add_f32_e32 v0, v0, v8
	v_add_f32_e32 v9, v9, v2
	;; [unrolled: 1-line block ×3, first 2 shown]
	s_waitcnt vmcnt(6)
	v_cvt_f32_f16_e32 v2, v22
	s_waitcnt vmcnt(5)
	v_cvt_f32_f16_e32 v8, v21
	v_cvt_f16_f32_e32 v10, v0
	s_waitcnt vmcnt(4)
	v_cvt_f32_f16_e32 v0, v20
	v_add_f32_e32 v1, v1, v2
	v_add_f32_e32 v2, v3, v8
	v_cvt_f16_f32_e32 v2, v2
	v_add_f32_e32 v0, v4, v0
	v_cvt_f16_f32_e32 v3, v0
	v_cvt_f16_f32_e32 v4, v1
	s_waitcnt vmcnt(3)
	v_cvt_f32_f16_e32 v8, v19
	v_lshl_add_u64 v[0:1], v[24:25], 1, s[10:11]
	v_pack_b32_f16 v3, v2, v3
	v_pack_b32_f16 v2, v10, v4
	global_store_dwordx2 v[0:1], v[2:3], off
	v_add_f32_e32 v0, v5, v8
	v_cvt_f16_f32_e32 v2, v0
	s_waitcnt vmcnt(3)
	v_cvt_f32_f16_e32 v3, v18
	v_lshl_add_u64 v[0:1], v[26:27], 1, s[10:11]
	v_cvt_f32_i32_e32 v7, v12
	global_store_short v[0:1], v2, off
	v_add_f32_e32 v0, v9, v3
	v_cvt_f16_f32_e32 v2, v0
	s_waitcnt vmcnt(3)
	v_cvt_f32_f16_e32 v3, v17
	v_add_u32_e32 v0, 1, v26
	v_mov_b32_e32 v1, v27
	v_lshl_add_u64 v[0:1], v[0:1], 1, s[10:11]
	global_store_short v[0:1], v2, off
	v_add_f32_e32 v0, v6, v3
	s_waitcnt vmcnt(3)
	v_cvt_f32_f16_e32 v3, v16
	v_add_f32_e32 v7, v11, v7
	v_cvt_f16_f32_e32 v2, v0
	v_add_u32_e32 v0, 2, v26
	v_add_f32_e32 v3, v7, v3
	v_cvt_f16_f32_e32 v3, v3
	v_mov_b32_e32 v1, v27
	v_lshl_add_u64 v[0:1], v[0:1], 1, s[10:11]
	v_add_u32_e32 v26, 3, v26
	global_store_short v[0:1], v2, off
	v_lshl_add_u64 v[0:1], v[26:27], 1, s[10:11]
	global_store_short v[0:1], v3, off
.LBB47_13:                              ;   in Loop: Header=BB47_14 Depth=1
	s_or_b64 exec, exec, s[20:21]
	v_add_u32_e32 v24, s26, v24
	v_cmp_le_u32_e32 vcc, s7, v24
	s_or_b64 s[16:17], vcc, s[16:17]
	s_andn2_b64 exec, exec, s[16:17]
	s_cbranch_execz .LBB47_24
.LBB47_14:                              ; =>This Loop Header: Depth=1
                                        ;     Child Loop BB47_17 Depth 2
	s_mov_b32 s22, 0
	s_and_b64 vcc, exec, s[2:3]
	v_mov_b32_e32 v45, v27
	v_mov_b32_e32 v44, v27
	;; [unrolled: 1-line block ×8, first 2 shown]
	s_cbranch_vccnz .LBB47_19
; %bb.15:                               ;   in Loop: Header=BB47_14 Depth=1
	v_min_u32_e32 v0, s25, v24
	v_mul_lo_u32 v28, v0, s5
	v_or_b32_e32 v0, 1, v24
	v_min_u32_e32 v0, s25, v0
	v_mul_lo_u32 v30, v0, s5
	v_or_b32_e32 v0, 2, v24
	;; [unrolled: 3-line block ×3, first 2 shown]
	v_min_u32_e32 v0, s25, v0
	v_mov_b32_e32 v29, v27
	v_mov_b32_e32 v31, v27
	;; [unrolled: 1-line block ×3, first 2 shown]
	v_mul_lo_u32 v34, v0, s5
	v_mov_b32_e32 v35, v27
	v_mov_b32_e32 v41, 0
	;; [unrolled: 1-line block ×10, first 2 shown]
	s_branch .LBB47_17
.LBB47_16:                              ;   in Loop: Header=BB47_17 Depth=2
	s_or_b64 exec, exec, s[20:21]
	s_waitcnt vmcnt(3) lgkmcnt(1)
	;;#ASMSTART
	v_dot2c_f32_f16 v45, v20, v16
	;;#ASMEND
	s_waitcnt vmcnt(2)
	;;#ASMSTART
	v_dot2c_f32_f16 v44, v20, v12
	;;#ASMEND
	s_waitcnt vmcnt(1)
	;; [unrolled: 4-line block ×3, first 2 shown]
	;;#ASMSTART
	v_dot2c_f32_f16 v42, v20, v0
	;;#ASMEND
	s_waitcnt lgkmcnt(0)
	;;#ASMSTART
	v_dot2c_f32_f16 v41, v8, v16
	;;#ASMEND
	;;#ASMSTART
	v_dot2c_f32_f16 v40, v8, v12
	;;#ASMEND
	;;#ASMSTART
	v_dot2c_f32_f16 v39, v8, v4
	;;#ASMEND
	;;#ASMSTART
	v_dot2c_f32_f16 v25, v8, v0
	;;#ASMEND
	;;#ASMSTART
	v_dot2c_f32_f16 v45, v21, v17
	;;#ASMEND
	;;#ASMSTART
	v_dot2c_f32_f16 v44, v21, v13
	;;#ASMEND
	;;#ASMSTART
	v_dot2c_f32_f16 v43, v21, v5
	;;#ASMEND
	;;#ASMSTART
	v_dot2c_f32_f16 v42, v21, v1
	;;#ASMEND
	s_nop 0
	;;#ASMSTART
	v_dot2c_f32_f16 v41, v9, v17
	;;#ASMEND
	;;#ASMSTART
	v_dot2c_f32_f16 v40, v9, v13
	;;#ASMEND
	;; [unrolled: 3-line block ×4, first 2 shown]
	s_addk_i32 s22, 0x100
	;;#ASMSTART
	v_dot2c_f32_f16 v45, v22, v18
	;;#ASMEND
	;;#ASMSTART
	v_dot2c_f32_f16 v44, v22, v14
	;;#ASMEND
	;; [unrolled: 3-line block ×8, first 2 shown]
	s_cmp_ge_u32 s22, s4
	v_add_u32_e32 v46, 0x200, v46
	;;#ASMSTART
	v_dot2c_f32_f16 v45, v23, v19
	;;#ASMEND
	;;#ASMSTART
	v_dot2c_f32_f16 v44, v23, v15
	;;#ASMEND
	;; [unrolled: 3-line block ×8, first 2 shown]
	s_cbranch_scc1 .LBB47_19
.LBB47_17:                              ;   Parent Loop BB47_14 Depth=1
                                        ; =>  This Inner Loop Header: Depth=2
	v_add_u32_e32 v20, s22, v36
	v_min_u32_e32 v26, s24, v20
	v_lshl_add_u64 v[0:1], v[26:27], 1, s[14:15]
	v_lshl_add_u64 v[2:3], v[28:29], 1, v[0:1]
	;; [unrolled: 1-line block ×4, first 2 shown]
	global_load_dwordx4 v[16:19], v[2:3], off nt
	global_load_dwordx4 v[12:15], v[4:5], off nt
	v_lshl_add_u64 v[10:11], v[34:35], 1, v[0:1]
	global_load_dwordx4 v[4:7], v[8:9], off nt
	global_load_dwordx4 v[0:3], v[10:11], off nt
	v_cmp_gt_u32_e32 vcc, s4, v20
	v_mov_b32_e32 v20, 0
	v_mov_b32_e32 v21, 0
	;; [unrolled: 1-line block ×8, first 2 shown]
	s_and_saveexec_b64 s[20:21], vcc
	s_cbranch_execz .LBB47_16
; %bb.18:                               ;   in Loop: Header=BB47_17 Depth=2
	v_add_u32_e32 v8, s6, v46
	ds_read_b128 v[20:23], v46
	ds_read_b128 v[8:11], v8
	s_branch .LBB47_16
.LBB47_19:                              ;   in Loop: Header=BB47_14 Depth=1
	; sched_barrier mask(0x00000000)
	v_cvt_i32_f32_e32 v0, v45
	v_cvt_i32_f32_e32 v1, v44
	;; [unrolled: 1-line block ×4, first 2 shown]
	v_cvt_f32_i32_dpp v0, v0 row_shr:8 row_mask:0xf bank_mask:0xf bound_ctrl:1
	v_cvt_f32_i32_dpp v1, v1 row_shr:8 row_mask:0xf bank_mask:0xf bound_ctrl:1
	;; [unrolled: 1-line block ×4, first 2 shown]
	v_add_f32_e32 v0, v45, v0
	v_cvt_i32_f32_e32 v4, v0
	v_add_f32_e32 v1, v44, v1
	v_cvt_i32_f32_e32 v5, v1
	v_add_f32_e32 v2, v43, v2
	v_cvt_f32_i32_dpp v4, v4 row_shr:4 row_mask:0xf bank_mask:0xf bound_ctrl:1
	v_cvt_i32_f32_e32 v6, v2
	v_cvt_f32_i32_dpp v5, v5 row_shr:4 row_mask:0xf bank_mask:0xf bound_ctrl:1
	v_add_f32_e32 v3, v42, v3
	v_add_f32_e32 v0, v0, v4
	v_cvt_i32_f32_e32 v4, v0
	v_add_f32_e32 v1, v1, v5
	v_cvt_i32_f32_e32 v5, v1
	v_cvt_f32_i32_dpp v6, v6 row_shr:4 row_mask:0xf bank_mask:0xf bound_ctrl:1
	v_cvt_f32_i32_dpp v4, v4 row_shr:2 row_mask:0xf bank_mask:0xf bound_ctrl:1
	v_cvt_i32_f32_e32 v7, v3
	v_cvt_f32_i32_dpp v5, v5 row_shr:2 row_mask:0xf bank_mask:0xf bound_ctrl:1
	v_add_f32_e32 v2, v2, v6
	v_add_f32_e32 v0, v0, v4
	v_cvt_i32_f32_e32 v4, v0
	v_add_f32_e32 v1, v1, v5
	v_cvt_i32_f32_e32 v5, v1
	v_cvt_i32_f32_e32 v6, v2
	v_cvt_f32_i32_dpp v4, v4 row_shr:1 row_mask:0xf bank_mask:0xf bound_ctrl:1
	v_cvt_f32_i32_dpp v7, v7 row_shr:4 row_mask:0xf bank_mask:0xf bound_ctrl:1
	;; [unrolled: 1-line block ×4, first 2 shown]
	v_add_f32_e32 v0, v0, v4
	v_cvt_i32_f32_e32 v4, v0
	v_add_f32_e32 v1, v1, v5
	v_add_f32_e32 v6, v2, v6
	;; [unrolled: 1-line block ×3, first 2 shown]
	v_cvt_f32_i32_dpp v2, v4 row_bcast:15 row_mask:0xf bank_mask:0xf bound_ctrl:1
	v_cvt_i32_f32_e32 v4, v1
	v_cvt_i32_f32_e32 v7, v3
	;; [unrolled: 1-line block ×3, first 2 shown]
	v_add_f32_e32 v0, v0, v2
	v_cvt_f32_i32_dpp v4, v4 row_bcast:15 row_mask:0xf bank_mask:0xf bound_ctrl:1
	v_cvt_f32_i32_dpp v7, v7 row_shr:2 row_mask:0xf bank_mask:0xf bound_ctrl:1
	v_cvt_f32_i32_dpp v5, v5 row_shr:1 row_mask:0xf bank_mask:0xf bound_ctrl:1
	v_cvt_i32_f32_e32 v2, v0
	v_add_f32_e32 v1, v1, v4
	v_cvt_i32_f32_e32 v4, v41
	v_add_f32_e32 v3, v3, v7
	v_add_f32_e32 v5, v6, v5
	v_cvt_i32_f32_e32 v6, v3
	v_cvt_f32_i32_dpp v4, v4 row_shr:8 row_mask:0xf bank_mask:0xf bound_ctrl:1
	v_cvt_i32_f32_e32 v7, v5
	v_cvt_i32_f32_e32 v8, v1
	v_cvt_f32_i32_dpp v6, v6 row_shr:1 row_mask:0xf bank_mask:0xf bound_ctrl:1
	v_add_f32_e32 v9, v41, v4
	v_cvt_i32_f32_e32 v10, v9
	v_cvt_f32_i32_dpp v7, v7 row_bcast:15 row_mask:0xf bank_mask:0xf bound_ctrl:1
	v_add_f32_e32 v6, v3, v6
	v_mov_b32_dpp v4, v8 row_bcast:31 row_mask:0xf bank_mask:0xf bound_ctrl:1
	v_cvt_f32_i32_dpp v8, v10 row_shr:4 row_mask:0xf bank_mask:0xf bound_ctrl:1
	v_cvt_i32_f32_e32 v11, v6
	v_add_f32_e32 v3, v5, v7
	v_cvt_i32_f32_e32 v7, v40
	v_add_f32_e32 v8, v9, v8
	v_cvt_f32_i32_dpp v5, v11 row_bcast:15 row_mask:0xf bank_mask:0xf bound_ctrl:1
	v_cvt_i32_f32_e32 v9, v8
	v_cvt_f32_i32_dpp v7, v7 row_shr:8 row_mask:0xf bank_mask:0xf bound_ctrl:1
	v_cvt_i32_f32_e32 v10, v3
	v_add_f32_e32 v5, v6, v5
	v_cvt_f32_i32_dpp v6, v9 row_shr:2 row_mask:0xf bank_mask:0xf bound_ctrl:1
	v_add_f32_e32 v11, v40, v7
	v_cvt_i32_f32_e32 v7, v11
	v_cvt_i32_f32_e32 v9, v5
	v_add_f32_e32 v8, v8, v6
	v_cvt_i32_f32_e32 v12, v8
	v_mov_b32_dpp v6, v10 row_bcast:31 row_mask:0xf bank_mask:0xf bound_ctrl:1
	v_cvt_f32_i32_dpp v10, v7 row_shr:4 row_mask:0xf bank_mask:0xf bound_ctrl:1
	v_mov_b32_dpp v7, v9 row_bcast:31 row_mask:0xf bank_mask:0xf bound_ctrl:1
	v_cvt_f32_i32_dpp v9, v12 row_shr:1 row_mask:0xf bank_mask:0xf bound_ctrl:1
	v_cvt_i32_f32_e32 v12, v39
	v_add_f32_e32 v10, v11, v10
	v_cvt_i32_f32_e32 v11, v25
	v_add_f32_e32 v8, v8, v9
	v_cvt_f32_i32_dpp v12, v12 row_shr:8 row_mask:0xf bank_mask:0xf bound_ctrl:1
	v_cvt_i32_f32_e32 v13, v10
	v_cvt_f32_i32_dpp v9, v11 row_shr:8 row_mask:0xf bank_mask:0xf bound_ctrl:1
	v_cvt_i32_f32_e32 v15, v8
	v_add_f32_e32 v12, v39, v12
	v_cvt_f32_i32_dpp v11, v13 row_shr:2 row_mask:0xf bank_mask:0xf bound_ctrl:1
	v_add_f32_e32 v9, v25, v9
	v_cvt_i32_f32_e32 v13, v12
	v_cvt_i32_f32_e32 v14, v9
	v_add_f32_e32 v10, v10, v11
	v_cvt_f32_i32_dpp v15, v15 row_bcast:15 row_mask:0xf bank_mask:0xf bound_ctrl:1
	v_cvt_f32_i32_dpp v13, v13 row_shr:4 row_mask:0xf bank_mask:0xf bound_ctrl:1
	v_cvt_f32_i32_dpp v11, v14 row_shr:4 row_mask:0xf bank_mask:0xf bound_ctrl:1
	v_cvt_i32_f32_e32 v14, v10
	v_add_f32_e32 v8, v8, v15
	v_add_f32_e32 v12, v12, v13
	;; [unrolled: 1-line block ×3, first 2 shown]
	v_cvt_i32_f32_e32 v13, v12
	v_cvt_i32_f32_e32 v11, v9
	v_cvt_f32_i32_dpp v14, v14 row_shr:1 row_mask:0xf bank_mask:0xf bound_ctrl:1
	v_cvt_i32_f32_e32 v16, v8
	v_cvt_f32_i32_dpp v13, v13 row_shr:2 row_mask:0xf bank_mask:0xf bound_ctrl:1
	v_cvt_f32_i32_dpp v11, v11 row_shr:2 row_mask:0xf bank_mask:0xf bound_ctrl:1
	v_add_f32_e32 v10, v10, v14
	v_cvt_i32_f32_e32 v14, v10
	v_add_f32_e32 v12, v12, v13
	v_add_f32_e32 v9, v9, v11
	v_cvt_i32_f32_e32 v13, v12
	v_cvt_i32_f32_e32 v11, v9
	v_cvt_f32_i32_dpp v14, v14 row_bcast:15 row_mask:0xf bank_mask:0xf bound_ctrl:1
	v_mov_b32_dpp v2, v2 row_bcast:31 row_mask:0xf bank_mask:0xf bound_ctrl:1
	v_cvt_f32_i32_dpp v13, v13 row_shr:1 row_mask:0xf bank_mask:0xf bound_ctrl:1
	v_cvt_f32_i32_dpp v11, v11 row_shr:1 row_mask:0xf bank_mask:0xf bound_ctrl:1
	v_add_f32_e32 v12, v12, v13
	v_add_f32_e32 v11, v9, v11
	v_cvt_i32_f32_e32 v13, v12
	v_cvt_i32_f32_e32 v15, v11
	v_add_f32_e32 v9, v10, v14
	v_cvt_i32_f32_e32 v17, v9
	v_cvt_f32_i32_dpp v13, v13 row_bcast:15 row_mask:0xf bank_mask:0xf bound_ctrl:1
	v_cvt_f32_i32_dpp v14, v15 row_bcast:15 row_mask:0xf bank_mask:0xf bound_ctrl:1
	v_mov_b32_dpp v15, v16 row_bcast:31 row_mask:0xf bank_mask:0xf bound_ctrl:1
	v_add_f32_e32 v10, v12, v13
	v_add_f32_e32 v11, v11, v14
	v_cvt_i32_f32_e32 v12, v10
	v_cvt_i32_f32_e32 v18, v11
	v_mov_b32_dpp v14, v17 row_bcast:31 row_mask:0xf bank_mask:0xf bound_ctrl:1
	v_mov_b32_dpp v13, v12 row_bcast:31 row_mask:0xf bank_mask:0xf bound_ctrl:1
	;; [unrolled: 1-line block ×3, first 2 shown]
	s_and_saveexec_b64 s[20:21], s[0:1]
	s_cbranch_execz .LBB47_13
; %bb.20:                               ;   in Loop: Header=BB47_14 Depth=1
	s_and_b64 vcc, exec, s[18:19]
	s_cbranch_vccz .LBB47_22
; %bb.21:                               ;   in Loop: Header=BB47_14 Depth=1
	v_mul_hi_u32 v16, v24, v37
	v_mul_lo_u32 v16, v16, s12
	v_sub_u32_e32 v16, v24, v16
	v_subrev_u32_e32 v17, s12, v16
	v_cmp_le_u32_e32 vcc, s12, v16
	v_mov_b32_e32 v19, v27
	v_mov_b32_e32 v21, v27
	v_cndmask_b32_e32 v16, v16, v17, vcc
	v_subrev_u32_e32 v17, s12, v16
	v_cmp_le_u32_e32 vcc, s12, v16
	v_mov_b32_e32 v25, v27
	s_nop 0
	v_cndmask_b32_e32 v26, v16, v17, vcc
	v_or_b32_e32 v16, 1, v24
	v_mul_hi_u32 v17, v16, v37
	v_mul_lo_u32 v17, v17, s12
	v_sub_u32_e32 v16, v16, v17
	v_subrev_u32_e32 v17, s12, v16
	v_cmp_le_u32_e32 vcc, s12, v16
	v_lshl_add_u64 v[28:29], v[26:27], 1, s[8:9]
	v_add_u32_e32 v26, s13, v26
	v_cndmask_b32_e32 v16, v16, v17, vcc
	v_subrev_u32_e32 v17, s12, v16
	v_cmp_le_u32_e32 vcc, s12, v16
	v_lshl_add_u64 v[40:41], v[26:27], 1, s[8:9]
	s_nop 0
	v_cndmask_b32_e32 v16, v16, v17, vcc
	v_mov_b32_e32 v17, v27
	v_lshl_add_u64 v[30:31], v[16:17], 1, s[8:9]
	v_or_b32_e32 v17, 2, v24
	v_mul_hi_u32 v18, v17, v37
	v_mul_lo_u32 v18, v18, s12
	v_sub_u32_e32 v17, v17, v18
	v_subrev_u32_e32 v18, s12, v17
	v_cmp_le_u32_e32 vcc, s12, v17
	v_add_u32_e32 v26, s13, v16
	v_lshl_add_u64 v[42:43], v[26:27], 1, s[8:9]
	v_cndmask_b32_e32 v17, v17, v18, vcc
	v_subrev_u32_e32 v18, s12, v17
	v_cmp_le_u32_e32 vcc, s12, v17
	s_nop 1
	v_cndmask_b32_e32 v18, v17, v18, vcc
	v_or_b32_e32 v17, 3, v24
	v_lshl_add_u64 v[32:33], v[18:19], 1, s[8:9]
	v_mul_hi_u32 v19, v17, v37
	v_mul_lo_u32 v19, v19, s12
	v_sub_u32_e32 v17, v17, v19
	v_subrev_u32_e32 v19, s12, v17
	v_cmp_le_u32_e32 vcc, s12, v17
	v_add_u32_e32 v26, s13, v18
	v_lshl_add_u64 v[44:45], v[26:27], 1, s[8:9]
	v_cndmask_b32_e32 v17, v17, v19, vcc
	v_subrev_u32_e32 v19, s12, v17
	v_cmp_le_u32_e32 vcc, s12, v17
	s_nop 1
	v_cndmask_b32_e32 v20, v17, v19, vcc
	v_add_u32_e32 v26, s13, v20
	v_lshl_add_u64 v[34:35], v[20:21], 1, s[8:9]
	v_lshl_add_u64 v[46:47], v[26:27], 1, s[8:9]
	global_load_ushort v23, v[28:29], off
	global_load_ushort v22, v[30:31], off
	;; [unrolled: 1-line block ×8, first 2 shown]
	s_cbranch_execnz .LBB47_12
	s_branch .LBB47_23
.LBB47_22:                              ;   in Loop: Header=BB47_14 Depth=1
                                        ; implicit-def: $vgpr16
                                        ; implicit-def: $vgpr17
                                        ; implicit-def: $vgpr18
                                        ; implicit-def: $vgpr19
                                        ; implicit-def: $vgpr20
                                        ; implicit-def: $vgpr21
                                        ; implicit-def: $vgpr22
                                        ; implicit-def: $vgpr23
.LBB47_23:                              ;   in Loop: Header=BB47_14 Depth=1
	v_mov_b32_e32 v25, v27
	s_waitcnt vmcnt(7)
	v_mov_b32_e32 v23, 0
	s_waitcnt vmcnt(6)
	;; [unrolled: 2-line block ×8, first 2 shown]
	v_mov_b32_e32 v16, 0
	s_branch .LBB47_12
.LBB47_24:
	s_endpgm
	.section	.rodata,"a",@progbits
	.p2align	6, 0x0
	.amdhsa_kernel _Z16wvSplitK_hf_sml_I6__halfLi32ELi4ELi16ELi8ELi1ELi2EEviiiiiiPKT_S3_S3_PS1_ii
		.amdhsa_group_segment_fixed_size 65536
		.amdhsa_private_segment_fixed_size 0
		.amdhsa_kernarg_size 64
		.amdhsa_user_sgpr_count 2
		.amdhsa_user_sgpr_dispatch_ptr 0
		.amdhsa_user_sgpr_queue_ptr 0
		.amdhsa_user_sgpr_kernarg_segment_ptr 1
		.amdhsa_user_sgpr_dispatch_id 0
		.amdhsa_user_sgpr_kernarg_preload_length 0
		.amdhsa_user_sgpr_kernarg_preload_offset 0
		.amdhsa_user_sgpr_private_segment_size 0
		.amdhsa_uses_dynamic_stack 0
		.amdhsa_enable_private_segment 0
		.amdhsa_system_sgpr_workgroup_id_x 1
		.amdhsa_system_sgpr_workgroup_id_y 0
		.amdhsa_system_sgpr_workgroup_id_z 0
		.amdhsa_system_sgpr_workgroup_info 0
		.amdhsa_system_vgpr_workitem_id 1
		.amdhsa_next_free_vgpr 48
		.amdhsa_next_free_sgpr 27
		.amdhsa_accum_offset 48
		.amdhsa_reserve_vcc 1
		.amdhsa_float_round_mode_32 0
		.amdhsa_float_round_mode_16_64 0
		.amdhsa_float_denorm_mode_32 3
		.amdhsa_float_denorm_mode_16_64 3
		.amdhsa_dx10_clamp 1
		.amdhsa_ieee_mode 1
		.amdhsa_fp16_overflow 0
		.amdhsa_tg_split 0
		.amdhsa_exception_fp_ieee_invalid_op 0
		.amdhsa_exception_fp_denorm_src 0
		.amdhsa_exception_fp_ieee_div_zero 0
		.amdhsa_exception_fp_ieee_overflow 0
		.amdhsa_exception_fp_ieee_underflow 0
		.amdhsa_exception_fp_ieee_inexact 0
		.amdhsa_exception_int_div_zero 0
	.end_amdhsa_kernel
	.section	.text._Z16wvSplitK_hf_sml_I6__halfLi32ELi4ELi16ELi8ELi1ELi2EEviiiiiiPKT_S3_S3_PS1_ii,"axG",@progbits,_Z16wvSplitK_hf_sml_I6__halfLi32ELi4ELi16ELi8ELi1ELi2EEviiiiiiPKT_S3_S3_PS1_ii,comdat
.Lfunc_end47:
	.size	_Z16wvSplitK_hf_sml_I6__halfLi32ELi4ELi16ELi8ELi1ELi2EEviiiiiiPKT_S3_S3_PS1_ii, .Lfunc_end47-_Z16wvSplitK_hf_sml_I6__halfLi32ELi4ELi16ELi8ELi1ELi2EEviiiiiiPKT_S3_S3_PS1_ii
                                        ; -- End function
	.section	.AMDGPU.csdata,"",@progbits
; Kernel info:
; codeLenInByte = 2916
; NumSgprs: 33
; NumVgprs: 48
; NumAgprs: 0
; TotalNumVgprs: 48
; ScratchSize: 0
; MemoryBound: 0
; FloatMode: 240
; IeeeMode: 1
; LDSByteSize: 65536 bytes/workgroup (compile time only)
; SGPRBlocks: 4
; VGPRBlocks: 5
; NumSGPRsForWavesPerEU: 33
; NumVGPRsForWavesPerEU: 48
; AccumOffset: 48
; Occupancy: 2
; WaveLimiterHint : 0
; COMPUTE_PGM_RSRC2:SCRATCH_EN: 0
; COMPUTE_PGM_RSRC2:USER_SGPR: 2
; COMPUTE_PGM_RSRC2:TRAP_HANDLER: 0
; COMPUTE_PGM_RSRC2:TGID_X_EN: 1
; COMPUTE_PGM_RSRC2:TGID_Y_EN: 0
; COMPUTE_PGM_RSRC2:TGID_Z_EN: 0
; COMPUTE_PGM_RSRC2:TIDIG_COMP_CNT: 1
; COMPUTE_PGM_RSRC3_GFX90A:ACCUM_OFFSET: 11
; COMPUTE_PGM_RSRC3_GFX90A:TG_SPLIT: 0
	.section	.text._Z12wvSplitK_hf_I6__halfLi32ELi4ELi16ELi8ELi1ELi2EEviiiiiiPKT_S3_S3_PS1_ii,"axG",@progbits,_Z12wvSplitK_hf_I6__halfLi32ELi4ELi16ELi8ELi1ELi2EEviiiiiiPKT_S3_S3_PS1_ii,comdat
	.protected	_Z12wvSplitK_hf_I6__halfLi32ELi4ELi16ELi8ELi1ELi2EEviiiiiiPKT_S3_S3_PS1_ii ; -- Begin function _Z12wvSplitK_hf_I6__halfLi32ELi4ELi16ELi8ELi1ELi2EEviiiiiiPKT_S3_S3_PS1_ii
	.globl	_Z12wvSplitK_hf_I6__halfLi32ELi4ELi16ELi8ELi1ELi2EEviiiiiiPKT_S3_S3_PS1_ii
	.p2align	8
	.type	_Z12wvSplitK_hf_I6__halfLi32ELi4ELi16ELi8ELi1ELi2EEviiiiiiPKT_S3_S3_PS1_ii,@function
_Z12wvSplitK_hf_I6__halfLi32ELi4ELi16ELi8ELi1ELi2EEviiiiiiPKT_S3_S3_PS1_ii: ; @_Z12wvSplitK_hf_I6__halfLi32ELi4ELi16ELi8ELi1ELi2EEviiiiiiPKT_S3_S3_PS1_ii
; %bb.0:
	s_load_dwordx2 s[8:9], s[0:1], 0x38
	s_load_dwordx2 s[20:21], s[0:1], 0x20
	s_load_dwordx4 s[12:15], s[0:1], 0x0
	s_load_dwordx2 s[22:23], s[0:1], 0x10
	v_bfe_u32 v8, v0, 10, 10
	s_waitcnt lgkmcnt(0)
	s_mul_i32 s2, s2, s8
	v_add_lshl_u32 v30, s2, v8, 2
	s_mov_b32 s4, 1
	v_add_u32_e32 v1, 4, v30
	s_mov_b32 s5, s4
	v_cmp_gt_u32_e32 vcc, s15, v30
	v_cmp_le_u32_e64 s[2:3], s15, v1
	s_mov_b32 s6, s4
	s_mov_b32 s7, s4
	v_mov_b64_e32 v[2:3], s[4:5]
	s_and_b64 s[10:11], vcc, s[2:3]
	v_mov_b64_e32 v[4:5], s[6:7]
	s_and_saveexec_b64 s[2:3], s[10:11]
	s_cbranch_execz .LBB48_6
; %bb.1:
	s_add_i32 s24, s15, -4
	v_mov_b64_e32 v[2:3], s[4:5]
	v_cmp_ne_u32_e32 vcc, s24, v30
	v_mov_b64_e32 v[4:5], s[6:7]
	s_and_saveexec_b64 s[10:11], vcc
	s_cbranch_execz .LBB48_5
; %bb.2:
	v_subrev_u32_e32 v1, s24, v30
	v_cmp_lt_u32_e32 vcc, 1, v1
	s_mov_b64 s[16:17], 0
	s_mov_b64 s[18:19], 0
	v_cndmask_b32_e32 v6, 1, v1, vcc
	s_mov_b32 s5, s4
	s_mov_b32 s6, s4
	;; [unrolled: 1-line block ×3, first 2 shown]
.LBB48_3:                               ; =>This Inner Loop Header: Depth=1
	s_cmp_lg_u32 s18, 3
	s_cselect_b32 s7, s7, 0
	s_cmp_lg_u32 s18, 2
	s_cselect_b32 s6, s6, 0
	;; [unrolled: 2-line block ×4, first 2 shown]
	s_add_u32 s18, s18, 1
	s_addc_u32 s19, s19, 0
	v_cmp_eq_u32_e32 vcc, s18, v6
	v_mov_b64_e32 v[2:3], s[4:5]
	s_or_b64 s[16:17], vcc, s[16:17]
	v_mov_b64_e32 v[4:5], s[6:7]
	s_andn2_b64 exec, exec, s[16:17]
	s_cbranch_execnz .LBB48_3
; %bb.4:
	s_or_b64 exec, exec, s[16:17]
	v_mov_b32_e32 v30, s24
.LBB48_5:
	s_or_b64 exec, exec, s[10:11]
.LBB48_6:
	s_or_b64 exec, exec, s[2:3]
	v_and_b32_e32 v9, 0x3ff, v0
	v_lshlrev_b32_e32 v48, 3, v9
	s_lshl_b32 s33, s14, 1
	v_lshl_add_u32 v10, v8, 8, v48
	s_min_u32 s4, s33, 0x8000
	v_cmp_gt_u32_e32 vcc, s4, v10
	s_and_saveexec_b64 s[2:3], vcc
	s_cbranch_execz .LBB48_15
; %bb.7:
	v_lshlrev_b32_e32 v0, 1, v10
	global_load_dwordx4 v[12:15], v0, s[20:21]
	v_add_u32_e32 v1, 0x1000, v10
	v_cmp_gt_u32_e32 vcc, s4, v1
	s_waitcnt vmcnt(0)
	ds_write_b128 v0, v[12:15]
	s_and_saveexec_b64 s[6:7], vcc
	s_xor_b64 s[6:7], exec, s[6:7]
	s_cbranch_execz .LBB48_15
; %bb.8:
	v_mov_b32_e32 v1, 0
	v_lshl_add_u64 v[6:7], s[20:21], 0, v[0:1]
	v_add_co_u32_e32 v12, vcc, 0x2000, v6
	v_add_u32_e32 v1, 0x2000, v10
	s_nop 0
	v_addc_co_u32_e32 v13, vcc, 0, v7, vcc
	global_load_dwordx4 v[12:15], v[12:13], off
	v_cmp_gt_u32_e32 vcc, s4, v1
	s_waitcnt vmcnt(0)
	ds_write_b128 v0, v[12:15] offset:8192
	s_and_saveexec_b64 s[6:7], vcc
	s_xor_b64 s[6:7], exec, s[6:7]
	s_cbranch_execz .LBB48_15
; %bb.9:
	v_add_co_u32_e32 v12, vcc, 0x4000, v6
	v_add_u32_e32 v1, 0x3000, v10
	s_nop 0
	v_addc_co_u32_e32 v13, vcc, 0, v7, vcc
	global_load_dwordx4 v[12:15], v[12:13], off
	v_cmp_gt_u32_e32 vcc, s4, v1
	s_waitcnt vmcnt(0)
	ds_write_b128 v0, v[12:15] offset:16384
	s_and_saveexec_b64 s[6:7], vcc
	s_xor_b64 s[6:7], exec, s[6:7]
	s_cbranch_execz .LBB48_15
; %bb.10:
	;; [unrolled: 12-line block ×6, first 2 shown]
	v_add_co_u32_e32 v6, vcc, 0xe000, v6
	s_nop 1
	v_addc_co_u32_e32 v7, vcc, 0, v7, vcc
	global_load_dwordx4 v[10:13], v[6:7], off
	s_waitcnt vmcnt(0)
	ds_write_b128 v0, v[10:13] offset:57344
.LBB48_15:
	s_or_b64 exec, exec, s[2:3]
	v_cmp_gt_u32_e32 vcc, s8, v8
	v_cmp_gt_u32_e64 s[2:3], s15, v30
	s_and_b64 s[2:3], vcc, s[2:3]
	s_waitcnt lgkmcnt(0)
	s_barrier
	s_and_saveexec_b64 s[4:5], s[2:3]
	s_cbranch_execz .LBB48_56
; %bb.16:
	v_cvt_f32_u32_e32 v0, s22
	s_load_dwordx4 s[16:19], s[0:1], 0x28
	s_load_dwordx2 s[24:25], s[0:1], 0x18
	s_cmp_lg_u32 s12, 0
	s_cselect_b64 s[2:3], -1, 0
	v_rcp_iflag_f32_e32 v0, v0
	s_add_i32 s36, s12, -8
	s_add_i32 s37, s15, -1
	s_mul_i32 s6, s8, s9
	v_mul_f32_e32 v0, 0x4f7ffffe, v0
	v_cvt_u32_f32_e32 v0, v0
	s_waitcnt lgkmcnt(0)
	s_cmp_lg_u64 s[16:17], 0
	s_cselect_b64 s[4:5], -1, 0
	s_lshl_b32 s38, s6, 2
	s_sub_i32 s6, 0, s22
	v_mul_lo_u32 v1, s6, v0
	s_abs_i32 s6, s23
	s_add_i32 s39, s15, -4
	s_sub_i32 s7, 1, s6
	s_cmp_lt_u32 s6, 2
	s_cselect_b32 s7, s7, 1
	v_mul_hi_u32 v1, v0, v1
	s_sub_i32 s8, s7, s6
	v_add_u32_e32 v49, v0, v1
	s_cmp_ge_u32 s7, s6
	v_cndmask_b32_e64 v0, 0, 1, s[2:3]
	s_cselect_b32 s23, s8, s7
	v_cmp_ne_u32_e64 s[2:3], 1, v0
	v_cndmask_b32_e64 v0, 0, 1, s[4:5]
	v_cmp_eq_u32_e64 s[0:1], 31, v9
	s_mov_b64 s[26:27], 0
	v_mov_b32_e32 v1, 0
	s_mul_i32 s23, s23, s22
	v_lshlrev_b32_e32 v50, 4, v9
	v_add_u32_e32 v51, s14, v48
	s_movk_i32 s14, 0x7fff
	s_mov_b32 s28, 0
	v_cmp_ne_u32_e64 s[4:5], 1, v0
	s_branch .LBB48_19
.LBB48_17:                              ;   in Loop: Header=BB48_19 Depth=1
	s_or_b64 exec, exec, s[10:11]
	v_mov_b32_e32 v30, s39
.LBB48_18:                              ;   in Loop: Header=BB48_19 Depth=1
	s_or_b64 exec, exec, s[8:9]
	v_cmp_le_u32_e32 vcc, s15, v30
	s_or_b64 s[26:27], vcc, s[26:27]
	s_andn2_b64 exec, exec, s[26:27]
	s_cbranch_execz .LBB48_56
.LBB48_19:                              ; =>This Loop Header: Depth=1
                                        ;     Child Loop BB48_23 Depth 2
                                        ;     Child Loop BB48_47 Depth 2
	s_and_b64 vcc, exec, s[2:3]
	v_add_u32_e32 v36, 1, v30
	v_add_u32_e32 v34, 2, v30
	;; [unrolled: 1-line block ×3, first 2 shown]
	v_mov_b32_e32 v55, v1
	v_mov_b32_e32 v54, v1
	;; [unrolled: 1-line block ×8, first 2 shown]
	s_cbranch_vccnz .LBB48_32
; %bb.20:                               ;   in Loop: Header=BB48_19 Depth=1
	v_min_u32_e32 v0, s37, v30
	v_mul_lo_u32 v38, v0, s13
	v_min_u32_e32 v0, s37, v36
	v_mul_lo_u32 v40, v0, s13
	;; [unrolled: 2-line block ×3, first 2 shown]
	v_min_u32_e32 v0, s37, v32
	v_mov_b32_e32 v39, v1
	v_mov_b32_e32 v41, v1
	;; [unrolled: 1-line block ×3, first 2 shown]
	v_mul_lo_u32 v44, v0, s13
	v_mov_b32_e32 v45, v1
	v_mov_b32_e32 v37, 0
	;; [unrolled: 1-line block ×10, first 2 shown]
	s_mov_b32 s10, s28
	s_branch .LBB48_23
.LBB48_21:                              ;   in Loop: Header=BB48_23 Depth=2
	s_or_b64 exec, exec, s[8:9]
.LBB48_22:                              ;   in Loop: Header=BB48_23 Depth=2
	s_or_b64 exec, exec, s[6:7]
	s_waitcnt vmcnt(0) lgkmcnt(0)
	;;#ASMSTART
	v_dot2c_f32_f16 v55, v22, v18
	;;#ASMEND
	;;#ASMSTART
	v_dot2c_f32_f16 v54, v22, v14
	;;#ASMEND
	;; [unrolled: 3-line block ×8, first 2 shown]
	s_nop 0
	;;#ASMSTART
	v_dot2c_f32_f16 v55, v23, v19
	;;#ASMEND
	;;#ASMSTART
	v_dot2c_f32_f16 v54, v23, v15
	;;#ASMEND
	;; [unrolled: 3-line block ×8, first 2 shown]
	s_addk_i32 s10, 0x100
	;;#ASMSTART
	v_dot2c_f32_f16 v55, v24, v20
	;;#ASMEND
	;;#ASMSTART
	v_dot2c_f32_f16 v54, v24, v16
	;;#ASMEND
	;; [unrolled: 3-line block ×8, first 2 shown]
	s_cmp_ge_u32 s10, s12
	v_add_u32_e32 v56, 0x200, v56
	;;#ASMSTART
	v_dot2c_f32_f16 v55, v25, v21
	;;#ASMEND
	;;#ASMSTART
	v_dot2c_f32_f16 v54, v25, v17
	;;#ASMEND
	;; [unrolled: 3-line block ×8, first 2 shown]
	s_cbranch_scc1 .LBB48_32
.LBB48_23:                              ;   Parent Loop BB48_19 Depth=1
                                        ; =>  This Inner Loop Header: Depth=2
	v_add_u32_e32 v46, s10, v48
	v_min_u32_e32 v0, s36, v46
	v_lshl_add_u64 v[6:7], v[0:1], 1, s[24:25]
	v_lshl_add_u64 v[8:9], v[38:39], 1, v[6:7]
	;; [unrolled: 1-line block ×3, first 2 shown]
	s_waitcnt vmcnt(0)
	v_lshl_add_u64 v[22:23], v[42:43], 1, v[6:7]
	global_load_dwordx4 v[18:21], v[8:9], off nt
	global_load_dwordx4 v[14:17], v[10:11], off nt
	v_lshl_add_u64 v[24:25], v[44:45], 1, v[6:7]
	global_load_dwordx4 v[10:13], v[22:23], off nt
	global_load_dwordx4 v[6:9], v[24:25], off nt
	s_mov_b32 s29, s28
	v_cmp_gt_u32_e32 vcc, s12, v46
	v_mov_b64_e32 v[24:25], s[28:29]
	v_mov_b32_e32 v29, 0
	v_mov_b32_e32 v28, 0
	;; [unrolled: 1-line block ×4, first 2 shown]
	v_mov_b64_e32 v[22:23], s[28:29]
	s_and_saveexec_b64 s[6:7], vcc
	s_cbranch_execz .LBB48_22
; %bb.24:                               ;   in Loop: Header=BB48_23 Depth=2
	v_cmp_lt_u32_e32 vcc, s14, v46
                                        ; implicit-def: $vgpr24_vgpr25
	s_and_saveexec_b64 s[8:9], vcc
	s_xor_b64 s[8:9], exec, s[8:9]
	s_cbranch_execz .LBB48_26
; %bb.25:                               ;   in Loop: Header=BB48_23 Depth=2
	v_mov_b32_e32 v47, v1
	v_lshl_add_u64 v[22:23], v[46:47], 1, s[20:21]
	global_load_dwordx4 v[22:25], v[22:23], off
.LBB48_26:                              ;   in Loop: Header=BB48_23 Depth=2
	s_andn2_saveexec_b64 s[8:9], s[8:9]
	s_cbranch_execz .LBB48_28
; %bb.27:                               ;   in Loop: Header=BB48_23 Depth=2
	s_waitcnt vmcnt(0)
	ds_read_b128 v[22:25], v56
.LBB48_28:                              ;   in Loop: Header=BB48_23 Depth=2
	s_or_b64 exec, exec, s[8:9]
	v_add_u32_e32 v0, s10, v51
	v_cmp_lt_u32_e32 vcc, s14, v0
                                        ; implicit-def: $vgpr29
	s_and_saveexec_b64 s[8:9], vcc
	s_xor_b64 s[8:9], exec, s[8:9]
	s_cbranch_execz .LBB48_30
; %bb.29:                               ;   in Loop: Header=BB48_23 Depth=2
	v_lshl_add_u64 v[26:27], v[0:1], 1, s[20:21]
	global_load_dwordx4 v[26:29], v[26:27], off
.LBB48_30:                              ;   in Loop: Header=BB48_23 Depth=2
	s_andn2_saveexec_b64 s[8:9], s[8:9]
	s_cbranch_execz .LBB48_21
; %bb.31:                               ;   in Loop: Header=BB48_23 Depth=2
	v_add_u32_e32 v0, s33, v56
	s_waitcnt vmcnt(0)
	ds_read_b128 v[26:29], v0
	s_branch .LBB48_21
.LBB48_32:                              ;   in Loop: Header=BB48_19 Depth=1
	v_cvt_i32_f32_e32 v0, v55
	v_cvt_i32_f32_e32 v6, v54
	;; [unrolled: 1-line block ×4, first 2 shown]
	v_cvt_f32_i32_dpp v0, v0 row_shr:8 row_mask:0xf bank_mask:0xf bound_ctrl:1
	v_cvt_f32_i32_dpp v6, v6 row_shr:8 row_mask:0xf bank_mask:0xf bound_ctrl:1
	;; [unrolled: 1-line block ×4, first 2 shown]
	v_add_f32_e32 v0, v55, v0
	v_cvt_i32_f32_e32 v9, v0
	v_add_f32_e32 v6, v54, v6
	v_cvt_i32_f32_e32 v10, v6
	v_add_f32_e32 v7, v53, v7
	v_cvt_f32_i32_dpp v9, v9 row_shr:4 row_mask:0xf bank_mask:0xf bound_ctrl:1
	v_cvt_i32_f32_e32 v11, v7
	v_cvt_f32_i32_dpp v10, v10 row_shr:4 row_mask:0xf bank_mask:0xf bound_ctrl:1
	v_add_f32_e32 v8, v52, v8
	v_add_f32_e32 v0, v0, v9
	v_cvt_i32_f32_e32 v9, v0
	v_add_f32_e32 v6, v6, v10
	v_cvt_i32_f32_e32 v10, v6
	v_cvt_f32_i32_dpp v11, v11 row_shr:4 row_mask:0xf bank_mask:0xf bound_ctrl:1
	v_cvt_f32_i32_dpp v9, v9 row_shr:2 row_mask:0xf bank_mask:0xf bound_ctrl:1
	v_cvt_i32_f32_e32 v12, v8
	v_cvt_f32_i32_dpp v10, v10 row_shr:2 row_mask:0xf bank_mask:0xf bound_ctrl:1
	v_add_f32_e32 v7, v7, v11
	v_add_f32_e32 v0, v0, v9
	v_cvt_i32_f32_e32 v9, v0
	v_cvt_i32_f32_e32 v11, v7
	v_add_f32_e32 v6, v6, v10
	v_cvt_i32_f32_e32 v10, v6
	v_cvt_f32_i32_dpp v9, v9 row_shr:1 row_mask:0xf bank_mask:0xf bound_ctrl:1
	v_cvt_f32_i32_dpp v12, v12 row_shr:4 row_mask:0xf bank_mask:0xf bound_ctrl:1
	;; [unrolled: 1-line block ×4, first 2 shown]
	v_add_f32_e32 v0, v0, v9
	v_cvt_i32_f32_e32 v9, v0
	v_add_f32_e32 v8, v8, v12
	v_add_f32_e32 v7, v7, v11
	v_cvt_i32_f32_e32 v12, v8
	v_cvt_f32_i32_dpp v9, v9 row_bcast:15 row_mask:0xf bank_mask:0xf bound_ctrl:1
	v_add_f32_e32 v6, v6, v10
	v_cvt_i32_f32_e32 v11, v7
	v_cvt_i32_f32_e32 v10, v6
	v_add_f32_e32 v9, v0, v9
	v_cvt_i32_f32_e32 v0, v9
	v_cvt_f32_i32_dpp v11, v11 row_shr:1 row_mask:0xf bank_mask:0xf bound_ctrl:1
	v_cvt_f32_i32_dpp v13, v12 row_shr:2 row_mask:0xf bank_mask:0xf bound_ctrl:1
	v_cvt_f32_i32_dpp v10, v10 row_bcast:15 row_mask:0xf bank_mask:0xf bound_ctrl:1
	v_mov_b32_dpp v12, v0 row_bcast:31 row_mask:0xf bank_mask:0xf bound_ctrl:1
	v_add_f32_e32 v0, v7, v11
	v_cvt_i32_f32_e32 v7, v37
	v_add_f32_e32 v8, v8, v13
	v_add_f32_e32 v6, v6, v10
	v_cvt_i32_f32_e32 v10, v8
	v_cvt_f32_i32_dpp v7, v7 row_shr:8 row_mask:0xf bank_mask:0xf bound_ctrl:1
	v_cvt_i32_f32_e32 v11, v0
	v_cvt_i32_f32_e32 v13, v6
	v_cvt_f32_i32_dpp v10, v10 row_shr:1 row_mask:0xf bank_mask:0xf bound_ctrl:1
	v_add_f32_e32 v15, v37, v7
	v_cvt_i32_f32_e32 v7, v15
	v_cvt_f32_i32_dpp v11, v11 row_bcast:15 row_mask:0xf bank_mask:0xf bound_ctrl:1
	v_add_f32_e32 v8, v8, v10
	v_cvt_i32_f32_e32 v10, v8
	v_mov_b32_dpp v14, v13 row_bcast:31 row_mask:0xf bank_mask:0xf bound_ctrl:1
	v_cvt_f32_i32_dpp v13, v7 row_shr:4 row_mask:0xf bank_mask:0xf bound_ctrl:1
	v_add_f32_e32 v7, v0, v11
	v_cvt_f32_i32_dpp v0, v10 row_bcast:15 row_mask:0xf bank_mask:0xf bound_ctrl:1
	v_cvt_i32_f32_e32 v10, v35
	v_add_f32_e32 v11, v15, v13
	v_cvt_i32_f32_e32 v13, v11
	v_add_f32_e32 v8, v8, v0
	v_cvt_f32_i32_dpp v10, v10 row_shr:8 row_mask:0xf bank_mask:0xf bound_ctrl:1
	v_cvt_i32_f32_e32 v15, v7
	v_cvt_f32_i32_dpp v0, v13 row_shr:2 row_mask:0xf bank_mask:0xf bound_ctrl:1
	v_cvt_i32_f32_e32 v13, v8
	v_add_f32_e32 v10, v35, v10
	v_cvt_i32_f32_e32 v17, v10
	v_add_f32_e32 v0, v11, v0
	v_cvt_i32_f32_e32 v18, v0
	v_mov_b32_dpp v16, v15 row_bcast:31 row_mask:0xf bank_mask:0xf bound_ctrl:1
	v_cvt_f32_i32_dpp v15, v17 row_shr:4 row_mask:0xf bank_mask:0xf bound_ctrl:1
	v_mov_b32_dpp v11, v13 row_bcast:31 row_mask:0xf bank_mask:0xf bound_ctrl:1
	v_cvt_f32_i32_dpp v13, v18 row_shr:1 row_mask:0xf bank_mask:0xf bound_ctrl:1
	v_cvt_i32_f32_e32 v17, v33
	v_add_f32_e32 v10, v10, v15
	v_cvt_i32_f32_e32 v15, v31
	v_add_f32_e32 v0, v0, v13
	v_cvt_f32_i32_dpp v17, v17 row_shr:8 row_mask:0xf bank_mask:0xf bound_ctrl:1
	v_cvt_i32_f32_e32 v18, v10
	v_cvt_f32_i32_dpp v13, v15 row_shr:8 row_mask:0xf bank_mask:0xf bound_ctrl:1
	v_cvt_i32_f32_e32 v20, v0
	v_add_f32_e32 v17, v33, v17
	v_cvt_f32_i32_dpp v15, v18 row_shr:2 row_mask:0xf bank_mask:0xf bound_ctrl:1
	v_add_f32_e32 v13, v31, v13
	v_cvt_i32_f32_e32 v18, v17
	v_cvt_i32_f32_e32 v19, v13
	v_add_f32_e32 v10, v10, v15
	v_cvt_f32_i32_dpp v20, v20 row_bcast:15 row_mask:0xf bank_mask:0xf bound_ctrl:1
	v_cvt_f32_i32_dpp v18, v18 row_shr:4 row_mask:0xf bank_mask:0xf bound_ctrl:1
	v_cvt_f32_i32_dpp v15, v19 row_shr:4 row_mask:0xf bank_mask:0xf bound_ctrl:1
	v_cvt_i32_f32_e32 v19, v10
	v_add_f32_e32 v17, v17, v18
	v_add_f32_e32 v13, v13, v15
	v_cvt_i32_f32_e32 v18, v17
	v_cvt_i32_f32_e32 v15, v13
	v_cvt_f32_i32_dpp v19, v19 row_shr:1 row_mask:0xf bank_mask:0xf bound_ctrl:1
	v_cvt_f32_i32_dpp v18, v18 row_shr:2 row_mask:0xf bank_mask:0xf bound_ctrl:1
	;; [unrolled: 1-line block ×3, first 2 shown]
	v_add_f32_e32 v10, v10, v19
	v_add_f32_e32 v19, v0, v20
	;; [unrolled: 1-line block ×4, first 2 shown]
	v_cvt_i32_f32_e32 v18, v17
	v_cvt_i32_f32_e32 v15, v13
	;; [unrolled: 1-line block ×4, first 2 shown]
	v_cvt_f32_i32_dpp v18, v18 row_shr:1 row_mask:0xf bank_mask:0xf bound_ctrl:1
	v_cvt_f32_i32_dpp v0, v15 row_shr:1 row_mask:0xf bank_mask:0xf bound_ctrl:1
	v_cvt_f32_i32_dpp v15, v21 row_bcast:15 row_mask:0xf bank_mask:0xf bound_ctrl:1
	v_add_f32_e32 v17, v17, v18
	v_add_f32_e32 v0, v13, v0
	v_cvt_i32_f32_e32 v18, v17
	v_cvt_i32_f32_e32 v13, v0
	s_nop 0
	v_cvt_f32_i32_dpp v21, v18 row_bcast:15 row_mask:0xf bank_mask:0xf bound_ctrl:1
	v_add_f32_e32 v18, v10, v15
	v_cvt_f32_i32_dpp v10, v13 row_bcast:15 row_mask:0xf bank_mask:0xf bound_ctrl:1
	v_cvt_i32_f32_e32 v13, v18
	v_add_f32_e32 v15, v17, v21
	v_cvt_i32_f32_e32 v17, v15
	v_add_f32_e32 v10, v0, v10
	v_cvt_i32_f32_e32 v0, v10
	v_mov_b32_dpp v21, v20 row_bcast:31 row_mask:0xf bank_mask:0xf bound_ctrl:1
	v_mov_b32_dpp v20, v13 row_bcast:31 row_mask:0xf bank_mask:0xf bound_ctrl:1
	;; [unrolled: 1-line block ×4, first 2 shown]
	s_and_saveexec_b64 s[30:31], s[0:1]
	s_cbranch_execz .LBB48_44
; %bb.33:                               ;   in Loop: Header=BB48_19 Depth=1
	s_and_b64 vcc, exec, s[4:5]
	v_mov_b32_e32 v28, 0
	v_mov_b32_e32 v27, 0
	;; [unrolled: 1-line block ×4, first 2 shown]
	s_waitcnt vmcnt(3)
	v_mov_b32_e32 v25, 0
	s_waitcnt vmcnt(2)
	v_mov_b32_e32 v24, 0
	s_waitcnt vmcnt(1)
	v_mov_b32_e32 v23, 0
	s_waitcnt vmcnt(0)
	v_mov_b32_e32 v22, 0
	s_cbranch_vccnz .LBB48_35
; %bb.34:                               ;   in Loop: Header=BB48_19 Depth=1
	v_mul_hi_u32 v0, v30, v49
	v_mul_lo_u32 v0, v0, s22
	v_sub_u32_e32 v0, v30, v0
	v_subrev_u32_e32 v22, s22, v0
	v_cmp_le_u32_e32 vcc, s22, v0
	v_mov_b32_e32 v25, v1
	v_mov_b32_e32 v27, v1
	v_cndmask_b32_e32 v0, v0, v22, vcc
	v_subrev_u32_e32 v22, s22, v0
	v_cmp_le_u32_e32 vcc, s22, v0
	s_nop 1
	v_cndmask_b32_e32 v0, v0, v22, vcc
	v_mul_hi_u32 v22, v36, v49
	v_mul_lo_u32 v22, v22, s22
	v_sub_u32_e32 v22, v36, v22
	v_subrev_u32_e32 v23, s22, v22
	v_cmp_le_u32_e32 vcc, s22, v22
	v_lshl_add_u64 v[38:39], v[0:1], 1, s[16:17]
	v_add_u32_e32 v0, s23, v0
	v_cndmask_b32_e32 v22, v22, v23, vcc
	v_subrev_u32_e32 v23, s22, v22
	v_cmp_le_u32_e32 vcc, s22, v22
	v_lshl_add_u64 v[46:47], v[0:1], 1, s[16:17]
	s_nop 0
	v_cndmask_b32_e32 v22, v22, v23, vcc
	v_mov_b32_e32 v23, v1
	v_lshl_add_u64 v[40:41], v[22:23], 1, s[16:17]
	v_mul_hi_u32 v23, v34, v49
	v_mul_lo_u32 v23, v23, s22
	v_sub_u32_e32 v23, v34, v23
	v_subrev_u32_e32 v24, s22, v23
	v_cmp_le_u32_e32 vcc, s22, v23
	v_add_u32_e32 v0, s23, v22
	v_lshl_add_u64 v[52:53], v[0:1], 1, s[16:17]
	v_cndmask_b32_e32 v23, v23, v24, vcc
	v_subrev_u32_e32 v24, s22, v23
	v_cmp_le_u32_e32 vcc, s22, v23
	s_nop 1
	v_cndmask_b32_e32 v24, v23, v24, vcc
	v_mul_hi_u32 v23, v32, v49
	v_mul_lo_u32 v23, v23, s22
	v_sub_u32_e32 v23, v32, v23
	v_lshl_add_u64 v[42:43], v[24:25], 1, s[16:17]
	v_subrev_u32_e32 v25, s22, v23
	v_cmp_le_u32_e32 vcc, s22, v23
	v_add_u32_e32 v0, s23, v24
	v_lshl_add_u64 v[54:55], v[0:1], 1, s[16:17]
	v_cndmask_b32_e32 v23, v23, v25, vcc
	v_subrev_u32_e32 v25, s22, v23
	v_cmp_le_u32_e32 vcc, s22, v23
	s_nop 1
	v_cndmask_b32_e32 v26, v23, v25, vcc
	v_add_u32_e32 v0, s23, v26
	v_lshl_add_u64 v[44:45], v[26:27], 1, s[16:17]
	v_lshl_add_u64 v[56:57], v[0:1], 1, s[16:17]
	global_load_ushort v28, v[38:39], off
	global_load_ushort v27, v[40:41], off
	;; [unrolled: 1-line block ×8, first 2 shown]
.LBB48_35:                              ;   in Loop: Header=BB48_19 Depth=1
	v_cmp_ne_u32_e32 vcc, 0, v2
	s_and_saveexec_b64 s[6:7], vcc
	s_cbranch_execnz .LBB48_49
; %bb.36:                               ;   in Loop: Header=BB48_19 Depth=1
	s_or_b64 exec, exec, s[6:7]
	v_cmp_ne_u32_e64 s[6:7], 0, v3
	s_and_saveexec_b64 s[8:9], s[6:7]
	s_cbranch_execnz .LBB48_50
.LBB48_37:                              ;   in Loop: Header=BB48_19 Depth=1
	s_or_b64 exec, exec, s[8:9]
	v_cmp_ne_u32_e64 s[8:9], 0, v4
	s_and_saveexec_b64 s[10:11], s[8:9]
	s_cbranch_execnz .LBB48_51
.LBB48_38:                              ;   in Loop: Header=BB48_19 Depth=1
	s_or_b64 exec, exec, s[10:11]
	v_cmp_ne_u32_e64 s[10:11], 0, v5
	s_and_saveexec_b64 s[34:35], s[10:11]
	s_cbranch_execnz .LBB48_52
.LBB48_39:                              ;   in Loop: Header=BB48_19 Depth=1
	s_or_b64 exec, exec, s[34:35]
	s_waitcnt vmcnt(4)
	v_add_u32_e32 v0, s15, v30
	s_and_saveexec_b64 s[34:35], vcc
	s_cbranch_execnz .LBB48_53
.LBB48_40:                              ;   in Loop: Header=BB48_19 Depth=1
	s_or_b64 exec, exec, s[34:35]
	s_and_saveexec_b64 s[34:35], s[6:7]
	s_cbranch_execnz .LBB48_54
.LBB48_41:                              ;   in Loop: Header=BB48_19 Depth=1
	s_or_b64 exec, exec, s[34:35]
	s_and_saveexec_b64 s[6:7], s[8:9]
	s_cbranch_execnz .LBB48_55
.LBB48_42:                              ;   in Loop: Header=BB48_19 Depth=1
	s_or_b64 exec, exec, s[6:7]
	s_and_b64 exec, exec, s[10:11]
	s_cbranch_execz .LBB48_44
.LBB48_43:                              ;   in Loop: Header=BB48_19 Depth=1
	v_cvt_f32_i32_e32 v6, v13
	s_waitcnt vmcnt(0)
	v_cvt_f32_f16_e32 v7, v22
	v_add_u32_e32 v0, 3, v0
	v_add_f32_e32 v6, v10, v6
	v_add_f32_e32 v6, v6, v7
	v_cvt_f16_f32_e32 v8, v6
	v_lshl_add_u64 v[6:7], v[0:1], 1, s[18:19]
	global_store_short v[6:7], v8, off
.LBB48_44:                              ;   in Loop: Header=BB48_19 Depth=1
	s_or_b64 exec, exec, s[30:31]
	v_add_u32_e32 v30, s38, v30
	v_add_u32_e32 v0, 4, v30
	v_cmp_gt_u32_e32 vcc, s15, v30
	v_cmp_le_u32_e64 s[6:7], s15, v0
	s_and_b64 s[6:7], vcc, s[6:7]
	s_and_saveexec_b64 s[8:9], s[6:7]
	s_cbranch_execz .LBB48_18
; %bb.45:                               ;   in Loop: Header=BB48_19 Depth=1
	v_cmp_ne_u32_e32 vcc, s39, v30
	s_and_saveexec_b64 s[10:11], vcc
	s_cbranch_execz .LBB48_17
; %bb.46:                               ;   in Loop: Header=BB48_19 Depth=1
	v_subrev_u32_e32 v0, s39, v30
	v_cmp_lt_u32_e32 vcc, 1, v0
	s_mov_b64 s[30:31], 0
	s_mov_b64 s[34:35], 0
	v_cndmask_b32_e32 v0, 1, v0, vcc
.LBB48_47:                              ;   Parent Loop BB48_19 Depth=1
                                        ; =>  This Inner Loop Header: Depth=2
	s_cmp_lg_u32 s34, 3
	s_cselect_b64 vcc, -1, 0
	s_cmp_lg_u32 s34, 2
	v_cndmask_b32_e32 v5, 0, v5, vcc
	s_cselect_b64 vcc, -1, 0
	s_cmp_lg_u32 s34, 1
	v_cndmask_b32_e32 v4, 0, v4, vcc
	;; [unrolled: 3-line block ×3, first 2 shown]
	s_cselect_b64 vcc, -1, 0
	s_add_u32 s34, s34, 1
	s_addc_u32 s35, s35, 0
	v_cmp_eq_u32_e64 s[6:7], s34, v0
	s_or_b64 s[30:31], s[6:7], s[30:31]
	v_cndmask_b32_e32 v2, 0, v2, vcc
	s_andn2_b64 exec, exec, s[30:31]
	s_cbranch_execnz .LBB48_47
; %bb.48:                               ;   in Loop: Header=BB48_19 Depth=1
	s_or_b64 exec, exec, s[30:31]
	s_branch .LBB48_17
.LBB48_49:                              ;   in Loop: Header=BB48_19 Depth=1
	v_cvt_f32_i32_e32 v12, v12
	s_waitcnt vmcnt(7)
	v_cvt_f32_f16_e32 v28, v28
	v_mov_b32_e32 v31, v1
	v_add_f32_e32 v9, v9, v12
	v_add_f32_e32 v9, v9, v28
	v_cvt_f16_f32_e32 v9, v9
	v_lshl_add_u64 v[28:29], v[30:31], 1, s[18:19]
	global_store_short v[28:29], v9, off
	s_or_b64 exec, exec, s[6:7]
	v_cmp_ne_u32_e64 s[6:7], 0, v3
	s_and_saveexec_b64 s[8:9], s[6:7]
	s_cbranch_execz .LBB48_37
.LBB48_50:                              ;   in Loop: Header=BB48_19 Depth=1
	v_cvt_f32_i32_e32 v9, v14
	s_waitcnt vmcnt(6)
	v_cvt_f32_f16_e32 v12, v27
	v_mov_b32_e32 v37, v1
	v_lshl_add_u64 v[28:29], v[36:37], 1, s[18:19]
	v_add_f32_e32 v6, v6, v9
	v_add_f32_e32 v6, v6, v12
	v_cvt_f16_f32_e32 v6, v6
	global_store_short v[28:29], v6, off
	s_or_b64 exec, exec, s[8:9]
	v_cmp_ne_u32_e64 s[8:9], 0, v4
	s_and_saveexec_b64 s[10:11], s[8:9]
	s_cbranch_execz .LBB48_38
.LBB48_51:                              ;   in Loop: Header=BB48_19 Depth=1
	v_cvt_f32_i32_e32 v6, v16
	s_waitcnt vmcnt(5)
	v_cvt_f32_f16_e32 v9, v26
	v_mov_b32_e32 v35, v1
	v_add_f32_e32 v6, v7, v6
	v_add_f32_e32 v6, v6, v9
	v_cvt_f16_f32_e32 v9, v6
	v_lshl_add_u64 v[6:7], v[34:35], 1, s[18:19]
	global_store_short v[6:7], v9, off
	s_or_b64 exec, exec, s[10:11]
	v_cmp_ne_u32_e64 s[10:11], 0, v5
	s_and_saveexec_b64 s[34:35], s[10:11]
	s_cbranch_execz .LBB48_39
.LBB48_52:                              ;   in Loop: Header=BB48_19 Depth=1
	v_cvt_f32_i32_e32 v6, v11
	s_waitcnt vmcnt(4)
	v_cvt_f32_f16_e32 v0, v0
	v_mov_b32_e32 v33, v1
	v_add_f32_e32 v6, v8, v6
	v_add_f32_e32 v0, v6, v0
	v_cvt_f16_f32_e32 v0, v0
	v_lshl_add_u64 v[6:7], v[32:33], 1, s[18:19]
	global_store_short v[6:7], v0, off
	s_or_b64 exec, exec, s[34:35]
	v_add_u32_e32 v0, s15, v30
	s_and_saveexec_b64 s[34:35], vcc
	s_cbranch_execz .LBB48_40
.LBB48_53:                              ;   in Loop: Header=BB48_19 Depth=1
	v_cvt_f32_i32_e32 v6, v21
	s_waitcnt vmcnt(3)
	v_cvt_f32_f16_e32 v7, v25
	v_add_f32_e32 v6, v19, v6
	v_add_f32_e32 v6, v6, v7
	v_cvt_f16_f32_e32 v8, v6
	v_lshl_add_u64 v[6:7], v[0:1], 1, s[18:19]
	global_store_short v[6:7], v8, off
	s_or_b64 exec, exec, s[34:35]
	s_and_saveexec_b64 s[34:35], s[6:7]
	s_cbranch_execz .LBB48_41
.LBB48_54:                              ;   in Loop: Header=BB48_19 Depth=1
	v_cvt_f32_i32_e32 v6, v20
	s_waitcnt vmcnt(2)
	v_cvt_f32_f16_e32 v7, v24
	v_add_f32_e32 v6, v18, v6
	v_add_f32_e32 v6, v6, v7
	v_cvt_f16_f32_e32 v8, v6
	v_add_u32_e32 v6, 1, v0
	v_mov_b32_e32 v7, v1
	v_lshl_add_u64 v[6:7], v[6:7], 1, s[18:19]
	global_store_short v[6:7], v8, off
	s_or_b64 exec, exec, s[34:35]
	s_and_saveexec_b64 s[6:7], s[8:9]
	s_cbranch_execz .LBB48_42
.LBB48_55:                              ;   in Loop: Header=BB48_19 Depth=1
	v_cvt_f32_i32_e32 v6, v17
	s_waitcnt vmcnt(1)
	v_cvt_f32_f16_e32 v7, v23
	v_add_f32_e32 v6, v15, v6
	v_add_f32_e32 v6, v6, v7
	v_cvt_f16_f32_e32 v8, v6
	v_add_u32_e32 v6, 2, v0
	v_mov_b32_e32 v7, v1
	v_lshl_add_u64 v[6:7], v[6:7], 1, s[18:19]
	global_store_short v[6:7], v8, off
	s_or_b64 exec, exec, s[6:7]
	s_and_b64 exec, exec, s[10:11]
	s_cbranch_execnz .LBB48_43
	s_branch .LBB48_44
.LBB48_56:
	s_endpgm
	.section	.rodata,"a",@progbits
	.p2align	6, 0x0
	.amdhsa_kernel _Z12wvSplitK_hf_I6__halfLi32ELi4ELi16ELi8ELi1ELi2EEviiiiiiPKT_S3_S3_PS1_ii
		.amdhsa_group_segment_fixed_size 65536
		.amdhsa_private_segment_fixed_size 0
		.amdhsa_kernarg_size 64
		.amdhsa_user_sgpr_count 2
		.amdhsa_user_sgpr_dispatch_ptr 0
		.amdhsa_user_sgpr_queue_ptr 0
		.amdhsa_user_sgpr_kernarg_segment_ptr 1
		.amdhsa_user_sgpr_dispatch_id 0
		.amdhsa_user_sgpr_kernarg_preload_length 0
		.amdhsa_user_sgpr_kernarg_preload_offset 0
		.amdhsa_user_sgpr_private_segment_size 0
		.amdhsa_uses_dynamic_stack 0
		.amdhsa_enable_private_segment 0
		.amdhsa_system_sgpr_workgroup_id_x 1
		.amdhsa_system_sgpr_workgroup_id_y 0
		.amdhsa_system_sgpr_workgroup_id_z 0
		.amdhsa_system_sgpr_workgroup_info 0
		.amdhsa_system_vgpr_workitem_id 1
		.amdhsa_next_free_vgpr 58
		.amdhsa_next_free_sgpr 40
		.amdhsa_accum_offset 60
		.amdhsa_reserve_vcc 1
		.amdhsa_float_round_mode_32 0
		.amdhsa_float_round_mode_16_64 0
		.amdhsa_float_denorm_mode_32 3
		.amdhsa_float_denorm_mode_16_64 3
		.amdhsa_dx10_clamp 1
		.amdhsa_ieee_mode 1
		.amdhsa_fp16_overflow 0
		.amdhsa_tg_split 0
		.amdhsa_exception_fp_ieee_invalid_op 0
		.amdhsa_exception_fp_denorm_src 0
		.amdhsa_exception_fp_ieee_div_zero 0
		.amdhsa_exception_fp_ieee_overflow 0
		.amdhsa_exception_fp_ieee_underflow 0
		.amdhsa_exception_fp_ieee_inexact 0
		.amdhsa_exception_int_div_zero 0
	.end_amdhsa_kernel
	.section	.text._Z12wvSplitK_hf_I6__halfLi32ELi4ELi16ELi8ELi1ELi2EEviiiiiiPKT_S3_S3_PS1_ii,"axG",@progbits,_Z12wvSplitK_hf_I6__halfLi32ELi4ELi16ELi8ELi1ELi2EEviiiiiiPKT_S3_S3_PS1_ii,comdat
.Lfunc_end48:
	.size	_Z12wvSplitK_hf_I6__halfLi32ELi4ELi16ELi8ELi1ELi2EEviiiiiiPKT_S3_S3_PS1_ii, .Lfunc_end48-_Z12wvSplitK_hf_I6__halfLi32ELi4ELi16ELi8ELi1ELi2EEviiiiiiPKT_S3_S3_PS1_ii
                                        ; -- End function
	.section	.AMDGPU.csdata,"",@progbits
; Kernel info:
; codeLenInByte = 3616
; NumSgprs: 46
; NumVgprs: 58
; NumAgprs: 0
; TotalNumVgprs: 58
; ScratchSize: 0
; MemoryBound: 1
; FloatMode: 240
; IeeeMode: 1
; LDSByteSize: 65536 bytes/workgroup (compile time only)
; SGPRBlocks: 5
; VGPRBlocks: 7
; NumSGPRsForWavesPerEU: 46
; NumVGPRsForWavesPerEU: 58
; AccumOffset: 60
; Occupancy: 2
; WaveLimiterHint : 0
; COMPUTE_PGM_RSRC2:SCRATCH_EN: 0
; COMPUTE_PGM_RSRC2:USER_SGPR: 2
; COMPUTE_PGM_RSRC2:TRAP_HANDLER: 0
; COMPUTE_PGM_RSRC2:TGID_X_EN: 1
; COMPUTE_PGM_RSRC2:TGID_Y_EN: 0
; COMPUTE_PGM_RSRC2:TGID_Z_EN: 0
; COMPUTE_PGM_RSRC2:TIDIG_COMP_CNT: 1
; COMPUTE_PGM_RSRC3_GFX90A:ACCUM_OFFSET: 14
; COMPUTE_PGM_RSRC3_GFX90A:TG_SPLIT: 0
	.section	.text._Z16wvSplitK_hf_big_I6__halfLi32ELi4ELi16ELi8ELi1ELi2EEviiiiiiPKT_S3_S3_PS1_ii,"axG",@progbits,_Z16wvSplitK_hf_big_I6__halfLi32ELi4ELi16ELi8ELi1ELi2EEviiiiiiPKT_S3_S3_PS1_ii,comdat
	.protected	_Z16wvSplitK_hf_big_I6__halfLi32ELi4ELi16ELi8ELi1ELi2EEviiiiiiPKT_S3_S3_PS1_ii ; -- Begin function _Z16wvSplitK_hf_big_I6__halfLi32ELi4ELi16ELi8ELi1ELi2EEviiiiiiPKT_S3_S3_PS1_ii
	.globl	_Z16wvSplitK_hf_big_I6__halfLi32ELi4ELi16ELi8ELi1ELi2EEviiiiiiPKT_S3_S3_PS1_ii
	.p2align	8
	.type	_Z16wvSplitK_hf_big_I6__halfLi32ELi4ELi16ELi8ELi1ELi2EEviiiiiiPKT_S3_S3_PS1_ii,@function
_Z16wvSplitK_hf_big_I6__halfLi32ELi4ELi16ELi8ELi1ELi2EEviiiiiiPKT_S3_S3_PS1_ii: ; @_Z16wvSplitK_hf_big_I6__halfLi32ELi4ELi16ELi8ELi1ELi2EEviiiiiiPKT_S3_S3_PS1_ii
; %bb.0:
	s_load_dwordx2 s[8:9], s[0:1], 0x38
	v_bfe_u32 v7, v0, 10, 10
	s_waitcnt lgkmcnt(0)
	v_cmp_gt_u32_e32 vcc, s8, v7
	s_and_saveexec_b64 s[4:5], vcc
	s_cbranch_execz .LBB49_54
; %bb.1:
	s_load_dwordx4 s[24:27], s[0:1], 0x0
	s_mul_i32 s2, s2, s8
	v_add_lshl_u32 v30, s2, v7, 2
	s_mov_b32 s4, 1
	v_add_u32_e32 v1, 4, v30
	s_mov_b32 s5, s4
	s_waitcnt lgkmcnt(0)
	v_cmp_gt_u32_e32 vcc, s27, v30
	v_cmp_le_u32_e64 s[2:3], s27, v1
	s_mov_b32 s6, s4
	s_mov_b32 s7, s4
	v_mov_b64_e32 v[2:3], s[4:5]
	s_and_b64 s[10:11], vcc, s[2:3]
	v_mov_b64_e32 v[4:5], s[6:7]
	s_and_saveexec_b64 s[2:3], s[10:11]
	s_cbranch_execz .LBB49_7
; %bb.2:
	s_add_i32 s16, s27, -4
	v_mov_b64_e32 v[2:3], s[4:5]
	v_cmp_ne_u32_e32 vcc, s16, v30
	v_mov_b64_e32 v[4:5], s[6:7]
	s_and_saveexec_b64 s[10:11], vcc
	s_cbranch_execz .LBB49_6
; %bb.3:
	v_subrev_u32_e32 v1, s16, v30
	v_cmp_lt_u32_e32 vcc, 1, v1
	s_mov_b64 s[12:13], 0
	s_mov_b64 s[14:15], 0
	v_cndmask_b32_e32 v6, 1, v1, vcc
	s_mov_b32 s5, s4
	s_mov_b32 s6, s4
	;; [unrolled: 1-line block ×3, first 2 shown]
.LBB49_4:                               ; =>This Inner Loop Header: Depth=1
	s_cmp_lg_u32 s14, 3
	s_cselect_b32 s7, s7, 0
	s_cmp_lg_u32 s14, 2
	s_cselect_b32 s6, s6, 0
	s_cmp_lg_u32 s14, 1
	s_cselect_b32 s5, s5, 0
	s_cmp_lg_u32 s14, 0
	s_cselect_b32 s4, s4, 0
	s_add_u32 s14, s14, 1
	s_addc_u32 s15, s15, 0
	v_cmp_eq_u32_e32 vcc, s14, v6
	v_mov_b64_e32 v[2:3], s[4:5]
	s_or_b64 s[12:13], vcc, s[12:13]
	v_mov_b64_e32 v[4:5], s[6:7]
	s_andn2_b64 exec, exec, s[12:13]
	s_cbranch_execnz .LBB49_4
; %bb.5:
	s_or_b64 exec, exec, s[12:13]
	v_mov_b32_e32 v30, s16
.LBB49_6:
	s_or_b64 exec, exec, s[10:11]
.LBB49_7:
	s_or_b64 exec, exec, s[2:3]
	s_lshl_b32 s2, s8, 2
	s_abs_i32 s3, s2
	v_cvt_f32_u32_e32 v1, s3
	s_sub_i32 s6, 0, s3
	s_abs_i32 s5, s27
	s_ashr_i32 s4, s27, 31
	v_rcp_iflag_f32_e32 v1, v1
	s_nop 0
	v_mul_f32_e32 v1, 0x4f7ffffe, v1
	v_cvt_u32_f32_e32 v1, v1
	s_nop 0
	v_readfirstlane_b32 s7, v1
	s_mul_i32 s6, s6, s7
	s_mul_hi_u32 s6, s7, s6
	s_add_i32 s7, s7, s6
	s_mul_hi_u32 s6, s5, s7
	s_mul_i32 s6, s6, s3
	s_sub_i32 s5, s5, s6
	s_sub_i32 s6, s5, s3
	s_cmp_ge_u32 s5, s3
	s_cselect_b32 s5, s6, s5
	s_sub_i32 s6, s5, s3
	s_cmp_ge_u32 s5, s3
	s_cselect_b32 s3, s6, s5
	s_xor_b32 s3, s3, s4
	s_sub_i32 s3, s3, s4
	s_add_i32 s2, s2, s27
	s_sub_i32 s2, s2, s3
	s_cmp_eq_u32 s3, 0
	s_cselect_b32 s33, s27, s2
	v_cmp_gt_u32_e32 vcc, s33, v30
	s_and_b64 exec, exec, vcc
	s_cbranch_execz .LBB49_54
; %bb.8:
	s_load_dwordx8 s[16:23], s[0:1], 0x10
	s_min_u32 s40, s26, 0x4000
	s_cmp_lg_u32 s24, 0
	s_load_dwordx2 s[14:15], s[0:1], 0x30
	s_cselect_b64 s[2:3], -1, 0
	s_waitcnt lgkmcnt(0)
	v_cvt_f32_u32_e32 v1, s16
	s_cmp_lg_u32 s26, 0
	s_mul_i32 s0, s9, s8
	s_cselect_b64 s[4:5], -1, 0
	v_rcp_iflag_f32_e32 v1, v1
	s_lshl_b32 s41, s8, 8
	s_add_i32 s42, s24, -8
	s_add_i32 s43, s27, -1
	v_mul_f32_e32 v1, 0x4f7ffffe, v1
	v_cvt_u32_f32_e32 v1, v1
	s_lshl_b32 s44, s0, 2
	s_cmp_lg_u64 s[22:23], 0
	s_cselect_b64 s[6:7], -1, 0
	s_sub_i32 s9, 0, s16
	v_mul_lo_u32 v6, s9, v1
	s_abs_i32 s9, s17
	s_add_i32 s45, s27, -4
	s_sub_i32 s10, 1, s9
	v_and_b32_e32 v0, 0x3ff, v0
	s_cmp_lt_u32 s9, 2
	v_lshlrev_b32_e32 v40, 3, v0
	v_cmp_eq_u32_e64 s[0:1], 31, v0
	s_cselect_b32 s10, s10, 1
	v_lshlrev_b32_e32 v0, 4, v0
	s_sub_i32 s11, s10, s9
	v_lshl_add_u32 v42, v7, 9, v0
	v_cndmask_b32_e64 v0, 0, 1, s[2:3]
	s_cmp_ge_u32 s10, s9
	v_cmp_ne_u32_e64 s[2:3], 1, v0
	v_cndmask_b32_e64 v0, 0, 1, s[4:5]
	v_mul_hi_u32 v6, v1, v6
	s_cselect_b32 s17, s11, s10
	s_add_u32 s30, s14, 2
	v_lshl_add_u32 v43, v7, 8, v40
	v_cmp_ne_u32_e64 s[4:5], 1, v0
	v_cndmask_b32_e64 v0, 0, 1, s[6:7]
	s_mov_b64 s[28:29], 0
	v_add_u32_e32 v41, v1, v6
	v_mov_b32_e32 v1, 0
	s_mul_i32 s17, s17, s16
	s_addc_u32 s31, s15, 0
	s_lshl_b32 s46, s40, 1
	s_lshl_b32 s47, s8, 9
	v_add_u32_e32 v44, s26, v43
	v_cmp_ne_u32_e64 s[6:7], 1, v0
	s_branch .LBB49_12
.LBB49_9:                               ;   in Loop: Header=BB49_12 Depth=1
	s_or_b64 exec, exec, s[12:13]
	v_mov_b32_e32 v30, s45
.LBB49_10:                              ;   in Loop: Header=BB49_12 Depth=1
	s_or_b64 exec, exec, s[10:11]
.LBB49_11:                              ;   in Loop: Header=BB49_12 Depth=1
	s_or_b64 exec, exec, s[34:35]
	v_cmp_le_u32_e32 vcc, s33, v30
	s_or_b64 s[28:29], vcc, s[28:29]
	s_andn2_b64 exec, exec, s[28:29]
	s_cbranch_execz .LBB49_54
.LBB49_12:                              ; =>This Loop Header: Depth=1
                                        ;     Child Loop BB49_16 Depth 2
                                        ;       Child Loop BB49_21 Depth 3
                                        ;     Child Loop BB49_45 Depth 2
	s_mov_b32 s36, 0
	s_and_b64 vcc, exec, s[2:3]
	v_mov_b32_e32 v51, v1
	v_mov_b32_e32 v50, v1
	;; [unrolled: 1-line block ×8, first 2 shown]
	s_cbranch_vccnz .LBB49_27
; %bb.13:                               ;   in Loop: Header=BB49_12 Depth=1
	v_min_u32_e32 v0, s43, v30
	v_mul_lo_u32 v32, v0, s25
	v_add_u32_e32 v0, 1, v30
	v_min_u32_e32 v0, s43, v0
	v_mul_lo_u32 v34, v0, s25
	v_add_u32_e32 v0, 2, v30
	;; [unrolled: 3-line block ×3, first 2 shown]
	v_min_u32_e32 v0, s43, v0
	v_cmp_gt_u32_e64 s[8:9], s27, v30
	v_mov_b32_e32 v33, v1
	v_mov_b32_e32 v35, v1
	;; [unrolled: 1-line block ×3, first 2 shown]
	v_mul_lo_u32 v38, v0, s25
	v_mov_b32_e32 v39, v1
	v_mov_b32_e32 v47, 0
	;; [unrolled: 1-line block ×9, first 2 shown]
	s_mov_b32 s37, 0
	s_branch .LBB49_16
.LBB49_14:                              ;   in Loop: Header=BB49_16 Depth=2
	s_or_b64 exec, exec, s[12:13]
	s_waitcnt vmcnt(3) lgkmcnt(1)
	;;#ASMSTART
	v_dot2c_f32_f16 v51, v26, v22
	;;#ASMEND
	s_waitcnt vmcnt(2)
	;;#ASMSTART
	v_dot2c_f32_f16 v50, v26, v18
	;;#ASMEND
	s_waitcnt vmcnt(1)
	;; [unrolled: 4-line block ×3, first 2 shown]
	;;#ASMSTART
	v_dot2c_f32_f16 v48, v26, v6
	;;#ASMEND
	s_waitcnt lgkmcnt(0)
	;;#ASMSTART
	v_dot2c_f32_f16 v47, v14, v22
	;;#ASMEND
	;;#ASMSTART
	v_dot2c_f32_f16 v46, v14, v18
	;;#ASMEND
	;;#ASMSTART
	v_dot2c_f32_f16 v45, v14, v10
	;;#ASMEND
	;;#ASMSTART
	v_dot2c_f32_f16 v31, v14, v6
	;;#ASMEND
	;;#ASMSTART
	v_dot2c_f32_f16 v51, v27, v23
	;;#ASMEND
	;;#ASMSTART
	v_dot2c_f32_f16 v50, v27, v19
	;;#ASMEND
	;;#ASMSTART
	v_dot2c_f32_f16 v49, v27, v11
	;;#ASMEND
	;;#ASMSTART
	v_dot2c_f32_f16 v48, v27, v7
	;;#ASMEND
	s_nop 0
	;;#ASMSTART
	v_dot2c_f32_f16 v47, v15, v23
	;;#ASMEND
	;;#ASMSTART
	v_dot2c_f32_f16 v46, v15, v19
	;;#ASMEND
	;;#ASMSTART
	v_dot2c_f32_f16 v45, v15, v11
	;;#ASMEND
	;;#ASMSTART
	v_dot2c_f32_f16 v31, v15, v7
	;;#ASMEND
	;;#ASMSTART
	v_dot2c_f32_f16 v51, v28, v24
	;;#ASMEND
	;;#ASMSTART
	v_dot2c_f32_f16 v50, v28, v20
	;;#ASMEND
	;;#ASMSTART
	v_dot2c_f32_f16 v49, v28, v12
	;;#ASMEND
	;;#ASMSTART
	v_dot2c_f32_f16 v48, v28, v8
	;;#ASMEND
	s_nop 0
	;; [unrolled: 25-line block ×3, first 2 shown]
	;;#ASMSTART
	v_dot2c_f32_f16 v47, v17, v25
	;;#ASMEND
	;;#ASMSTART
	v_dot2c_f32_f16 v46, v17, v21
	;;#ASMEND
	;;#ASMSTART
	v_dot2c_f32_f16 v45, v17, v13
	;;#ASMEND
	;;#ASMSTART
	v_dot2c_f32_f16 v31, v17, v9
	;;#ASMEND
.LBB49_15:                              ;   in Loop: Header=BB49_16 Depth=2
	s_or_b64 exec, exec, s[10:11]
	s_addk_i32 s37, 0x100
	s_cmp_ge_u32 s37, s24
	s_cbranch_scc1 .LBB49_27
.LBB49_16:                              ;   Parent Loop BB49_12 Depth=1
                                        ; =>  This Loop Header: Depth=2
                                        ;       Child Loop BB49_21 Depth 3
	s_cmp_eq_u32 s37, 0
	s_cselect_b64 s[10:11], -1, 0
	s_add_i32 s12, s36, s40
	s_cmp_eq_u32 s37, s12
	s_cselect_b64 s[34:35], -1, 0
	s_or_b64 s[34:35], s[10:11], s[34:35]
	s_andn2_b64 vcc, exec, s[34:35]
	s_cbranch_vccz .LBB49_18
; %bb.17:                               ;   in Loop: Header=BB49_16 Depth=2
	s_and_saveexec_b64 s[10:11], s[8:9]
	s_cbranch_execz .LBB49_15
	s_branch .LBB49_25
.LBB49_18:                              ;   in Loop: Header=BB49_16 Depth=2
	s_and_b64 s[10:11], s[10:11], exec
	s_cselect_b32 s36, s36, s12
	s_and_b64 vcc, exec, s[4:5]
	s_barrier
	s_cbranch_vccnz .LBB49_24
; %bb.19:                               ;   in Loop: Header=BB49_16 Depth=2
	v_add_u32_e32 v6, s36, v44
	v_add_u32_e32 v7, s36, v43
	s_mov_b32 s38, 0
	s_mov_b64 s[12:13], 0
	v_mov_b32_e32 v8, v42
                                        ; implicit-def: $sgpr34_sgpr35
	s_branch .LBB49_21
.LBB49_20:                              ;   in Loop: Header=BB49_21 Depth=3
	s_or_b64 exec, exec, s[10:11]
	s_and_b64 s[10:11], exec, s[34:35]
	s_or_b64 s[12:13], s[10:11], s[12:13]
	s_andn2_b64 exec, exec, s[12:13]
	s_cbranch_execz .LBB49_23
.LBB49_21:                              ;   Parent Loop BB49_12 Depth=1
                                        ;     Parent Loop BB49_16 Depth=2
                                        ; =>    This Inner Loop Header: Depth=3
	v_add_u32_e32 v9, s38, v43
	v_add_u32_e32 v0, s38, v7
	v_cmp_gt_u32_e32 vcc, s26, v0
	v_cmp_gt_u32_e64 s[10:11], s40, v9
	s_and_b64 s[48:49], s[10:11], vcc
	s_or_b64 s[34:35], s[34:35], exec
	s_and_saveexec_b64 s[10:11], s[48:49]
	s_cbranch_execz .LBB49_20
; %bb.22:                               ;   in Loop: Header=BB49_21 Depth=3
	v_lshl_add_u64 v[10:11], v[0:1], 1, s[20:21]
	v_add_u32_e32 v0, s38, v6
	global_load_dwordx4 v[10:13], v[10:11], off
	v_lshl_add_u64 v[14:15], v[0:1], 1, s[20:21]
	global_load_dwordx4 v[14:17], v[14:15], off
	s_add_i32 s38, s38, s41
	s_cmp_ge_u32 s38, s40
	s_cselect_b64 s[48:49], -1, 0
	s_andn2_b64 s[34:35], s[34:35], exec
	s_and_b64 s[48:49], s[48:49], exec
	v_add_u32_e32 v0, s46, v8
	s_or_b64 s[34:35], s[34:35], s[48:49]
	s_waitcnt vmcnt(1)
	ds_write_b128 v8, v[10:13]
	v_add_u32_e32 v8, s47, v8
	s_waitcnt vmcnt(0)
	ds_write2_b64 v0, v[14:15], v[16:17] offset1:1
	s_branch .LBB49_20
.LBB49_23:                              ;   in Loop: Header=BB49_16 Depth=2
	s_or_b64 exec, exec, s[12:13]
.LBB49_24:                              ;   in Loop: Header=BB49_16 Depth=2
	s_waitcnt lgkmcnt(0)
	s_barrier
	s_and_saveexec_b64 s[10:11], s[8:9]
	s_cbranch_execz .LBB49_15
.LBB49_25:                              ;   in Loop: Header=BB49_16 Depth=2
	v_add_u32_e32 v52, s37, v40
	v_min_u32_e32 v0, s42, v52
	v_lshl_add_u64 v[6:7], v[0:1], 1, s[18:19]
	v_lshl_add_u64 v[8:9], v[32:33], 1, v[6:7]
	;; [unrolled: 1-line block ×4, first 2 shown]
	global_load_dwordx4 v[22:25], v[8:9], off nt
	global_load_dwordx4 v[18:21], v[10:11], off nt
	v_lshl_add_u64 v[16:17], v[38:39], 1, v[6:7]
	global_load_dwordx4 v[10:13], v[14:15], off nt
	global_load_dwordx4 v[6:9], v[16:17], off nt
	v_cmp_gt_u32_e32 vcc, s24, v52
	s_waitcnt vmcnt(6)
	v_mov_b32_e32 v26, 0
	v_mov_b32_e32 v27, 0
	;; [unrolled: 1-line block ×8, first 2 shown]
	s_and_saveexec_b64 s[12:13], vcc
	s_cbranch_execz .LBB49_14
; %bb.26:                               ;   in Loop: Header=BB49_16 Depth=2
	v_subrev_u32_e32 v0, s36, v52
	v_lshlrev_b32_e32 v0, 1, v0
	v_lshl_add_u32 v14, s40, 1, v0
	ds_read_b128 v[26:29], v0
	ds_read_b128 v[14:17], v14
	s_branch .LBB49_14
.LBB49_27:                              ;   in Loop: Header=BB49_12 Depth=1
	v_cmp_le_u32_e32 vcc, s27, v30
	s_and_saveexec_b64 s[8:9], vcc
	s_xor_b64 s[8:9], exec, s[8:9]
; %bb.28:                               ;   in Loop: Header=BB49_12 Depth=1
	v_add_u32_e32 v30, s44, v30
                                        ; implicit-def: $vgpr51
                                        ; implicit-def: $vgpr50
                                        ; implicit-def: $vgpr49
                                        ; implicit-def: $vgpr48
                                        ; implicit-def: $vgpr31
                                        ; implicit-def: $vgpr45
                                        ; implicit-def: $vgpr46
                                        ; implicit-def: $vgpr47
; %bb.29:                               ;   in Loop: Header=BB49_12 Depth=1
	s_andn2_saveexec_b64 s[34:35], s[8:9]
	s_cbranch_execz .LBB49_11
; %bb.30:                               ;   in Loop: Header=BB49_12 Depth=1
	v_cvt_i32_f32_e32 v0, v51
	v_cvt_i32_f32_e32 v6, v50
	;; [unrolled: 1-line block ×4, first 2 shown]
	v_cvt_f32_i32_dpp v0, v0 row_shr:8 row_mask:0xf bank_mask:0xf bound_ctrl:1
	v_cvt_f32_i32_dpp v6, v6 row_shr:8 row_mask:0xf bank_mask:0xf bound_ctrl:1
	;; [unrolled: 1-line block ×4, first 2 shown]
	v_add_f32_e32 v0, v51, v0
	v_cvt_i32_f32_e32 v9, v0
	v_add_f32_e32 v6, v50, v6
	v_cvt_i32_f32_e32 v10, v6
	v_add_f32_e32 v7, v49, v7
	v_cvt_f32_i32_dpp v9, v9 row_shr:4 row_mask:0xf bank_mask:0xf bound_ctrl:1
	v_cvt_i32_f32_e32 v11, v7
	v_cvt_f32_i32_dpp v10, v10 row_shr:4 row_mask:0xf bank_mask:0xf bound_ctrl:1
	v_add_f32_e32 v8, v48, v8
	v_add_f32_e32 v0, v0, v9
	v_cvt_i32_f32_e32 v9, v0
	v_add_f32_e32 v6, v6, v10
	v_cvt_i32_f32_e32 v10, v6
	v_cvt_f32_i32_dpp v11, v11 row_shr:4 row_mask:0xf bank_mask:0xf bound_ctrl:1
	v_cvt_f32_i32_dpp v9, v9 row_shr:2 row_mask:0xf bank_mask:0xf bound_ctrl:1
	v_cvt_i32_f32_e32 v12, v8
	v_cvt_f32_i32_dpp v10, v10 row_shr:2 row_mask:0xf bank_mask:0xf bound_ctrl:1
	v_add_f32_e32 v7, v7, v11
	v_add_f32_e32 v0, v0, v9
	v_cvt_i32_f32_e32 v9, v0
	v_add_f32_e32 v6, v6, v10
	v_cvt_i32_f32_e32 v10, v6
	v_cvt_i32_f32_e32 v11, v7
	v_cvt_f32_i32_dpp v9, v9 row_shr:1 row_mask:0xf bank_mask:0xf bound_ctrl:1
	v_cvt_f32_i32_dpp v12, v12 row_shr:4 row_mask:0xf bank_mask:0xf bound_ctrl:1
	;; [unrolled: 1-line block ×4, first 2 shown]
	v_add_f32_e32 v0, v0, v9
	v_cvt_i32_f32_e32 v9, v0
	v_add_f32_e32 v6, v6, v10
	v_add_f32_e32 v13, v7, v11
	;; [unrolled: 1-line block ×3, first 2 shown]
	v_cvt_f32_i32_dpp v7, v9 row_bcast:15 row_mask:0xf bank_mask:0xf bound_ctrl:1
	v_cvt_i32_f32_e32 v9, v6
	v_cvt_i32_f32_e32 v12, v8
	;; [unrolled: 1-line block ×3, first 2 shown]
	v_add_f32_e32 v11, v0, v7
	v_cvt_f32_i32_dpp v7, v9 row_bcast:15 row_mask:0xf bank_mask:0xf bound_ctrl:1
	v_cvt_i32_f32_e32 v0, v11
	v_cvt_f32_i32_dpp v9, v10 row_shr:1 row_mask:0xf bank_mask:0xf bound_ctrl:1
	v_cvt_f32_i32_dpp v10, v12 row_shr:2 row_mask:0xf bank_mask:0xf bound_ctrl:1
	v_add_f32_e32 v7, v6, v7
	v_cvt_i32_f32_e32 v6, v47
	v_mov_b32_dpp v14, v0 row_bcast:31 row_mask:0xf bank_mask:0xf bound_ctrl:1
	v_add_f32_e32 v8, v8, v10
	v_add_f32_e32 v0, v13, v9
	v_cvt_f32_i32_dpp v6, v6 row_shr:8 row_mask:0xf bank_mask:0xf bound_ctrl:1
	v_cvt_i32_f32_e32 v9, v8
	v_cvt_i32_f32_e32 v10, v0
	;; [unrolled: 1-line block ×3, first 2 shown]
	v_add_f32_e32 v6, v47, v6
	v_cvt_f32_i32_dpp v9, v9 row_shr:1 row_mask:0xf bank_mask:0xf bound_ctrl:1
	v_cvt_i32_f32_e32 v13, v6
	v_cvt_f32_i32_dpp v10, v10 row_bcast:15 row_mask:0xf bank_mask:0xf bound_ctrl:1
	v_mov_b32_dpp v16, v12 row_bcast:31 row_mask:0xf bank_mask:0xf bound_ctrl:1
	v_add_f32_e32 v8, v8, v9
	v_cvt_f32_i32_dpp v12, v13 row_shr:4 row_mask:0xf bank_mask:0xf bound_ctrl:1
	v_cvt_i32_f32_e32 v15, v8
	v_add_f32_e32 v9, v0, v10
	v_cvt_i32_f32_e32 v10, v46
	v_add_f32_e32 v6, v6, v12
	v_cvt_f32_i32_dpp v0, v15 row_bcast:15 row_mask:0xf bank_mask:0xf bound_ctrl:1
	v_cvt_i32_f32_e32 v12, v6
	v_cvt_f32_i32_dpp v15, v10 row_shr:8 row_mask:0xf bank_mask:0xf bound_ctrl:1
	v_cvt_i32_f32_e32 v13, v9
	v_add_f32_e32 v10, v8, v0
	v_cvt_f32_i32_dpp v0, v12 row_shr:2 row_mask:0xf bank_mask:0xf bound_ctrl:1
	v_add_f32_e32 v12, v46, v15
	v_cvt_i32_f32_e32 v15, v12
	v_cvt_i32_f32_e32 v8, v10
	v_add_f32_e32 v0, v6, v0
	v_cvt_i32_f32_e32 v6, v0
	v_cvt_f32_i32_dpp v15, v15 row_shr:4 row_mask:0xf bank_mask:0xf bound_ctrl:1
	v_mov_b32_dpp v18, v13 row_bcast:31 row_mask:0xf bank_mask:0xf bound_ctrl:1
	v_mov_b32_dpp v13, v8 row_bcast:31 row_mask:0xf bank_mask:0xf bound_ctrl:1
	v_cvt_f32_i32_dpp v6, v6 row_shr:1 row_mask:0xf bank_mask:0xf bound_ctrl:1
	v_cvt_i32_f32_e32 v8, v45
	v_add_f32_e32 v12, v12, v15
	v_cvt_i32_f32_e32 v15, v31
	v_add_f32_e32 v0, v0, v6
	v_cvt_f32_i32_dpp v8, v8 row_shr:8 row_mask:0xf bank_mask:0xf bound_ctrl:1
	v_cvt_i32_f32_e32 v17, v12
	v_cvt_f32_i32_dpp v6, v15 row_shr:8 row_mask:0xf bank_mask:0xf bound_ctrl:1
	v_cvt_i32_f32_e32 v20, v0
	v_add_f32_e32 v8, v45, v8
	v_cvt_f32_i32_dpp v15, v17 row_shr:2 row_mask:0xf bank_mask:0xf bound_ctrl:1
	v_add_f32_e32 v6, v31, v6
	v_cvt_i32_f32_e32 v17, v8
	v_cvt_i32_f32_e32 v19, v6
	v_add_f32_e32 v12, v12, v15
	v_cvt_f32_i32_dpp v20, v20 row_bcast:15 row_mask:0xf bank_mask:0xf bound_ctrl:1
	v_cvt_f32_i32_dpp v17, v17 row_shr:4 row_mask:0xf bank_mask:0xf bound_ctrl:1
	v_cvt_f32_i32_dpp v15, v19 row_shr:4 row_mask:0xf bank_mask:0xf bound_ctrl:1
	v_cvt_i32_f32_e32 v19, v12
	v_add_f32_e32 v21, v0, v20
	v_add_f32_e32 v8, v8, v17
	;; [unrolled: 1-line block ×3, first 2 shown]
	v_cvt_i32_f32_e32 v17, v8
	v_cvt_i32_f32_e32 v15, v6
	v_cvt_f32_i32_dpp v19, v19 row_shr:1 row_mask:0xf bank_mask:0xf bound_ctrl:1
	v_cvt_f32_i32_dpp v17, v17 row_shr:2 row_mask:0xf bank_mask:0xf bound_ctrl:1
	;; [unrolled: 1-line block ×3, first 2 shown]
	v_add_f32_e32 v12, v12, v19
	v_cvt_i32_f32_e32 v19, v12
	v_add_f32_e32 v8, v8, v17
	v_add_f32_e32 v6, v6, v15
	v_cvt_i32_f32_e32 v17, v8
	v_cvt_i32_f32_e32 v15, v6
	s_nop 0
	v_cvt_f32_i32_dpp v17, v17 row_shr:1 row_mask:0xf bank_mask:0xf bound_ctrl:1
	v_cvt_f32_i32_dpp v0, v15 row_shr:1 row_mask:0xf bank_mask:0xf bound_ctrl:1
	v_cvt_f32_i32_dpp v15, v19 row_bcast:15 row_mask:0xf bank_mask:0xf bound_ctrl:1
	v_cvt_i32_f32_e32 v19, v21
	v_add_f32_e32 v8, v8, v17
	v_add_f32_e32 v0, v6, v0
	v_cvt_i32_f32_e32 v17, v8
	v_cvt_i32_f32_e32 v6, v0
	v_add_f32_e32 v20, v12, v15
	v_cvt_i32_f32_e32 v15, v20
	v_cvt_f32_i32_dpp v17, v17 row_bcast:15 row_mask:0xf bank_mask:0xf bound_ctrl:1
	v_cvt_f32_i32_dpp v6, v6 row_bcast:15 row_mask:0xf bank_mask:0xf bound_ctrl:1
	v_mov_b32_dpp v23, v19 row_bcast:31 row_mask:0xf bank_mask:0xf bound_ctrl:1
	v_mov_b32_dpp v22, v15 row_bcast:31 row_mask:0xf bank_mask:0xf bound_ctrl:1
	v_add_f32_e32 v17, v8, v17
	v_add_f32_e32 v12, v0, v6
	v_cvt_i32_f32_e32 v8, v17
	v_cvt_i32_f32_e32 v0, v12
	s_nop 0
	v_mov_b32_dpp v19, v8 row_bcast:31 row_mask:0xf bank_mask:0xf bound_ctrl:1
	v_mov_b32_dpp v15, v0 row_bcast:31 row_mask:0xf bank_mask:0xf bound_ctrl:1
	s_and_saveexec_b64 s[36:37], s[0:1]
	s_cbranch_execz .LBB49_42
; %bb.31:                               ;   in Loop: Header=BB49_12 Depth=1
	s_and_b64 vcc, exec, s[6:7]
	v_mov_b32_e32 v31, 0
	v_add_u32_e32 v8, 2, v30
	v_add_u32_e32 v6, 3, v30
	v_mov_b32_e32 v29, 0
	v_mov_b32_e32 v28, 0
	;; [unrolled: 1-line block ×3, first 2 shown]
	s_waitcnt vmcnt(3)
	v_mov_b32_e32 v27, 0
	s_waitcnt vmcnt(2)
	v_mov_b32_e32 v26, 0
	;; [unrolled: 2-line block ×4, first 2 shown]
	s_cbranch_vccnz .LBB49_33
; %bb.32:                               ;   in Loop: Header=BB49_12 Depth=1
	v_mul_hi_u32 v0, v30, v41
	v_mul_lo_u32 v0, v0, s16
	v_sub_u32_e32 v0, v30, v0
	v_subrev_u32_e32 v24, s16, v0
	v_cmp_le_u32_e32 vcc, s16, v0
	v_mov_b32_e32 v27, v1
	v_mov_b32_e32 v29, v1
	v_cndmask_b32_e32 v0, v0, v24, vcc
	v_subrev_u32_e32 v24, s16, v0
	v_cmp_le_u32_e32 vcc, s16, v0
	s_nop 1
	v_cndmask_b32_e32 v0, v0, v24, vcc
	v_add_u32_e32 v24, 1, v30
	v_mul_hi_u32 v25, v24, v41
	v_mul_lo_u32 v25, v25, s16
	v_sub_u32_e32 v24, v24, v25
	v_subrev_u32_e32 v25, s16, v24
	v_cmp_le_u32_e32 vcc, s16, v24
	v_lshl_add_u64 v[32:33], v[0:1], 1, s[22:23]
	v_add_u32_e32 v0, s17, v0
	v_cndmask_b32_e32 v24, v24, v25, vcc
	v_subrev_u32_e32 v25, s16, v24
	v_cmp_le_u32_e32 vcc, s16, v24
	v_lshl_add_u64 v[46:47], v[0:1], 1, s[22:23]
	s_nop 0
	v_cndmask_b32_e32 v24, v24, v25, vcc
	v_mov_b32_e32 v25, v1
	v_lshl_add_u64 v[34:35], v[24:25], 1, s[22:23]
	v_mul_hi_u32 v25, v8, v41
	v_mul_lo_u32 v25, v25, s16
	v_sub_u32_e32 v25, v8, v25
	v_subrev_u32_e32 v26, s16, v25
	v_cmp_le_u32_e32 vcc, s16, v25
	v_add_u32_e32 v0, s17, v24
	v_lshl_add_u64 v[48:49], v[0:1], 1, s[22:23]
	v_cndmask_b32_e32 v25, v25, v26, vcc
	v_subrev_u32_e32 v26, s16, v25
	v_cmp_le_u32_e32 vcc, s16, v25
	s_nop 1
	v_cndmask_b32_e32 v26, v25, v26, vcc
	v_mul_hi_u32 v25, v6, v41
	v_mul_lo_u32 v25, v25, s16
	v_sub_u32_e32 v25, v6, v25
	v_lshl_add_u64 v[36:37], v[26:27], 1, s[22:23]
	v_subrev_u32_e32 v27, s16, v25
	v_cmp_le_u32_e32 vcc, s16, v25
	v_add_u32_e32 v0, s17, v26
	v_lshl_add_u64 v[50:51], v[0:1], 1, s[22:23]
	v_cndmask_b32_e32 v25, v25, v27, vcc
	v_subrev_u32_e32 v27, s16, v25
	v_cmp_le_u32_e32 vcc, s16, v25
	s_nop 1
	v_cndmask_b32_e32 v28, v25, v27, vcc
	v_add_u32_e32 v0, s17, v28
	v_lshl_add_u64 v[38:39], v[28:29], 1, s[22:23]
	v_lshl_add_u64 v[52:53], v[0:1], 1, s[22:23]
	global_load_ushort v31, v[32:33], off
	global_load_ushort v29, v[34:35], off
	;; [unrolled: 1-line block ×8, first 2 shown]
.LBB49_33:                              ;   in Loop: Header=BB49_12 Depth=1
	v_cmp_ne_u32_e32 vcc, 0, v2
	s_and_saveexec_b64 s[8:9], vcc
	s_cbranch_execnz .LBB49_47
; %bb.34:                               ;   in Loop: Header=BB49_12 Depth=1
	s_or_b64 exec, exec, s[8:9]
	v_cmp_ne_u32_e64 s[8:9], 0, v3
	s_and_saveexec_b64 s[10:11], s[8:9]
	s_cbranch_execnz .LBB49_48
.LBB49_35:                              ;   in Loop: Header=BB49_12 Depth=1
	s_or_b64 exec, exec, s[10:11]
	v_cmp_ne_u32_e64 s[10:11], 0, v4
	s_and_saveexec_b64 s[12:13], s[10:11]
	s_cbranch_execnz .LBB49_49
.LBB49_36:                              ;   in Loop: Header=BB49_12 Depth=1
	s_or_b64 exec, exec, s[12:13]
	v_cmp_ne_u32_e64 s[12:13], 0, v5
	s_and_saveexec_b64 s[38:39], s[12:13]
	s_cbranch_execnz .LBB49_50
.LBB49_37:                              ;   in Loop: Header=BB49_12 Depth=1
	s_or_b64 exec, exec, s[38:39]
	s_waitcnt vmcnt(4)
	v_add_u32_e32 v0, s27, v30
	s_and_saveexec_b64 s[38:39], vcc
	s_cbranch_execnz .LBB49_51
.LBB49_38:                              ;   in Loop: Header=BB49_12 Depth=1
	s_or_b64 exec, exec, s[38:39]
	s_and_saveexec_b64 s[38:39], s[8:9]
	s_cbranch_execnz .LBB49_52
.LBB49_39:                              ;   in Loop: Header=BB49_12 Depth=1
	s_or_b64 exec, exec, s[38:39]
	s_and_saveexec_b64 s[8:9], s[10:11]
	s_cbranch_execnz .LBB49_53
.LBB49_40:                              ;   in Loop: Header=BB49_12 Depth=1
	s_or_b64 exec, exec, s[8:9]
	s_and_b64 exec, exec, s[12:13]
	s_cbranch_execz .LBB49_42
.LBB49_41:                              ;   in Loop: Header=BB49_12 Depth=1
	v_cvt_f32_i32_e32 v6, v15
	s_waitcnt vmcnt(0)
	v_cvt_f32_f16_e32 v7, v24
	v_add_u32_e32 v0, 3, v0
	v_add_f32_e32 v6, v12, v6
	v_add_f32_e32 v6, v6, v7
	v_cvt_f16_f32_e32 v8, v6
	v_lshl_add_u64 v[6:7], v[0:1], 1, s[14:15]
	global_store_short v[6:7], v8, off
.LBB49_42:                              ;   in Loop: Header=BB49_12 Depth=1
	s_or_b64 exec, exec, s[36:37]
	v_add_u32_e32 v30, s44, v30
	v_add_u32_e32 v0, 4, v30
	v_cmp_gt_u32_e32 vcc, s27, v30
	v_cmp_le_u32_e64 s[8:9], s27, v0
	s_and_b64 s[8:9], vcc, s[8:9]
	s_and_saveexec_b64 s[10:11], s[8:9]
	s_cbranch_execz .LBB49_10
; %bb.43:                               ;   in Loop: Header=BB49_12 Depth=1
	v_cmp_ne_u32_e32 vcc, s45, v30
	s_and_saveexec_b64 s[12:13], vcc
	s_cbranch_execz .LBB49_9
; %bb.44:                               ;   in Loop: Header=BB49_12 Depth=1
	v_subrev_u32_e32 v0, s45, v30
	v_cmp_lt_u32_e32 vcc, 1, v0
	s_mov_b64 s[36:37], 0
	s_mov_b64 s[38:39], 0
	v_cndmask_b32_e32 v0, 1, v0, vcc
.LBB49_45:                              ;   Parent Loop BB49_12 Depth=1
                                        ; =>  This Inner Loop Header: Depth=2
	s_cmp_lg_u32 s38, 3
	s_cselect_b64 vcc, -1, 0
	s_cmp_lg_u32 s38, 2
	v_cndmask_b32_e32 v5, 0, v5, vcc
	s_cselect_b64 vcc, -1, 0
	s_cmp_lg_u32 s38, 1
	v_cndmask_b32_e32 v4, 0, v4, vcc
	;; [unrolled: 3-line block ×3, first 2 shown]
	s_cselect_b64 vcc, -1, 0
	s_add_u32 s38, s38, 1
	s_addc_u32 s39, s39, 0
	v_cmp_eq_u32_e64 s[8:9], s38, v0
	s_or_b64 s[36:37], s[8:9], s[36:37]
	v_cndmask_b32_e32 v2, 0, v2, vcc
	s_andn2_b64 exec, exec, s[36:37]
	s_cbranch_execnz .LBB49_45
; %bb.46:                               ;   in Loop: Header=BB49_12 Depth=1
	s_or_b64 exec, exec, s[36:37]
	s_branch .LBB49_9
.LBB49_47:                              ;   in Loop: Header=BB49_12 Depth=1
	v_cvt_f32_i32_e32 v14, v14
	s_waitcnt vmcnt(7)
	v_cvt_f32_f16_e32 v31, v31
	v_add_f32_e32 v11, v11, v14
	v_add_f32_e32 v11, v11, v31
	v_cvt_f16_f32_e32 v11, v11
	v_mov_b32_e32 v31, v1
	v_lshl_add_u64 v[32:33], v[30:31], 1, s[14:15]
	global_store_short v[32:33], v11, off
	s_or_b64 exec, exec, s[8:9]
	v_cmp_ne_u32_e64 s[8:9], 0, v3
	s_and_saveexec_b64 s[10:11], s[8:9]
	s_cbranch_execz .LBB49_35
.LBB49_48:                              ;   in Loop: Header=BB49_12 Depth=1
	v_cvt_f32_i32_e32 v11, v16
	s_waitcnt vmcnt(6)
	v_cvt_f32_f16_e32 v14, v29
	v_mov_b32_e32 v31, v1
	v_lshl_add_u64 v[32:33], v[30:31], 1, s[30:31]
	v_add_f32_e32 v7, v7, v11
	v_add_f32_e32 v7, v7, v14
	v_cvt_f16_f32_e32 v7, v7
	global_store_short v[32:33], v7, off
	s_or_b64 exec, exec, s[10:11]
	v_cmp_ne_u32_e64 s[10:11], 0, v4
	s_and_saveexec_b64 s[12:13], s[10:11]
	s_cbranch_execz .LBB49_36
.LBB49_49:                              ;   in Loop: Header=BB49_12 Depth=1
	v_cvt_f32_i32_e32 v7, v18
	s_waitcnt vmcnt(5)
	v_cvt_f32_f16_e32 v11, v28
	v_add_f32_e32 v7, v9, v7
	v_add_f32_e32 v7, v7, v11
	v_cvt_f16_f32_e32 v7, v7
	v_mov_b32_e32 v9, v1
	v_lshl_add_u64 v[8:9], v[8:9], 1, s[14:15]
	global_store_short v[8:9], v7, off
	s_or_b64 exec, exec, s[12:13]
	v_cmp_ne_u32_e64 s[12:13], 0, v5
	s_and_saveexec_b64 s[38:39], s[12:13]
	s_cbranch_execz .LBB49_37
.LBB49_50:                              ;   in Loop: Header=BB49_12 Depth=1
	v_cvt_f32_i32_e32 v7, v13
	s_waitcnt vmcnt(4)
	v_cvt_f32_f16_e32 v0, v0
	v_add_f32_e32 v7, v10, v7
	v_add_f32_e32 v0, v7, v0
	v_cvt_f16_f32_e32 v0, v0
	v_mov_b32_e32 v7, v1
	v_lshl_add_u64 v[6:7], v[6:7], 1, s[14:15]
	global_store_short v[6:7], v0, off
	s_or_b64 exec, exec, s[38:39]
	v_add_u32_e32 v0, s27, v30
	s_and_saveexec_b64 s[38:39], vcc
	s_cbranch_execz .LBB49_38
.LBB49_51:                              ;   in Loop: Header=BB49_12 Depth=1
	v_cvt_f32_i32_e32 v6, v23
	s_waitcnt vmcnt(3)
	v_cvt_f32_f16_e32 v7, v27
	v_add_f32_e32 v6, v21, v6
	v_add_f32_e32 v6, v6, v7
	v_cvt_f16_f32_e32 v8, v6
	v_lshl_add_u64 v[6:7], v[0:1], 1, s[14:15]
	global_store_short v[6:7], v8, off
	s_or_b64 exec, exec, s[38:39]
	s_and_saveexec_b64 s[38:39], s[8:9]
	s_cbranch_execz .LBB49_39
.LBB49_52:                              ;   in Loop: Header=BB49_12 Depth=1
	v_cvt_f32_i32_e32 v6, v22
	s_waitcnt vmcnt(2)
	v_cvt_f32_f16_e32 v7, v26
	v_add_f32_e32 v6, v20, v6
	v_add_f32_e32 v6, v6, v7
	v_cvt_f16_f32_e32 v8, v6
	v_add_u32_e32 v6, 1, v0
	v_mov_b32_e32 v7, v1
	v_lshl_add_u64 v[6:7], v[6:7], 1, s[14:15]
	global_store_short v[6:7], v8, off
	s_or_b64 exec, exec, s[38:39]
	s_and_saveexec_b64 s[8:9], s[10:11]
	s_cbranch_execz .LBB49_40
.LBB49_53:                              ;   in Loop: Header=BB49_12 Depth=1
	v_cvt_f32_i32_e32 v6, v19
	s_waitcnt vmcnt(1)
	v_cvt_f32_f16_e32 v7, v25
	v_add_f32_e32 v6, v17, v6
	v_add_f32_e32 v6, v6, v7
	v_cvt_f16_f32_e32 v8, v6
	v_add_u32_e32 v6, 2, v0
	v_mov_b32_e32 v7, v1
	v_lshl_add_u64 v[6:7], v[6:7], 1, s[14:15]
	global_store_short v[6:7], v8, off
	s_or_b64 exec, exec, s[8:9]
	s_and_b64 exec, exec, s[12:13]
	s_cbranch_execnz .LBB49_41
	s_branch .LBB49_42
.LBB49_54:
	s_endpgm
	.section	.rodata,"a",@progbits
	.p2align	6, 0x0
	.amdhsa_kernel _Z16wvSplitK_hf_big_I6__halfLi32ELi4ELi16ELi8ELi1ELi2EEviiiiiiPKT_S3_S3_PS1_ii
		.amdhsa_group_segment_fixed_size 65536
		.amdhsa_private_segment_fixed_size 0
		.amdhsa_kernarg_size 64
		.amdhsa_user_sgpr_count 2
		.amdhsa_user_sgpr_dispatch_ptr 0
		.amdhsa_user_sgpr_queue_ptr 0
		.amdhsa_user_sgpr_kernarg_segment_ptr 1
		.amdhsa_user_sgpr_dispatch_id 0
		.amdhsa_user_sgpr_kernarg_preload_length 0
		.amdhsa_user_sgpr_kernarg_preload_offset 0
		.amdhsa_user_sgpr_private_segment_size 0
		.amdhsa_uses_dynamic_stack 0
		.amdhsa_enable_private_segment 0
		.amdhsa_system_sgpr_workgroup_id_x 1
		.amdhsa_system_sgpr_workgroup_id_y 0
		.amdhsa_system_sgpr_workgroup_id_z 0
		.amdhsa_system_sgpr_workgroup_info 0
		.amdhsa_system_vgpr_workitem_id 1
		.amdhsa_next_free_vgpr 54
		.amdhsa_next_free_sgpr 50
		.amdhsa_accum_offset 56
		.amdhsa_reserve_vcc 1
		.amdhsa_float_round_mode_32 0
		.amdhsa_float_round_mode_16_64 0
		.amdhsa_float_denorm_mode_32 3
		.amdhsa_float_denorm_mode_16_64 3
		.amdhsa_dx10_clamp 1
		.amdhsa_ieee_mode 1
		.amdhsa_fp16_overflow 0
		.amdhsa_tg_split 0
		.amdhsa_exception_fp_ieee_invalid_op 0
		.amdhsa_exception_fp_denorm_src 0
		.amdhsa_exception_fp_ieee_div_zero 0
		.amdhsa_exception_fp_ieee_overflow 0
		.amdhsa_exception_fp_ieee_underflow 0
		.amdhsa_exception_fp_ieee_inexact 0
		.amdhsa_exception_int_div_zero 0
	.end_amdhsa_kernel
	.section	.text._Z16wvSplitK_hf_big_I6__halfLi32ELi4ELi16ELi8ELi1ELi2EEviiiiiiPKT_S3_S3_PS1_ii,"axG",@progbits,_Z16wvSplitK_hf_big_I6__halfLi32ELi4ELi16ELi8ELi1ELi2EEviiiiiiPKT_S3_S3_PS1_ii,comdat
.Lfunc_end49:
	.size	_Z16wvSplitK_hf_big_I6__halfLi32ELi4ELi16ELi8ELi1ELi2EEviiiiiiPKT_S3_S3_PS1_ii, .Lfunc_end49-_Z16wvSplitK_hf_big_I6__halfLi32ELi4ELi16ELi8ELi1ELi2EEviiiiiiPKT_S3_S3_PS1_ii
                                        ; -- End function
	.section	.AMDGPU.csdata,"",@progbits
; Kernel info:
; codeLenInByte = 3532
; NumSgprs: 56
; NumVgprs: 54
; NumAgprs: 0
; TotalNumVgprs: 54
; ScratchSize: 0
; MemoryBound: 0
; FloatMode: 240
; IeeeMode: 1
; LDSByteSize: 65536 bytes/workgroup (compile time only)
; SGPRBlocks: 6
; VGPRBlocks: 6
; NumSGPRsForWavesPerEU: 56
; NumVGPRsForWavesPerEU: 54
; AccumOffset: 56
; Occupancy: 2
; WaveLimiterHint : 0
; COMPUTE_PGM_RSRC2:SCRATCH_EN: 0
; COMPUTE_PGM_RSRC2:USER_SGPR: 2
; COMPUTE_PGM_RSRC2:TRAP_HANDLER: 0
; COMPUTE_PGM_RSRC2:TGID_X_EN: 1
; COMPUTE_PGM_RSRC2:TGID_Y_EN: 0
; COMPUTE_PGM_RSRC2:TGID_Z_EN: 0
; COMPUTE_PGM_RSRC2:TIDIG_COMP_CNT: 1
; COMPUTE_PGM_RSRC3_GFX90A:ACCUM_OFFSET: 13
; COMPUTE_PGM_RSRC3_GFX90A:TG_SPLIT: 0
	.section	.text._Z16wvSplitK_hf_sml_I6__halfLi32ELi4ELi16ELi8ELi2ELi2EEviiiiiiPKT_S3_S3_PS1_ii,"axG",@progbits,_Z16wvSplitK_hf_sml_I6__halfLi32ELi4ELi16ELi8ELi2ELi2EEviiiiiiPKT_S3_S3_PS1_ii,comdat
	.protected	_Z16wvSplitK_hf_sml_I6__halfLi32ELi4ELi16ELi8ELi2ELi2EEviiiiiiPKT_S3_S3_PS1_ii ; -- Begin function _Z16wvSplitK_hf_sml_I6__halfLi32ELi4ELi16ELi8ELi2ELi2EEviiiiiiPKT_S3_S3_PS1_ii
	.globl	_Z16wvSplitK_hf_sml_I6__halfLi32ELi4ELi16ELi8ELi2ELi2EEviiiiiiPKT_S3_S3_PS1_ii
	.p2align	8
	.type	_Z16wvSplitK_hf_sml_I6__halfLi32ELi4ELi16ELi8ELi2ELi2EEviiiiiiPKT_S3_S3_PS1_ii,@function
_Z16wvSplitK_hf_sml_I6__halfLi32ELi4ELi16ELi8ELi2ELi2EEviiiiiiPKT_S3_S3_PS1_ii: ; @_Z16wvSplitK_hf_sml_I6__halfLi32ELi4ELi16ELi8ELi2ELi2EEviiiiiiPKT_S3_S3_PS1_ii
; %bb.0:
	s_load_dwordx4 s[4:7], s[0:1], 0x0
	v_and_b32_e32 v4, 0x3ff, v0
	v_bfe_u32 v5, v0, 10, 10
	v_lshlrev_b32_e32 v60, 3, v4
	v_lshl_add_u32 v6, v5, 8, v60
	s_waitcnt lgkmcnt(0)
	s_lshl_b32 s6, s6, 1
	s_min_u32 s3, s6, 0x8000
	v_cmp_gt_u32_e32 vcc, s3, v6
	s_and_saveexec_b64 s[8:9], vcc
	s_cbranch_execz .LBB50_9
; %bb.1:
	s_load_dwordx2 s[10:11], s[0:1], 0x20
	v_lshlrev_b32_e32 v0, 1, v6
	v_add_u32_e32 v1, 0x1000, v6
	v_cmp_gt_u32_e32 vcc, s3, v1
	s_waitcnt lgkmcnt(0)
	global_load_dwordx4 v[8:11], v0, s[10:11]
	s_waitcnt vmcnt(0)
	ds_write_b128 v0, v[8:11]
	s_and_saveexec_b64 s[12:13], vcc
	s_xor_b64 s[12:13], exec, s[12:13]
	s_cbranch_execz .LBB50_9
; %bb.2:
	v_mov_b32_e32 v1, 0
	v_lshl_add_u64 v[2:3], s[10:11], 0, v[0:1]
	v_add_co_u32_e32 v8, vcc, 0x2000, v2
	v_add_u32_e32 v1, 0x2000, v6
	s_nop 0
	v_addc_co_u32_e32 v9, vcc, 0, v3, vcc
	global_load_dwordx4 v[8:11], v[8:9], off
	v_cmp_gt_u32_e32 vcc, s3, v1
	s_waitcnt vmcnt(0)
	ds_write_b128 v0, v[8:11] offset:8192
	s_and_saveexec_b64 s[10:11], vcc
	s_xor_b64 s[10:11], exec, s[10:11]
	s_cbranch_execz .LBB50_9
; %bb.3:
	v_add_co_u32_e32 v8, vcc, 0x4000, v2
	v_add_u32_e32 v1, 0x3000, v6
	s_nop 0
	v_addc_co_u32_e32 v9, vcc, 0, v3, vcc
	global_load_dwordx4 v[8:11], v[8:9], off
	v_cmp_gt_u32_e32 vcc, s3, v1
	s_waitcnt vmcnt(0)
	ds_write_b128 v0, v[8:11] offset:16384
	s_and_saveexec_b64 s[10:11], vcc
	s_xor_b64 s[10:11], exec, s[10:11]
	s_cbranch_execz .LBB50_9
; %bb.4:
	v_add_co_u32_e32 v8, vcc, 0x6000, v2
	v_add_u32_e32 v1, 0x4000, v6
	s_nop 0
	v_addc_co_u32_e32 v9, vcc, 0, v3, vcc
	global_load_dwordx4 v[8:11], v[8:9], off
	v_cmp_gt_u32_e32 vcc, s3, v1
	s_waitcnt vmcnt(0)
	ds_write_b128 v0, v[8:11] offset:24576
	s_and_saveexec_b64 s[10:11], vcc
	s_xor_b64 s[10:11], exec, s[10:11]
	s_cbranch_execz .LBB50_9
; %bb.5:
	v_add_co_u32_e32 v8, vcc, 0x8000, v2
	v_add_u32_e32 v1, 0x5000, v6
	s_nop 0
	v_addc_co_u32_e32 v9, vcc, 0, v3, vcc
	global_load_dwordx4 v[8:11], v[8:9], off
	v_cmp_gt_u32_e32 vcc, s3, v1
	s_waitcnt vmcnt(0)
	ds_write_b128 v0, v[8:11] offset:32768
	s_and_saveexec_b64 s[10:11], vcc
	s_xor_b64 s[10:11], exec, s[10:11]
	s_cbranch_execz .LBB50_9
; %bb.6:
	v_add_co_u32_e32 v8, vcc, 0xa000, v2
	v_add_u32_e32 v1, 0x6000, v6
	s_nop 0
	v_addc_co_u32_e32 v9, vcc, 0, v3, vcc
	global_load_dwordx4 v[8:11], v[8:9], off
	v_cmp_gt_u32_e32 vcc, s3, v1
	s_waitcnt vmcnt(0)
	ds_write_b128 v0, v[8:11] offset:40960
	s_and_saveexec_b64 s[10:11], vcc
	s_xor_b64 s[10:11], exec, s[10:11]
	s_cbranch_execz .LBB50_9
; %bb.7:
	v_add_co_u32_e32 v8, vcc, 0xc000, v2
	v_add_u32_e32 v1, 0x7000, v6
	s_nop 0
	v_addc_co_u32_e32 v9, vcc, 0, v3, vcc
	global_load_dwordx4 v[8:11], v[8:9], off
	v_cmp_gt_u32_e32 vcc, s3, v1
	s_waitcnt vmcnt(0)
	ds_write_b128 v0, v[8:11] offset:49152
	s_and_saveexec_b64 s[10:11], vcc
	s_xor_b64 s[10:11], exec, s[10:11]
	s_cbranch_execz .LBB50_9
; %bb.8:
	v_add_co_u32_e32 v2, vcc, 0xe000, v2
	s_nop 1
	v_addc_co_u32_e32 v3, vcc, 0, v3, vcc
	global_load_dwordx4 v[6:9], v[2:3], off
	s_waitcnt vmcnt(0)
	ds_write_b128 v0, v[6:9] offset:57344
.LBB50_9:
	s_or_b64 exec, exec, s[8:9]
	s_load_dwordx2 s[16:17], s[0:1], 0x38
	s_waitcnt lgkmcnt(0)
	s_barrier
	v_cmp_gt_u32_e32 vcc, s16, v5
	s_and_saveexec_b64 s[8:9], vcc
	s_cbranch_execz .LBB50_26
; %bb.10:
	s_load_dwordx2 s[12:13], s[0:1], 0x10
	s_mul_i32 s2, s2, s16
	v_add_lshl_u32 v48, s2, v5, 2
	v_cmp_gt_u32_e32 vcc, s7, v48
	s_and_b64 exec, exec, vcc
	s_cbranch_execz .LBB50_26
; %bb.11:
	s_waitcnt lgkmcnt(0)
	v_cvt_f32_u32_e32 v0, s12
	s_load_dwordx4 s[8:11], s[0:1], 0x28
	s_load_dwordx2 s[14:15], s[0:1], 0x18
	s_cmp_lg_u32 s4, 0
	s_cselect_b64 s[2:3], -1, 0
	v_rcp_iflag_f32_e32 v0, v0
	s_add_i32 s24, s4, -8
	s_add_i32 s25, s7, -1
	s_mul_i32 s20, s16, s17
	v_mul_f32_e32 v0, 0x4f7ffffe, v0
	v_cvt_u32_f32_e32 v0, v0
	s_waitcnt lgkmcnt(0)
	s_cmp_lg_u64 s[8:9], 0
	s_cselect_b64 s[18:19], -1, 0
	s_lshl_b32 s26, s20, 2
	s_sub_i32 s20, 0, s12
	s_abs_i32 s13, s13
	v_mul_lo_u32 v1, s20, v0
	s_sub_i32 s20, 1, s13
	s_cmp_lt_u32 s13, 2
	s_cselect_b32 s20, s20, 1
	s_sub_i32 s21, s20, s13
	v_mul_hi_u32 v1, v0, v1
	s_cmp_ge_u32 s20, s13
	v_add_u32_e32 v61, v0, v1
	s_cselect_b32 s13, s21, s20
	v_cndmask_b32_e64 v0, 0, 1, s[2:3]
	v_cmp_eq_u32_e64 s[0:1], 31, v4
	s_mov_b64 s[16:17], 0
	v_mov_b32_e32 v51, 0
	s_mul_i32 s13, s13, s12
	v_lshlrev_b32_e32 v62, 4, v4
	v_cmp_ne_u32_e64 s[2:3], 1, v0
	s_branch .LBB50_14
.LBB50_12:                              ;   in Loop: Header=BB50_14 Depth=1
	v_cvt_f32_i32_e32 v2, v2
	v_cvt_f32_i32_e32 v4, v4
	;; [unrolled: 1-line block ×4, first 2 shown]
	v_add_f32_e32 v0, v0, v2
	v_cvt_f32_i32_e32 v2, v15
	v_add_f32_e32 v1, v1, v4
	v_add_f32_e32 v4, v5, v7
	;; [unrolled: 1-line block ×4, first 2 shown]
	s_waitcnt vmcnt(7)
	v_cvt_f32_f16_e32 v8, v23
	v_cvt_f32_i32_e32 v2, v14
	v_cvt_f32_i32_e32 v6, v13
	v_add_u32_e32 v50, s7, v48
	v_add_f32_e32 v0, v0, v8
	v_add_f32_e32 v9, v9, v2
	;; [unrolled: 1-line block ×3, first 2 shown]
	s_waitcnt vmcnt(6)
	v_cvt_f32_f16_e32 v2, v22
	s_waitcnt vmcnt(5)
	v_cvt_f32_f16_e32 v8, v21
	v_cvt_f16_f32_e32 v10, v0
	s_waitcnt vmcnt(4)
	v_cvt_f32_f16_e32 v0, v20
	v_add_f32_e32 v1, v1, v2
	v_add_f32_e32 v2, v3, v8
	v_cvt_f16_f32_e32 v2, v2
	v_add_f32_e32 v0, v4, v0
	v_cvt_f16_f32_e32 v3, v0
	v_cvt_f16_f32_e32 v4, v1
	s_waitcnt vmcnt(3)
	v_cvt_f32_f16_e32 v8, v19
	v_lshl_add_u64 v[0:1], v[48:49], 1, s[10:11]
	v_pack_b32_f16 v3, v2, v3
	v_pack_b32_f16 v2, v10, v4
	global_store_dwordx2 v[0:1], v[2:3], off
	v_add_f32_e32 v0, v5, v8
	v_cvt_f16_f32_e32 v2, v0
	s_waitcnt vmcnt(3)
	v_cvt_f32_f16_e32 v3, v18
	v_lshl_add_u64 v[0:1], v[50:51], 1, s[10:11]
	v_cvt_f32_i32_e32 v7, v12
	global_store_short v[0:1], v2, off
	v_add_f32_e32 v0, v9, v3
	v_cvt_f16_f32_e32 v2, v0
	s_waitcnt vmcnt(3)
	v_cvt_f32_f16_e32 v3, v17
	v_add_u32_e32 v0, 1, v50
	v_mov_b32_e32 v1, v51
	v_lshl_add_u64 v[0:1], v[0:1], 1, s[10:11]
	global_store_short v[0:1], v2, off
	v_add_f32_e32 v0, v6, v3
	s_waitcnt vmcnt(3)
	v_cvt_f32_f16_e32 v3, v16
	v_add_f32_e32 v7, v11, v7
	v_cvt_f16_f32_e32 v2, v0
	v_add_u32_e32 v0, 2, v50
	v_add_f32_e32 v3, v7, v3
	v_cvt_f16_f32_e32 v3, v3
	v_mov_b32_e32 v1, v51
	v_lshl_add_u64 v[0:1], v[0:1], 1, s[10:11]
	v_add_u32_e32 v50, 3, v50
	global_store_short v[0:1], v2, off
	v_lshl_add_u64 v[0:1], v[50:51], 1, s[10:11]
	global_store_short v[0:1], v3, off
.LBB50_13:                              ;   in Loop: Header=BB50_14 Depth=1
	s_or_b64 exec, exec, s[20:21]
	v_add_u32_e32 v48, s26, v48
	v_cmp_le_u32_e32 vcc, s7, v48
	s_or_b64 s[16:17], vcc, s[16:17]
	s_andn2_b64 exec, exec, s[16:17]
	s_cbranch_execz .LBB50_26
.LBB50_14:                              ; =>This Loop Header: Depth=1
                                        ;     Child Loop BB50_18 Depth 2
	s_mov_b32 s27, 0
	s_and_b64 vcc, exec, s[2:3]
	v_mov_b32_e32 v69, v51
	v_mov_b32_e32 v68, v51
	;; [unrolled: 1-line block ×8, first 2 shown]
	s_cbranch_vccnz .LBB50_21
; %bb.15:                               ;   in Loop: Header=BB50_14 Depth=1
	v_min_u32_e32 v0, s25, v48
	v_mul_lo_u32 v50, v0, s5
	v_or_b32_e32 v0, 1, v48
	v_or_b32_e32 v2, 2, v48
	;; [unrolled: 1-line block ×3, first 2 shown]
	v_min_u32_e32 v0, s25, v0
	v_min_u32_e32 v2, s25, v2
	;; [unrolled: 1-line block ×3, first 2 shown]
	v_mul_lo_u32 v0, v0, s5
	v_mov_b32_e32 v1, v51
	v_mul_lo_u32 v2, v2, s5
	v_mov_b32_e32 v3, v51
	;; [unrolled: 2-line block ×3, first 2 shown]
	v_mov_b32_e32 v49, 0
	v_lshlrev_b64 v[52:53], 1, v[50:51]
	v_lshlrev_b64 v[54:55], 1, v[0:1]
	;; [unrolled: 1-line block ×4, first 2 shown]
	v_mov_b32_e32 v70, v62
	v_mov_b32_e32 v63, 0
	;; [unrolled: 1-line block ×8, first 2 shown]
	s_branch .LBB50_18
.LBB50_16:                              ;   in Loop: Header=BB50_18 Depth=2
	s_or_b64 exec, exec, s[22:23]
.LBB50_17:                              ;   in Loop: Header=BB50_18 Depth=2
	s_or_b64 exec, exec, s[20:21]
	s_waitcnt vmcnt(7) lgkmcnt(1)
	;;#ASMSTART
	v_dot2c_f32_f16 v69, v44, v36
	;;#ASMEND
	s_waitcnt vmcnt(6)
	;;#ASMSTART
	v_dot2c_f32_f16 v68, v44, v32
	;;#ASMEND
	s_waitcnt vmcnt(5)
	;;#ASMSTART
	v_dot2c_f32_f16 v67, v44, v28
	;;#ASMEND
	s_waitcnt vmcnt(4)
	;;#ASMSTART
	v_dot2c_f32_f16 v66, v44, v24
	;;#ASMEND
	s_waitcnt lgkmcnt(0)
	;;#ASMSTART
	v_dot2c_f32_f16 v65, v40, v36
	;;#ASMEND
	;;#ASMSTART
	v_dot2c_f32_f16 v64, v40, v32
	;;#ASMEND
	;;#ASMSTART
	v_dot2c_f32_f16 v63, v40, v28
	;;#ASMEND
	;;#ASMSTART
	v_dot2c_f32_f16 v49, v40, v24
	;;#ASMEND
	;;#ASMSTART
	v_dot2c_f32_f16 v69, v45, v37
	;;#ASMEND
	;;#ASMSTART
	v_dot2c_f32_f16 v68, v45, v33
	;;#ASMEND
	;;#ASMSTART
	v_dot2c_f32_f16 v67, v45, v29
	;;#ASMEND
	;;#ASMSTART
	v_dot2c_f32_f16 v66, v45, v25
	;;#ASMEND
	s_nop 0
	;;#ASMSTART
	v_dot2c_f32_f16 v65, v41, v37
	;;#ASMEND
	;;#ASMSTART
	v_dot2c_f32_f16 v64, v41, v33
	;;#ASMEND
	;;#ASMSTART
	v_dot2c_f32_f16 v63, v41, v29
	;;#ASMEND
	;;#ASMSTART
	v_dot2c_f32_f16 v49, v41, v25
	;;#ASMEND
	;;#ASMSTART
	v_dot2c_f32_f16 v69, v46, v38
	;;#ASMEND
	;;#ASMSTART
	v_dot2c_f32_f16 v68, v46, v34
	;;#ASMEND
	;;#ASMSTART
	v_dot2c_f32_f16 v67, v46, v30
	;;#ASMEND
	;;#ASMSTART
	v_dot2c_f32_f16 v66, v46, v26
	;;#ASMEND
	s_nop 0
	;; [unrolled: 25-line block ×3, first 2 shown]
	;;#ASMSTART
	v_dot2c_f32_f16 v65, v43, v39
	;;#ASMEND
	;;#ASMSTART
	v_dot2c_f32_f16 v64, v43, v35
	;;#ASMEND
	;; [unrolled: 3-line block ×4, first 2 shown]
	s_waitcnt vmcnt(3)
	;;#ASMSTART
	v_dot2c_f32_f16 v69, v20, v16
	;;#ASMEND
	s_waitcnt vmcnt(2)
	;;#ASMSTART
	v_dot2c_f32_f16 v68, v20, v8
	;;#ASMEND
	;; [unrolled: 4-line block ×4, first 2 shown]
	;;#ASMSTART
	v_dot2c_f32_f16 v65, v12, v16
	;;#ASMEND
	;;#ASMSTART
	v_dot2c_f32_f16 v64, v12, v8
	;;#ASMEND
	;; [unrolled: 3-line block ×7, first 2 shown]
	s_nop 0
	;;#ASMSTART
	v_dot2c_f32_f16 v66, v21, v1
	;;#ASMEND
	;;#ASMSTART
	v_dot2c_f32_f16 v65, v13, v17
	;;#ASMEND
	;; [unrolled: 3-line block ×5, first 2 shown]
	s_addk_i32 s27, 0x200
	;;#ASMSTART
	v_dot2c_f32_f16 v69, v22, v18
	;;#ASMEND
	;;#ASMSTART
	v_dot2c_f32_f16 v68, v22, v10
	;;#ASMEND
	;; [unrolled: 3-line block ×8, first 2 shown]
	s_cmp_ge_u32 s27, s4
	v_add_u32_e32 v70, 0x400, v70
	;;#ASMSTART
	v_dot2c_f32_f16 v69, v23, v19
	;;#ASMEND
	;;#ASMSTART
	v_dot2c_f32_f16 v68, v23, v11
	;;#ASMEND
	;; [unrolled: 3-line block ×8, first 2 shown]
	s_cbranch_scc1 .LBB50_21
.LBB50_18:                              ;   Parent Loop BB50_14 Depth=1
                                        ; =>  This Inner Loop Header: Depth=2
	v_add_u32_e32 v20, s27, v60
	v_min_u32_e32 v50, s24, v20
	v_lshl_add_u64 v[0:1], v[50:51], 1, s[14:15]
	v_lshl_add_u64 v[2:3], v[0:1], 0, v[52:53]
	v_add_u32_e32 v71, 0x100, v20
	v_lshl_add_u64 v[4:5], v[0:1], 0, v[54:55]
	global_load_dwordx4 v[36:39], v[2:3], off nt
	global_load_dwordx4 v[32:35], v[4:5], off nt
	v_lshl_add_u64 v[2:3], v[0:1], 0, v[56:57]
	v_lshl_add_u64 v[0:1], v[0:1], 0, v[58:59]
	v_min_u32_e32 v50, s24, v71
	global_load_dwordx4 v[28:31], v[2:3], off nt
	global_load_dwordx4 v[24:27], v[0:1], off nt
	v_lshl_add_u64 v[0:1], v[50:51], 1, s[14:15]
	v_lshl_add_u64 v[2:3], v[0:1], 0, v[52:53]
	;; [unrolled: 1-line block ×4, first 2 shown]
	global_load_dwordx4 v[16:19], v[2:3], off nt
	global_load_dwordx4 v[8:11], v[4:5], off nt
	v_lshl_add_u64 v[14:15], v[0:1], 0, v[58:59]
	global_load_dwordx4 v[4:7], v[12:13], off nt
	global_load_dwordx4 v[0:3], v[14:15], off nt
	v_cmp_gt_u32_e32 vcc, s4, v20
	v_mov_b32_e32 v44, 0
	v_mov_b32_e32 v45, 0
	;; [unrolled: 1-line block ×16, first 2 shown]
	s_and_saveexec_b64 s[20:21], vcc
	s_cbranch_execz .LBB50_17
; %bb.19:                               ;   in Loop: Header=BB50_18 Depth=2
	v_add_u32_e32 v50, s6, v70
	ds_read_b128 v[44:47], v70
	ds_read_b128 v[40:43], v50
	v_cmp_gt_u32_e32 vcc, s4, v71
	v_mov_b32_e32 v15, 0
	v_mov_b32_e32 v14, 0
	;; [unrolled: 1-line block ×8, first 2 shown]
	s_and_saveexec_b64 s[22:23], vcc
	s_cbranch_execz .LBB50_16
; %bb.20:                               ;   in Loop: Header=BB50_18 Depth=2
	ds_read_b128 v[20:23], v70 offset:512
	ds_read_b128 v[12:15], v50 offset:512
	s_branch .LBB50_16
.LBB50_21:                              ;   in Loop: Header=BB50_14 Depth=1
	; sched_barrier mask(0x00000000)
	v_cvt_i32_f32_e32 v0, v69
	v_cvt_i32_f32_e32 v1, v68
	;; [unrolled: 1-line block ×4, first 2 shown]
	v_cvt_f32_i32_dpp v0, v0 row_shr:8 row_mask:0xf bank_mask:0xf bound_ctrl:1
	v_cvt_f32_i32_dpp v1, v1 row_shr:8 row_mask:0xf bank_mask:0xf bound_ctrl:1
	;; [unrolled: 1-line block ×4, first 2 shown]
	v_add_f32_e32 v0, v69, v0
	v_cvt_i32_f32_e32 v4, v0
	v_add_f32_e32 v1, v68, v1
	v_cvt_i32_f32_e32 v5, v1
	v_add_f32_e32 v2, v67, v2
	v_cvt_f32_i32_dpp v4, v4 row_shr:4 row_mask:0xf bank_mask:0xf bound_ctrl:1
	v_cvt_i32_f32_e32 v6, v2
	v_cvt_f32_i32_dpp v5, v5 row_shr:4 row_mask:0xf bank_mask:0xf bound_ctrl:1
	v_add_f32_e32 v3, v66, v3
	v_add_f32_e32 v0, v0, v4
	v_cvt_i32_f32_e32 v4, v0
	v_add_f32_e32 v1, v1, v5
	v_cvt_i32_f32_e32 v5, v1
	v_cvt_f32_i32_dpp v6, v6 row_shr:4 row_mask:0xf bank_mask:0xf bound_ctrl:1
	v_cvt_f32_i32_dpp v4, v4 row_shr:2 row_mask:0xf bank_mask:0xf bound_ctrl:1
	v_cvt_i32_f32_e32 v7, v3
	v_cvt_f32_i32_dpp v5, v5 row_shr:2 row_mask:0xf bank_mask:0xf bound_ctrl:1
	v_add_f32_e32 v2, v2, v6
	v_add_f32_e32 v0, v0, v4
	v_cvt_i32_f32_e32 v4, v0
	v_add_f32_e32 v1, v1, v5
	v_cvt_i32_f32_e32 v5, v1
	v_cvt_i32_f32_e32 v6, v2
	v_cvt_f32_i32_dpp v4, v4 row_shr:1 row_mask:0xf bank_mask:0xf bound_ctrl:1
	v_cvt_f32_i32_dpp v7, v7 row_shr:4 row_mask:0xf bank_mask:0xf bound_ctrl:1
	v_cvt_f32_i32_dpp v5, v5 row_shr:1 row_mask:0xf bank_mask:0xf bound_ctrl:1
	v_cvt_f32_i32_dpp v6, v6 row_shr:2 row_mask:0xf bank_mask:0xf bound_ctrl:1
	v_add_f32_e32 v0, v0, v4
	v_cvt_i32_f32_e32 v4, v0
	v_add_f32_e32 v1, v1, v5
	v_add_f32_e32 v6, v2, v6
	;; [unrolled: 1-line block ×3, first 2 shown]
	v_cvt_f32_i32_dpp v2, v4 row_bcast:15 row_mask:0xf bank_mask:0xf bound_ctrl:1
	v_cvt_i32_f32_e32 v4, v1
	v_cvt_i32_f32_e32 v7, v3
	;; [unrolled: 1-line block ×3, first 2 shown]
	v_add_f32_e32 v0, v0, v2
	v_cvt_f32_i32_dpp v4, v4 row_bcast:15 row_mask:0xf bank_mask:0xf bound_ctrl:1
	v_cvt_f32_i32_dpp v7, v7 row_shr:2 row_mask:0xf bank_mask:0xf bound_ctrl:1
	v_cvt_f32_i32_dpp v5, v5 row_shr:1 row_mask:0xf bank_mask:0xf bound_ctrl:1
	v_cvt_i32_f32_e32 v2, v0
	v_add_f32_e32 v1, v1, v4
	v_cvt_i32_f32_e32 v4, v65
	v_add_f32_e32 v3, v3, v7
	v_add_f32_e32 v5, v6, v5
	v_cvt_i32_f32_e32 v6, v3
	v_cvt_f32_i32_dpp v4, v4 row_shr:8 row_mask:0xf bank_mask:0xf bound_ctrl:1
	v_cvt_i32_f32_e32 v7, v5
	v_cvt_i32_f32_e32 v8, v1
	v_cvt_f32_i32_dpp v6, v6 row_shr:1 row_mask:0xf bank_mask:0xf bound_ctrl:1
	v_add_f32_e32 v9, v65, v4
	v_cvt_i32_f32_e32 v10, v9
	v_cvt_f32_i32_dpp v7, v7 row_bcast:15 row_mask:0xf bank_mask:0xf bound_ctrl:1
	v_add_f32_e32 v6, v3, v6
	v_mov_b32_dpp v4, v8 row_bcast:31 row_mask:0xf bank_mask:0xf bound_ctrl:1
	v_cvt_f32_i32_dpp v8, v10 row_shr:4 row_mask:0xf bank_mask:0xf bound_ctrl:1
	v_cvt_i32_f32_e32 v11, v6
	v_add_f32_e32 v3, v5, v7
	v_cvt_i32_f32_e32 v7, v64
	v_add_f32_e32 v8, v9, v8
	v_cvt_f32_i32_dpp v5, v11 row_bcast:15 row_mask:0xf bank_mask:0xf bound_ctrl:1
	v_cvt_i32_f32_e32 v9, v8
	v_cvt_f32_i32_dpp v7, v7 row_shr:8 row_mask:0xf bank_mask:0xf bound_ctrl:1
	v_cvt_i32_f32_e32 v10, v3
	v_add_f32_e32 v5, v6, v5
	v_cvt_f32_i32_dpp v6, v9 row_shr:2 row_mask:0xf bank_mask:0xf bound_ctrl:1
	v_add_f32_e32 v11, v64, v7
	v_cvt_i32_f32_e32 v7, v11
	v_cvt_i32_f32_e32 v9, v5
	v_add_f32_e32 v8, v8, v6
	v_cvt_i32_f32_e32 v12, v8
	v_mov_b32_dpp v6, v10 row_bcast:31 row_mask:0xf bank_mask:0xf bound_ctrl:1
	v_cvt_f32_i32_dpp v10, v7 row_shr:4 row_mask:0xf bank_mask:0xf bound_ctrl:1
	v_mov_b32_dpp v7, v9 row_bcast:31 row_mask:0xf bank_mask:0xf bound_ctrl:1
	v_cvt_f32_i32_dpp v9, v12 row_shr:1 row_mask:0xf bank_mask:0xf bound_ctrl:1
	v_cvt_i32_f32_e32 v12, v63
	v_add_f32_e32 v10, v11, v10
	v_cvt_i32_f32_e32 v11, v49
	v_add_f32_e32 v8, v8, v9
	v_cvt_f32_i32_dpp v12, v12 row_shr:8 row_mask:0xf bank_mask:0xf bound_ctrl:1
	v_cvt_i32_f32_e32 v13, v10
	v_cvt_f32_i32_dpp v9, v11 row_shr:8 row_mask:0xf bank_mask:0xf bound_ctrl:1
	v_cvt_i32_f32_e32 v15, v8
	v_add_f32_e32 v12, v63, v12
	v_cvt_f32_i32_dpp v11, v13 row_shr:2 row_mask:0xf bank_mask:0xf bound_ctrl:1
	v_add_f32_e32 v9, v49, v9
	v_cvt_i32_f32_e32 v13, v12
	v_cvt_i32_f32_e32 v14, v9
	v_add_f32_e32 v10, v10, v11
	v_cvt_f32_i32_dpp v15, v15 row_bcast:15 row_mask:0xf bank_mask:0xf bound_ctrl:1
	v_cvt_f32_i32_dpp v13, v13 row_shr:4 row_mask:0xf bank_mask:0xf bound_ctrl:1
	v_cvt_f32_i32_dpp v11, v14 row_shr:4 row_mask:0xf bank_mask:0xf bound_ctrl:1
	v_cvt_i32_f32_e32 v14, v10
	v_add_f32_e32 v8, v8, v15
	v_add_f32_e32 v12, v12, v13
	;; [unrolled: 1-line block ×3, first 2 shown]
	v_cvt_i32_f32_e32 v13, v12
	v_cvt_i32_f32_e32 v11, v9
	v_cvt_f32_i32_dpp v14, v14 row_shr:1 row_mask:0xf bank_mask:0xf bound_ctrl:1
	v_cvt_i32_f32_e32 v16, v8
	v_cvt_f32_i32_dpp v13, v13 row_shr:2 row_mask:0xf bank_mask:0xf bound_ctrl:1
	v_cvt_f32_i32_dpp v11, v11 row_shr:2 row_mask:0xf bank_mask:0xf bound_ctrl:1
	v_add_f32_e32 v10, v10, v14
	v_cvt_i32_f32_e32 v14, v10
	v_add_f32_e32 v12, v12, v13
	v_add_f32_e32 v9, v9, v11
	v_cvt_i32_f32_e32 v13, v12
	v_cvt_i32_f32_e32 v11, v9
	v_cvt_f32_i32_dpp v14, v14 row_bcast:15 row_mask:0xf bank_mask:0xf bound_ctrl:1
	v_mov_b32_dpp v2, v2 row_bcast:31 row_mask:0xf bank_mask:0xf bound_ctrl:1
	v_cvt_f32_i32_dpp v13, v13 row_shr:1 row_mask:0xf bank_mask:0xf bound_ctrl:1
	v_cvt_f32_i32_dpp v11, v11 row_shr:1 row_mask:0xf bank_mask:0xf bound_ctrl:1
	v_add_f32_e32 v12, v12, v13
	v_add_f32_e32 v11, v9, v11
	v_cvt_i32_f32_e32 v13, v12
	v_cvt_i32_f32_e32 v15, v11
	v_add_f32_e32 v9, v10, v14
	v_cvt_i32_f32_e32 v17, v9
	v_cvt_f32_i32_dpp v13, v13 row_bcast:15 row_mask:0xf bank_mask:0xf bound_ctrl:1
	v_cvt_f32_i32_dpp v14, v15 row_bcast:15 row_mask:0xf bank_mask:0xf bound_ctrl:1
	v_mov_b32_dpp v15, v16 row_bcast:31 row_mask:0xf bank_mask:0xf bound_ctrl:1
	v_add_f32_e32 v10, v12, v13
	v_add_f32_e32 v11, v11, v14
	v_cvt_i32_f32_e32 v12, v10
	v_cvt_i32_f32_e32 v18, v11
	v_mov_b32_dpp v14, v17 row_bcast:31 row_mask:0xf bank_mask:0xf bound_ctrl:1
	v_mov_b32_dpp v13, v12 row_bcast:31 row_mask:0xf bank_mask:0xf bound_ctrl:1
	;; [unrolled: 1-line block ×3, first 2 shown]
	s_and_saveexec_b64 s[20:21], s[0:1]
	s_cbranch_execz .LBB50_13
; %bb.22:                               ;   in Loop: Header=BB50_14 Depth=1
	s_and_b64 vcc, exec, s[18:19]
	s_cbranch_vccz .LBB50_24
; %bb.23:                               ;   in Loop: Header=BB50_14 Depth=1
	v_mul_hi_u32 v16, v48, v61
	v_mul_lo_u32 v16, v16, s12
	v_sub_u32_e32 v16, v48, v16
	v_subrev_u32_e32 v17, s12, v16
	v_cmp_le_u32_e32 vcc, s12, v16
	v_mov_b32_e32 v19, v51
	v_mov_b32_e32 v21, v51
	v_cndmask_b32_e32 v16, v16, v17, vcc
	v_subrev_u32_e32 v17, s12, v16
	v_cmp_le_u32_e32 vcc, s12, v16
	v_mov_b32_e32 v49, v51
	s_nop 0
	v_cndmask_b32_e32 v50, v16, v17, vcc
	v_or_b32_e32 v16, 1, v48
	v_mul_hi_u32 v17, v16, v61
	v_mul_lo_u32 v17, v17, s12
	v_sub_u32_e32 v16, v16, v17
	v_subrev_u32_e32 v17, s12, v16
	v_cmp_le_u32_e32 vcc, s12, v16
	v_lshl_add_u64 v[24:25], v[50:51], 1, s[8:9]
	v_add_u32_e32 v50, s13, v50
	v_cndmask_b32_e32 v16, v16, v17, vcc
	v_subrev_u32_e32 v17, s12, v16
	v_cmp_le_u32_e32 vcc, s12, v16
	v_lshl_add_u64 v[32:33], v[50:51], 1, s[8:9]
	s_nop 0
	v_cndmask_b32_e32 v16, v16, v17, vcc
	v_mov_b32_e32 v17, v51
	v_lshl_add_u64 v[26:27], v[16:17], 1, s[8:9]
	v_or_b32_e32 v17, 2, v48
	v_mul_hi_u32 v18, v17, v61
	v_mul_lo_u32 v18, v18, s12
	v_sub_u32_e32 v17, v17, v18
	v_subrev_u32_e32 v18, s12, v17
	v_cmp_le_u32_e32 vcc, s12, v17
	v_add_u32_e32 v50, s13, v16
	v_lshl_add_u64 v[34:35], v[50:51], 1, s[8:9]
	v_cndmask_b32_e32 v17, v17, v18, vcc
	v_subrev_u32_e32 v18, s12, v17
	v_cmp_le_u32_e32 vcc, s12, v17
	s_nop 1
	v_cndmask_b32_e32 v18, v17, v18, vcc
	v_or_b32_e32 v17, 3, v48
	v_lshl_add_u64 v[28:29], v[18:19], 1, s[8:9]
	v_mul_hi_u32 v19, v17, v61
	v_mul_lo_u32 v19, v19, s12
	v_sub_u32_e32 v17, v17, v19
	v_subrev_u32_e32 v19, s12, v17
	v_cmp_le_u32_e32 vcc, s12, v17
	v_add_u32_e32 v50, s13, v18
	v_lshl_add_u64 v[36:37], v[50:51], 1, s[8:9]
	v_cndmask_b32_e32 v17, v17, v19, vcc
	v_subrev_u32_e32 v19, s12, v17
	v_cmp_le_u32_e32 vcc, s12, v17
	s_nop 1
	v_cndmask_b32_e32 v20, v17, v19, vcc
	v_add_u32_e32 v50, s13, v20
	v_lshl_add_u64 v[30:31], v[20:21], 1, s[8:9]
	v_lshl_add_u64 v[38:39], v[50:51], 1, s[8:9]
	global_load_ushort v23, v[24:25], off
	global_load_ushort v22, v[26:27], off
	;; [unrolled: 1-line block ×8, first 2 shown]
	s_cbranch_execnz .LBB50_12
	s_branch .LBB50_25
.LBB50_24:                              ;   in Loop: Header=BB50_14 Depth=1
                                        ; implicit-def: $vgpr16
                                        ; implicit-def: $vgpr17
                                        ; implicit-def: $vgpr18
                                        ; implicit-def: $vgpr19
                                        ; implicit-def: $vgpr20
                                        ; implicit-def: $vgpr21
                                        ; implicit-def: $vgpr22
                                        ; implicit-def: $vgpr23
.LBB50_25:                              ;   in Loop: Header=BB50_14 Depth=1
	v_mov_b32_e32 v49, v51
	s_waitcnt vmcnt(7)
	v_mov_b32_e32 v23, 0
	s_waitcnt vmcnt(6)
	;; [unrolled: 2-line block ×8, first 2 shown]
	v_mov_b32_e32 v16, 0
	s_branch .LBB50_12
.LBB50_26:
	s_endpgm
	.section	.rodata,"a",@progbits
	.p2align	6, 0x0
	.amdhsa_kernel _Z16wvSplitK_hf_sml_I6__halfLi32ELi4ELi16ELi8ELi2ELi2EEviiiiiiPKT_S3_S3_PS1_ii
		.amdhsa_group_segment_fixed_size 65536
		.amdhsa_private_segment_fixed_size 0
		.amdhsa_kernarg_size 64
		.amdhsa_user_sgpr_count 2
		.amdhsa_user_sgpr_dispatch_ptr 0
		.amdhsa_user_sgpr_queue_ptr 0
		.amdhsa_user_sgpr_kernarg_segment_ptr 1
		.amdhsa_user_sgpr_dispatch_id 0
		.amdhsa_user_sgpr_kernarg_preload_length 0
		.amdhsa_user_sgpr_kernarg_preload_offset 0
		.amdhsa_user_sgpr_private_segment_size 0
		.amdhsa_uses_dynamic_stack 0
		.amdhsa_enable_private_segment 0
		.amdhsa_system_sgpr_workgroup_id_x 1
		.amdhsa_system_sgpr_workgroup_id_y 0
		.amdhsa_system_sgpr_workgroup_id_z 0
		.amdhsa_system_sgpr_workgroup_info 0
		.amdhsa_system_vgpr_workitem_id 1
		.amdhsa_next_free_vgpr 72
		.amdhsa_next_free_sgpr 28
		.amdhsa_accum_offset 72
		.amdhsa_reserve_vcc 1
		.amdhsa_float_round_mode_32 0
		.amdhsa_float_round_mode_16_64 0
		.amdhsa_float_denorm_mode_32 3
		.amdhsa_float_denorm_mode_16_64 3
		.amdhsa_dx10_clamp 1
		.amdhsa_ieee_mode 1
		.amdhsa_fp16_overflow 0
		.amdhsa_tg_split 0
		.amdhsa_exception_fp_ieee_invalid_op 0
		.amdhsa_exception_fp_denorm_src 0
		.amdhsa_exception_fp_ieee_div_zero 0
		.amdhsa_exception_fp_ieee_overflow 0
		.amdhsa_exception_fp_ieee_underflow 0
		.amdhsa_exception_fp_ieee_inexact 0
		.amdhsa_exception_int_div_zero 0
	.end_amdhsa_kernel
	.section	.text._Z16wvSplitK_hf_sml_I6__halfLi32ELi4ELi16ELi8ELi2ELi2EEviiiiiiPKT_S3_S3_PS1_ii,"axG",@progbits,_Z16wvSplitK_hf_sml_I6__halfLi32ELi4ELi16ELi8ELi2ELi2EEviiiiiiPKT_S3_S3_PS1_ii,comdat
.Lfunc_end50:
	.size	_Z16wvSplitK_hf_sml_I6__halfLi32ELi4ELi16ELi8ELi2ELi2EEviiiiiiPKT_S3_S3_PS1_ii, .Lfunc_end50-_Z16wvSplitK_hf_sml_I6__halfLi32ELi4ELi16ELi8ELi2ELi2EEviiiiiiPKT_S3_S3_PS1_ii
                                        ; -- End function
	.section	.AMDGPU.csdata,"",@progbits
; Kernel info:
; codeLenInByte = 3408
; NumSgprs: 34
; NumVgprs: 72
; NumAgprs: 0
; TotalNumVgprs: 72
; ScratchSize: 0
; MemoryBound: 0
; FloatMode: 240
; IeeeMode: 1
; LDSByteSize: 65536 bytes/workgroup (compile time only)
; SGPRBlocks: 4
; VGPRBlocks: 8
; NumSGPRsForWavesPerEU: 34
; NumVGPRsForWavesPerEU: 72
; AccumOffset: 72
; Occupancy: 2
; WaveLimiterHint : 0
; COMPUTE_PGM_RSRC2:SCRATCH_EN: 0
; COMPUTE_PGM_RSRC2:USER_SGPR: 2
; COMPUTE_PGM_RSRC2:TRAP_HANDLER: 0
; COMPUTE_PGM_RSRC2:TGID_X_EN: 1
; COMPUTE_PGM_RSRC2:TGID_Y_EN: 0
; COMPUTE_PGM_RSRC2:TGID_Z_EN: 0
; COMPUTE_PGM_RSRC2:TIDIG_COMP_CNT: 1
; COMPUTE_PGM_RSRC3_GFX90A:ACCUM_OFFSET: 17
; COMPUTE_PGM_RSRC3_GFX90A:TG_SPLIT: 0
	.section	.text._Z12wvSplitK_hf_I6__halfLi32ELi4ELi16ELi8ELi2ELi2EEviiiiiiPKT_S3_S3_PS1_ii,"axG",@progbits,_Z12wvSplitK_hf_I6__halfLi32ELi4ELi16ELi8ELi2ELi2EEviiiiiiPKT_S3_S3_PS1_ii,comdat
	.protected	_Z12wvSplitK_hf_I6__halfLi32ELi4ELi16ELi8ELi2ELi2EEviiiiiiPKT_S3_S3_PS1_ii ; -- Begin function _Z12wvSplitK_hf_I6__halfLi32ELi4ELi16ELi8ELi2ELi2EEviiiiiiPKT_S3_S3_PS1_ii
	.globl	_Z12wvSplitK_hf_I6__halfLi32ELi4ELi16ELi8ELi2ELi2EEviiiiiiPKT_S3_S3_PS1_ii
	.p2align	8
	.type	_Z12wvSplitK_hf_I6__halfLi32ELi4ELi16ELi8ELi2ELi2EEviiiiiiPKT_S3_S3_PS1_ii,@function
_Z12wvSplitK_hf_I6__halfLi32ELi4ELi16ELi8ELi2ELi2EEviiiiiiPKT_S3_S3_PS1_ii: ; @_Z12wvSplitK_hf_I6__halfLi32ELi4ELi16ELi8ELi2ELi2EEviiiiiiPKT_S3_S3_PS1_ii
; %bb.0:
	s_load_dwordx2 s[8:9], s[0:1], 0x38
	s_load_dwordx2 s[10:11], s[0:1], 0x20
	s_load_dwordx4 s[12:15], s[0:1], 0x0
	s_load_dwordx2 s[20:21], s[0:1], 0x10
	v_bfe_u32 v8, v0, 10, 10
	s_waitcnt lgkmcnt(0)
	s_mul_i32 s2, s2, s8
	v_add_lshl_u32 v54, s2, v8, 2
	s_mov_b32 s4, 1
	v_add_u32_e32 v1, 4, v54
	s_mov_b32 s5, s4
	v_cmp_gt_u32_e32 vcc, s15, v54
	v_cmp_le_u32_e64 s[2:3], s15, v1
	s_mov_b32 s6, s4
	s_mov_b32 s7, s4
	v_mov_b64_e32 v[2:3], s[4:5]
	s_and_b64 s[16:17], vcc, s[2:3]
	v_mov_b64_e32 v[4:5], s[6:7]
	s_and_saveexec_b64 s[2:3], s[16:17]
	s_cbranch_execz .LBB51_6
; %bb.1:
	s_add_i32 s24, s15, -4
	v_mov_b64_e32 v[2:3], s[4:5]
	v_cmp_ne_u32_e32 vcc, s24, v54
	v_mov_b64_e32 v[4:5], s[6:7]
	s_and_saveexec_b64 s[16:17], vcc
	s_cbranch_execz .LBB51_5
; %bb.2:
	v_subrev_u32_e32 v1, s24, v54
	v_cmp_lt_u32_e32 vcc, 1, v1
	s_mov_b64 s[18:19], 0
	s_mov_b64 s[22:23], 0
	v_cndmask_b32_e32 v6, 1, v1, vcc
	s_mov_b32 s5, s4
	s_mov_b32 s6, s4
	;; [unrolled: 1-line block ×3, first 2 shown]
.LBB51_3:                               ; =>This Inner Loop Header: Depth=1
	s_cmp_lg_u32 s22, 3
	s_cselect_b32 s7, s7, 0
	s_cmp_lg_u32 s22, 2
	s_cselect_b32 s6, s6, 0
	;; [unrolled: 2-line block ×4, first 2 shown]
	s_add_u32 s22, s22, 1
	s_addc_u32 s23, s23, 0
	v_cmp_eq_u32_e32 vcc, s22, v6
	v_mov_b64_e32 v[2:3], s[4:5]
	s_or_b64 s[18:19], vcc, s[18:19]
	v_mov_b64_e32 v[4:5], s[6:7]
	s_andn2_b64 exec, exec, s[18:19]
	s_cbranch_execnz .LBB51_3
; %bb.4:
	s_or_b64 exec, exec, s[18:19]
	v_mov_b32_e32 v54, s24
.LBB51_5:
	s_or_b64 exec, exec, s[16:17]
.LBB51_6:
	s_or_b64 exec, exec, s[2:3]
	v_and_b32_e32 v9, 0x3ff, v0
	v_lshlrev_b32_e32 v74, 3, v9
	s_lshl_b32 s2, s14, 1
	v_lshl_add_u32 v10, v8, 8, v74
	s_min_u32 s4, s2, 0x8000
	v_cmp_gt_u32_e32 vcc, s4, v10
	s_and_saveexec_b64 s[2:3], vcc
	s_cbranch_execz .LBB51_15
; %bb.7:
	v_lshlrev_b32_e32 v0, 1, v10
	global_load_dwordx4 v[12:15], v0, s[10:11]
	v_add_u32_e32 v1, 0x1000, v10
	v_cmp_gt_u32_e32 vcc, s4, v1
	s_waitcnt vmcnt(0)
	ds_write_b128 v0, v[12:15]
	s_and_saveexec_b64 s[6:7], vcc
	s_xor_b64 s[6:7], exec, s[6:7]
	s_cbranch_execz .LBB51_15
; %bb.8:
	v_mov_b32_e32 v1, 0
	v_lshl_add_u64 v[6:7], s[10:11], 0, v[0:1]
	v_add_co_u32_e32 v12, vcc, 0x2000, v6
	v_add_u32_e32 v1, 0x2000, v10
	s_nop 0
	v_addc_co_u32_e32 v13, vcc, 0, v7, vcc
	global_load_dwordx4 v[12:15], v[12:13], off
	v_cmp_gt_u32_e32 vcc, s4, v1
	s_waitcnt vmcnt(0)
	ds_write_b128 v0, v[12:15] offset:8192
	s_and_saveexec_b64 s[6:7], vcc
	s_xor_b64 s[6:7], exec, s[6:7]
	s_cbranch_execz .LBB51_15
; %bb.9:
	v_add_co_u32_e32 v12, vcc, 0x4000, v6
	v_add_u32_e32 v1, 0x3000, v10
	s_nop 0
	v_addc_co_u32_e32 v13, vcc, 0, v7, vcc
	global_load_dwordx4 v[12:15], v[12:13], off
	v_cmp_gt_u32_e32 vcc, s4, v1
	s_waitcnt vmcnt(0)
	ds_write_b128 v0, v[12:15] offset:16384
	s_and_saveexec_b64 s[6:7], vcc
	s_xor_b64 s[6:7], exec, s[6:7]
	s_cbranch_execz .LBB51_15
; %bb.10:
	;; [unrolled: 12-line block ×6, first 2 shown]
	v_add_co_u32_e32 v6, vcc, 0xe000, v6
	s_nop 1
	v_addc_co_u32_e32 v7, vcc, 0, v7, vcc
	global_load_dwordx4 v[10:13], v[6:7], off
	s_waitcnt vmcnt(0)
	ds_write_b128 v0, v[10:13] offset:57344
.LBB51_15:
	s_or_b64 exec, exec, s[2:3]
	v_cmp_gt_u32_e32 vcc, s8, v8
	v_cmp_gt_u32_e64 s[2:3], s15, v54
	s_and_b64 s[2:3], vcc, s[2:3]
	s_waitcnt lgkmcnt(0)
	s_barrier
	s_and_saveexec_b64 s[4:5], s[2:3]
	s_cbranch_execz .LBB51_66
; %bb.16:
	v_cvt_f32_u32_e32 v0, s20
	s_load_dwordx4 s[16:19], s[0:1], 0x28
	s_load_dwordx2 s[22:23], s[0:1], 0x18
	s_cmp_lg_u32 s12, 0
	s_cselect_b64 s[2:3], -1, 0
	v_rcp_iflag_f32_e32 v0, v0
	s_add_i32 s33, s12, -8
	s_add_i32 s36, s15, -1
	s_mul_i32 s4, s8, s9
	v_mul_f32_e32 v0, 0x4f7ffffe, v0
	v_cvt_u32_f32_e32 v0, v0
	s_waitcnt lgkmcnt(0)
	s_cmp_lg_u64 s[16:17], 0
	s_cselect_b64 s[26:27], -1, 0
	s_lshl_b32 s37, s4, 2
	s_sub_i32 s4, 0, s20
	v_mul_lo_u32 v1, s4, v0
	s_abs_i32 s4, s21
	s_add_i32 s38, s15, -4
	s_sub_i32 s5, 1, s4
	s_cmp_lt_u32 s4, 2
	s_cselect_b32 s5, s5, 1
	s_sub_i32 s6, s5, s4
	v_mul_hi_u32 v1, v0, v1
	s_cmp_ge_u32 s5, s4
	v_add_u32_e32 v75, v0, v1
	s_cselect_b32 s21, s6, s5
	v_cndmask_b32_e64 v0, 0, 1, s[2:3]
	v_cmp_eq_u32_e64 s[0:1], 31, v9
	s_mov_b64 s[24:25], 0
	v_mov_b32_e32 v1, 0
	s_mul_i32 s21, s21, s20
	v_cmp_ne_u32_e64 s[2:3], 1, v0
	s_movk_i32 s39, 0x7fff
	s_mov_b32 s28, 0
	s_branch .LBB51_19
.LBB51_17:                              ;   in Loop: Header=BB51_19 Depth=1
	s_or_b64 exec, exec, s[8:9]
	v_mov_b32_e32 v54, s38
.LBB51_18:                              ;   in Loop: Header=BB51_19 Depth=1
	s_or_b64 exec, exec, s[6:7]
	v_cmp_le_u32_e32 vcc, s15, v54
	s_or_b64 s[24:25], vcc, s[24:25]
	s_andn2_b64 exec, exec, s[24:25]
	s_cbranch_execz .LBB51_66
.LBB51_19:                              ; =>This Loop Header: Depth=1
                                        ;     Child Loop BB51_24 Depth 2
                                        ;     Child Loop BB51_57 Depth 2
	s_and_b64 vcc, exec, s[2:3]
	v_add_u32_e32 v60, 1, v54
	v_add_u32_e32 v58, 2, v54
	v_add_u32_e32 v56, 3, v54
	v_mov_b32_e32 v79, v1
	v_mov_b32_e32 v78, v1
	v_mov_b32_e32 v77, v1
	v_mov_b32_e32 v76, v1
	v_mov_b32_e32 v61, v1
	v_mov_b32_e32 v59, v1
	v_mov_b32_e32 v57, v1
	v_mov_b32_e32 v55, v1
	s_cbranch_vccnz .LBB51_42
; %bb.20:                               ;   in Loop: Header=BB51_19 Depth=1
	v_min_u32_e32 v0, s36, v54
	v_min_u32_e32 v6, s36, v60
	;; [unrolled: 1-line block ×4, first 2 shown]
	v_mul_lo_u32 v0, v0, s13
	v_mul_lo_u32 v6, v6, s13
	v_mov_b32_e32 v7, v1
	v_mul_lo_u32 v8, v8, s13
	v_mov_b32_e32 v9, v1
	;; [unrolled: 2-line block ×3, first 2 shown]
	v_mov_b32_e32 v55, 0
	v_lshlrev_b64 v[62:63], 1, v[0:1]
	v_lshlrev_b64 v[64:65], 1, v[6:7]
	;; [unrolled: 1-line block ×4, first 2 shown]
	v_mov_b32_e32 v57, 0
	v_mov_b32_e32 v59, 0
	v_mov_b32_e32 v61, 0
	v_mov_b32_e32 v76, 0
	v_mov_b32_e32 v77, 0
	v_mov_b32_e32 v78, 0
	v_mov_b32_e32 v79, 0
	s_mov_b32 s30, s28
	s_branch .LBB51_24
.LBB51_21:                              ;   in Loop: Header=BB51_24 Depth=2
	s_or_b64 exec, exec, s[8:9]
.LBB51_22:                              ;   in Loop: Header=BB51_24 Depth=2
	s_or_b64 exec, exec, s[6:7]
.LBB51_23:                              ;   in Loop: Header=BB51_24 Depth=2
	s_or_b64 exec, exec, s[4:5]
	s_waitcnt vmcnt(0) lgkmcnt(0)
	;;#ASMSTART
	v_dot2c_f32_f16 v79, v46, v34
	;;#ASMEND
	;;#ASMSTART
	v_dot2c_f32_f16 v78, v46, v30
	;;#ASMEND
	;;#ASMSTART
	v_dot2c_f32_f16 v77, v46, v26
	;;#ASMEND
	;;#ASMSTART
	v_dot2c_f32_f16 v76, v46, v22
	;;#ASMEND
	;;#ASMSTART
	v_dot2c_f32_f16 v61, v38, v34
	;;#ASMEND
	;;#ASMSTART
	v_dot2c_f32_f16 v59, v38, v30
	;;#ASMEND
	;;#ASMSTART
	v_dot2c_f32_f16 v57, v38, v26
	;;#ASMEND
	;;#ASMSTART
	v_dot2c_f32_f16 v55, v38, v22
	;;#ASMEND
	s_nop 0
	;;#ASMSTART
	v_dot2c_f32_f16 v79, v47, v35
	;;#ASMEND
	;;#ASMSTART
	v_dot2c_f32_f16 v78, v47, v31
	;;#ASMEND
	;;#ASMSTART
	v_dot2c_f32_f16 v77, v47, v27
	;;#ASMEND
	;;#ASMSTART
	v_dot2c_f32_f16 v76, v47, v23
	;;#ASMEND
	;;#ASMSTART
	v_dot2c_f32_f16 v61, v39, v35
	;;#ASMEND
	;;#ASMSTART
	v_dot2c_f32_f16 v59, v39, v31
	;;#ASMEND
	;;#ASMSTART
	v_dot2c_f32_f16 v57, v39, v27
	;;#ASMEND
	;;#ASMSTART
	v_dot2c_f32_f16 v55, v39, v23
	;;#ASMEND
	s_nop 0
	;; [unrolled: 25-line block ×5, first 2 shown]
	;;#ASMSTART
	v_dot2c_f32_f16 v79, v51, v19
	;;#ASMEND
	;;#ASMSTART
	v_dot2c_f32_f16 v78, v51, v15
	;;#ASMEND
	;;#ASMSTART
	v_dot2c_f32_f16 v77, v51, v11
	;;#ASMEND
	;;#ASMSTART
	v_dot2c_f32_f16 v76, v51, v7
	;;#ASMEND
	;;#ASMSTART
	v_dot2c_f32_f16 v61, v43, v19
	;;#ASMEND
	;;#ASMSTART
	v_dot2c_f32_f16 v59, v43, v15
	;;#ASMEND
	;;#ASMSTART
	v_dot2c_f32_f16 v57, v43, v11
	;;#ASMEND
	;;#ASMSTART
	v_dot2c_f32_f16 v55, v43, v7
	;;#ASMEND
	s_addk_i32 s30, 0x200
	;;#ASMSTART
	v_dot2c_f32_f16 v79, v52, v20
	;;#ASMEND
	;;#ASMSTART
	v_dot2c_f32_f16 v78, v52, v16
	;;#ASMEND
	;; [unrolled: 3-line block ×8, first 2 shown]
	s_cmp_ge_u32 s30, s12
	;;#ASMSTART
	v_dot2c_f32_f16 v79, v53, v21
	;;#ASMEND
	;;#ASMSTART
	v_dot2c_f32_f16 v78, v53, v17
	;;#ASMEND
	;; [unrolled: 3-line block ×8, first 2 shown]
	s_cbranch_scc1 .LBB51_42
.LBB51_24:                              ;   Parent Loop BB51_19 Depth=1
                                        ; =>  This Inner Loop Header: Depth=2
	v_add_u32_e32 v72, s30, v74
	v_min_u32_e32 v0, s33, v72
	v_lshl_add_u64 v[6:7], v[0:1], 1, s[22:23]
	v_lshl_add_u64 v[8:9], v[6:7], 0, v[62:63]
	v_add_u32_e32 v70, 0x100, v72
	v_lshl_add_u64 v[10:11], v[6:7], 0, v[64:65]
	global_load_dwordx4 v[34:37], v[8:9], off nt
	global_load_dwordx4 v[30:33], v[10:11], off nt
	v_lshl_add_u64 v[8:9], v[6:7], 0, v[66:67]
	v_lshl_add_u64 v[6:7], v[6:7], 0, v[68:69]
	v_min_u32_e32 v0, s33, v70
	global_load_dwordx4 v[26:29], v[8:9], off nt
	global_load_dwordx4 v[22:25], v[6:7], off nt
	v_lshl_add_u64 v[6:7], v[0:1], 1, s[22:23]
	v_lshl_add_u64 v[8:9], v[6:7], 0, v[62:63]
	;; [unrolled: 1-line block ×4, first 2 shown]
	global_load_dwordx4 v[18:21], v[8:9], off nt
	global_load_dwordx4 v[14:17], v[10:11], off nt
	v_lshl_add_u64 v[40:41], v[6:7], 0, v[68:69]
	global_load_dwordx4 v[10:13], v[38:39], off nt
	global_load_dwordx4 v[6:9], v[40:41], off nt
	s_mov_b32 s29, s28
	v_cmp_gt_u32_e32 vcc, s12, v72
	v_mov_b64_e32 v[52:53], s[28:29]
	v_mov_b32_e32 v45, 0
	v_mov_b32_e32 v44, 0
	;; [unrolled: 1-line block ×4, first 2 shown]
	v_mov_b64_e32 v[50:51], s[28:29]
	v_mov_b64_e32 v[40:41], s[28:29]
	;; [unrolled: 1-line block ×5, first 2 shown]
	s_and_saveexec_b64 s[4:5], vcc
	s_cbranch_execz .LBB51_23
; %bb.25:                               ;   in Loop: Header=BB51_24 Depth=2
	v_cmp_lt_u32_e32 vcc, s39, v72
                                        ; implicit-def: $vgpr48_vgpr49
	s_and_saveexec_b64 s[6:7], vcc
	s_xor_b64 s[6:7], exec, s[6:7]
	s_cbranch_execz .LBB51_27
; %bb.26:                               ;   in Loop: Header=BB51_24 Depth=2
	v_mov_b32_e32 v73, v1
	v_lshl_add_u64 v[38:39], v[72:73], 1, s[10:11]
	global_load_dwordx4 v[46:49], v[38:39], off
.LBB51_27:                              ;   in Loop: Header=BB51_24 Depth=2
	s_andn2_saveexec_b64 s[6:7], s[6:7]
	s_cbranch_execz .LBB51_29
; %bb.28:                               ;   in Loop: Header=BB51_24 Depth=2
	v_lshlrev_b32_e32 v0, 1, v72
	s_waitcnt vmcnt(0)
	ds_read_b128 v[46:49], v0
.LBB51_29:                              ;   in Loop: Header=BB51_24 Depth=2
	s_or_b64 exec, exec, s[6:7]
	v_add_u32_e32 v0, s14, v72
	v_cmp_lt_u32_e32 vcc, s39, v0
                                        ; implicit-def: $vgpr40_vgpr41
	s_and_saveexec_b64 s[6:7], vcc
	s_xor_b64 s[6:7], exec, s[6:7]
	s_cbranch_execz .LBB51_31
; %bb.30:                               ;   in Loop: Header=BB51_24 Depth=2
	v_lshl_add_u64 v[38:39], v[0:1], 1, s[10:11]
	global_load_dwordx4 v[38:41], v[38:39], off
.LBB51_31:                              ;   in Loop: Header=BB51_24 Depth=2
	s_andn2_saveexec_b64 s[6:7], s[6:7]
	s_cbranch_execz .LBB51_33
; %bb.32:                               ;   in Loop: Header=BB51_24 Depth=2
	s_waitcnt vmcnt(0)
	v_lshlrev_b32_e32 v38, 1, v0
	ds_read_b128 v[38:41], v38
.LBB51_33:                              ;   in Loop: Header=BB51_24 Depth=2
	s_or_b64 exec, exec, s[6:7]
	s_mov_b32 s29, s28
	v_cmp_gt_u32_e32 vcc, s12, v70
	v_mov_b32_e32 v45, 0
	v_mov_b64_e32 v[52:53], s[28:29]
	v_mov_b32_e32 v44, 0
	v_mov_b32_e32 v43, 0
	;; [unrolled: 1-line block ×3, first 2 shown]
	v_mov_b64_e32 v[50:51], s[28:29]
	s_and_saveexec_b64 s[6:7], vcc
	s_cbranch_execz .LBB51_22
; %bb.34:                               ;   in Loop: Header=BB51_24 Depth=2
	v_cmp_lt_u32_e32 vcc, s39, v70
                                        ; implicit-def: $vgpr52_vgpr53
	s_and_saveexec_b64 s[8:9], vcc
	s_xor_b64 s[8:9], exec, s[8:9]
	s_cbranch_execz .LBB51_36
; %bb.35:                               ;   in Loop: Header=BB51_24 Depth=2
	v_mov_b32_e32 v71, v1
	v_lshl_add_u64 v[42:43], v[70:71], 1, s[10:11]
	global_load_dwordx4 v[50:53], v[42:43], off
                                        ; implicit-def: $vgpr72
.LBB51_36:                              ;   in Loop: Header=BB51_24 Depth=2
	s_andn2_saveexec_b64 s[8:9], s[8:9]
	s_cbranch_execz .LBB51_38
; %bb.37:                               ;   in Loop: Header=BB51_24 Depth=2
	v_lshlrev_b32_e32 v42, 1, v72
	s_waitcnt vmcnt(0)
	ds_read_b128 v[50:53], v42 offset:512
.LBB51_38:                              ;   in Loop: Header=BB51_24 Depth=2
	s_or_b64 exec, exec, s[8:9]
	v_add_u32_e32 v42, s14, v70
	v_cmp_lt_u32_e32 vcc, s39, v42
                                        ; implicit-def: $vgpr45
	s_and_saveexec_b64 s[8:9], vcc
	s_xor_b64 s[8:9], exec, s[8:9]
	s_cbranch_execz .LBB51_40
; %bb.39:                               ;   in Loop: Header=BB51_24 Depth=2
	v_mov_b32_e32 v43, v1
	v_lshl_add_u64 v[42:43], v[42:43], 1, s[10:11]
	global_load_dwordx4 v[42:45], v[42:43], off
.LBB51_40:                              ;   in Loop: Header=BB51_24 Depth=2
	s_andn2_saveexec_b64 s[8:9], s[8:9]
	s_cbranch_execz .LBB51_21
; %bb.41:                               ;   in Loop: Header=BB51_24 Depth=2
	v_lshlrev_b32_e32 v0, 1, v0
	s_waitcnt vmcnt(0)
	ds_read_b128 v[42:45], v0 offset:512
	s_branch .LBB51_21
.LBB51_42:                              ;   in Loop: Header=BB51_19 Depth=1
	v_cvt_i32_f32_e32 v0, v79
	v_cvt_i32_f32_e32 v6, v78
	v_cvt_i32_f32_e32 v7, v77
	v_cvt_i32_f32_e32 v8, v76
	v_cvt_f32_i32_dpp v0, v0 row_shr:8 row_mask:0xf bank_mask:0xf bound_ctrl:1
	v_cvt_f32_i32_dpp v6, v6 row_shr:8 row_mask:0xf bank_mask:0xf bound_ctrl:1
	;; [unrolled: 1-line block ×4, first 2 shown]
	v_add_f32_e32 v0, v79, v0
	v_cvt_i32_f32_e32 v9, v0
	v_add_f32_e32 v6, v78, v6
	v_cvt_i32_f32_e32 v10, v6
	v_add_f32_e32 v7, v77, v7
	v_cvt_f32_i32_dpp v9, v9 row_shr:4 row_mask:0xf bank_mask:0xf bound_ctrl:1
	v_cvt_i32_f32_e32 v11, v7
	v_cvt_f32_i32_dpp v10, v10 row_shr:4 row_mask:0xf bank_mask:0xf bound_ctrl:1
	v_add_f32_e32 v8, v76, v8
	v_add_f32_e32 v0, v0, v9
	v_cvt_i32_f32_e32 v9, v0
	v_add_f32_e32 v6, v6, v10
	v_cvt_i32_f32_e32 v10, v6
	v_cvt_f32_i32_dpp v11, v11 row_shr:4 row_mask:0xf bank_mask:0xf bound_ctrl:1
	v_cvt_f32_i32_dpp v9, v9 row_shr:2 row_mask:0xf bank_mask:0xf bound_ctrl:1
	v_cvt_i32_f32_e32 v12, v8
	v_cvt_f32_i32_dpp v10, v10 row_shr:2 row_mask:0xf bank_mask:0xf bound_ctrl:1
	v_add_f32_e32 v7, v7, v11
	v_add_f32_e32 v0, v0, v9
	v_cvt_i32_f32_e32 v9, v0
	v_cvt_i32_f32_e32 v11, v7
	v_add_f32_e32 v6, v6, v10
	v_cvt_i32_f32_e32 v10, v6
	v_cvt_f32_i32_dpp v9, v9 row_shr:1 row_mask:0xf bank_mask:0xf bound_ctrl:1
	v_cvt_f32_i32_dpp v12, v12 row_shr:4 row_mask:0xf bank_mask:0xf bound_ctrl:1
	;; [unrolled: 1-line block ×4, first 2 shown]
	v_add_f32_e32 v0, v0, v9
	v_cvt_i32_f32_e32 v9, v0
	v_add_f32_e32 v8, v8, v12
	v_add_f32_e32 v7, v7, v11
	v_cvt_i32_f32_e32 v12, v8
	v_cvt_f32_i32_dpp v9, v9 row_bcast:15 row_mask:0xf bank_mask:0xf bound_ctrl:1
	v_add_f32_e32 v6, v6, v10
	v_cvt_i32_f32_e32 v11, v7
	v_cvt_i32_f32_e32 v10, v6
	v_add_f32_e32 v9, v0, v9
	v_cvt_i32_f32_e32 v0, v9
	v_cvt_f32_i32_dpp v11, v11 row_shr:1 row_mask:0xf bank_mask:0xf bound_ctrl:1
	v_cvt_f32_i32_dpp v13, v12 row_shr:2 row_mask:0xf bank_mask:0xf bound_ctrl:1
	v_cvt_f32_i32_dpp v10, v10 row_bcast:15 row_mask:0xf bank_mask:0xf bound_ctrl:1
	v_mov_b32_dpp v12, v0 row_bcast:31 row_mask:0xf bank_mask:0xf bound_ctrl:1
	v_add_f32_e32 v0, v7, v11
	v_cvt_i32_f32_e32 v7, v61
	v_add_f32_e32 v8, v8, v13
	v_add_f32_e32 v6, v6, v10
	v_cvt_i32_f32_e32 v10, v8
	v_cvt_f32_i32_dpp v7, v7 row_shr:8 row_mask:0xf bank_mask:0xf bound_ctrl:1
	v_cvt_i32_f32_e32 v11, v0
	v_cvt_i32_f32_e32 v13, v6
	v_cvt_f32_i32_dpp v10, v10 row_shr:1 row_mask:0xf bank_mask:0xf bound_ctrl:1
	v_add_f32_e32 v15, v61, v7
	v_cvt_i32_f32_e32 v7, v15
	v_cvt_f32_i32_dpp v11, v11 row_bcast:15 row_mask:0xf bank_mask:0xf bound_ctrl:1
	v_add_f32_e32 v8, v8, v10
	v_cvt_i32_f32_e32 v10, v8
	v_mov_b32_dpp v14, v13 row_bcast:31 row_mask:0xf bank_mask:0xf bound_ctrl:1
	v_cvt_f32_i32_dpp v13, v7 row_shr:4 row_mask:0xf bank_mask:0xf bound_ctrl:1
	v_add_f32_e32 v7, v0, v11
	v_cvt_f32_i32_dpp v0, v10 row_bcast:15 row_mask:0xf bank_mask:0xf bound_ctrl:1
	v_cvt_i32_f32_e32 v10, v59
	v_add_f32_e32 v11, v15, v13
	v_cvt_i32_f32_e32 v13, v11
	v_add_f32_e32 v8, v8, v0
	v_cvt_f32_i32_dpp v10, v10 row_shr:8 row_mask:0xf bank_mask:0xf bound_ctrl:1
	v_cvt_i32_f32_e32 v15, v7
	v_cvt_f32_i32_dpp v0, v13 row_shr:2 row_mask:0xf bank_mask:0xf bound_ctrl:1
	v_cvt_i32_f32_e32 v13, v8
	v_add_f32_e32 v10, v59, v10
	v_cvt_i32_f32_e32 v17, v10
	v_add_f32_e32 v0, v11, v0
	v_cvt_i32_f32_e32 v18, v0
	v_mov_b32_dpp v16, v15 row_bcast:31 row_mask:0xf bank_mask:0xf bound_ctrl:1
	v_cvt_f32_i32_dpp v15, v17 row_shr:4 row_mask:0xf bank_mask:0xf bound_ctrl:1
	v_mov_b32_dpp v11, v13 row_bcast:31 row_mask:0xf bank_mask:0xf bound_ctrl:1
	v_cvt_f32_i32_dpp v13, v18 row_shr:1 row_mask:0xf bank_mask:0xf bound_ctrl:1
	v_cvt_i32_f32_e32 v17, v57
	v_add_f32_e32 v10, v10, v15
	v_cvt_i32_f32_e32 v15, v55
	v_add_f32_e32 v0, v0, v13
	v_cvt_f32_i32_dpp v17, v17 row_shr:8 row_mask:0xf bank_mask:0xf bound_ctrl:1
	v_cvt_i32_f32_e32 v18, v10
	v_cvt_f32_i32_dpp v13, v15 row_shr:8 row_mask:0xf bank_mask:0xf bound_ctrl:1
	v_cvt_i32_f32_e32 v20, v0
	v_add_f32_e32 v17, v57, v17
	v_cvt_f32_i32_dpp v15, v18 row_shr:2 row_mask:0xf bank_mask:0xf bound_ctrl:1
	v_add_f32_e32 v13, v55, v13
	v_cvt_i32_f32_e32 v18, v17
	v_cvt_i32_f32_e32 v19, v13
	v_add_f32_e32 v10, v10, v15
	v_cvt_f32_i32_dpp v20, v20 row_bcast:15 row_mask:0xf bank_mask:0xf bound_ctrl:1
	v_cvt_f32_i32_dpp v18, v18 row_shr:4 row_mask:0xf bank_mask:0xf bound_ctrl:1
	v_cvt_f32_i32_dpp v15, v19 row_shr:4 row_mask:0xf bank_mask:0xf bound_ctrl:1
	v_cvt_i32_f32_e32 v19, v10
	v_add_f32_e32 v17, v17, v18
	v_add_f32_e32 v13, v13, v15
	v_cvt_i32_f32_e32 v18, v17
	v_cvt_i32_f32_e32 v15, v13
	v_cvt_f32_i32_dpp v19, v19 row_shr:1 row_mask:0xf bank_mask:0xf bound_ctrl:1
	v_cvt_f32_i32_dpp v18, v18 row_shr:2 row_mask:0xf bank_mask:0xf bound_ctrl:1
	;; [unrolled: 1-line block ×3, first 2 shown]
	v_add_f32_e32 v10, v10, v19
	v_add_f32_e32 v19, v0, v20
	;; [unrolled: 1-line block ×4, first 2 shown]
	v_cvt_i32_f32_e32 v18, v17
	v_cvt_i32_f32_e32 v15, v13
	;; [unrolled: 1-line block ×4, first 2 shown]
	v_cvt_f32_i32_dpp v18, v18 row_shr:1 row_mask:0xf bank_mask:0xf bound_ctrl:1
	v_cvt_f32_i32_dpp v0, v15 row_shr:1 row_mask:0xf bank_mask:0xf bound_ctrl:1
	v_cvt_f32_i32_dpp v15, v21 row_bcast:15 row_mask:0xf bank_mask:0xf bound_ctrl:1
	v_add_f32_e32 v17, v17, v18
	v_add_f32_e32 v0, v13, v0
	v_cvt_i32_f32_e32 v18, v17
	v_cvt_i32_f32_e32 v13, v0
	s_nop 0
	v_cvt_f32_i32_dpp v21, v18 row_bcast:15 row_mask:0xf bank_mask:0xf bound_ctrl:1
	v_add_f32_e32 v18, v10, v15
	v_cvt_f32_i32_dpp v10, v13 row_bcast:15 row_mask:0xf bank_mask:0xf bound_ctrl:1
	v_cvt_i32_f32_e32 v13, v18
	v_add_f32_e32 v15, v17, v21
	v_cvt_i32_f32_e32 v17, v15
	v_add_f32_e32 v10, v0, v10
	v_cvt_i32_f32_e32 v0, v10
	v_mov_b32_dpp v21, v20 row_bcast:31 row_mask:0xf bank_mask:0xf bound_ctrl:1
	v_mov_b32_dpp v20, v13 row_bcast:31 row_mask:0xf bank_mask:0xf bound_ctrl:1
	;; [unrolled: 1-line block ×4, first 2 shown]
	s_and_saveexec_b64 s[30:31], s[0:1]
	s_cbranch_execz .LBB51_54
; %bb.43:                               ;   in Loop: Header=BB51_19 Depth=1
	s_andn2_b64 vcc, exec, s[26:27]
	v_mov_b32_e32 v28, 0
	v_mov_b32_e32 v27, 0
	;; [unrolled: 1-line block ×4, first 2 shown]
	s_waitcnt vmcnt(3)
	v_mov_b32_e32 v25, 0
	s_waitcnt vmcnt(2)
	v_mov_b32_e32 v24, 0
	;; [unrolled: 2-line block ×4, first 2 shown]
	s_cbranch_vccnz .LBB51_45
; %bb.44:                               ;   in Loop: Header=BB51_19 Depth=1
	v_mul_hi_u32 v0, v54, v75
	v_mul_lo_u32 v0, v0, s20
	v_sub_u32_e32 v0, v54, v0
	v_subrev_u32_e32 v22, s20, v0
	v_cmp_le_u32_e32 vcc, s20, v0
	v_mov_b32_e32 v25, v1
	v_mov_b32_e32 v27, v1
	v_cndmask_b32_e32 v0, v0, v22, vcc
	v_subrev_u32_e32 v22, s20, v0
	v_cmp_le_u32_e32 vcc, s20, v0
	s_nop 1
	v_cndmask_b32_e32 v0, v0, v22, vcc
	v_mul_hi_u32 v22, v60, v75
	v_mul_lo_u32 v22, v22, s20
	v_sub_u32_e32 v22, v60, v22
	v_subrev_u32_e32 v23, s20, v22
	v_cmp_le_u32_e32 vcc, s20, v22
	v_lshl_add_u64 v[30:31], v[0:1], 1, s[16:17]
	v_add_u32_e32 v0, s21, v0
	v_cndmask_b32_e32 v22, v22, v23, vcc
	v_subrev_u32_e32 v23, s20, v22
	v_cmp_le_u32_e32 vcc, s20, v22
	v_lshl_add_u64 v[38:39], v[0:1], 1, s[16:17]
	s_nop 0
	v_cndmask_b32_e32 v22, v22, v23, vcc
	v_mov_b32_e32 v23, v1
	v_lshl_add_u64 v[32:33], v[22:23], 1, s[16:17]
	v_mul_hi_u32 v23, v58, v75
	v_mul_lo_u32 v23, v23, s20
	v_sub_u32_e32 v23, v58, v23
	v_subrev_u32_e32 v24, s20, v23
	v_cmp_le_u32_e32 vcc, s20, v23
	v_add_u32_e32 v0, s21, v22
	v_lshl_add_u64 v[40:41], v[0:1], 1, s[16:17]
	v_cndmask_b32_e32 v23, v23, v24, vcc
	v_subrev_u32_e32 v24, s20, v23
	v_cmp_le_u32_e32 vcc, s20, v23
	s_nop 1
	v_cndmask_b32_e32 v24, v23, v24, vcc
	v_mul_hi_u32 v23, v56, v75
	v_mul_lo_u32 v23, v23, s20
	v_sub_u32_e32 v23, v56, v23
	v_lshl_add_u64 v[34:35], v[24:25], 1, s[16:17]
	v_subrev_u32_e32 v25, s20, v23
	v_cmp_le_u32_e32 vcc, s20, v23
	v_add_u32_e32 v0, s21, v24
	v_lshl_add_u64 v[42:43], v[0:1], 1, s[16:17]
	v_cndmask_b32_e32 v23, v23, v25, vcc
	v_subrev_u32_e32 v25, s20, v23
	v_cmp_le_u32_e32 vcc, s20, v23
	s_nop 1
	v_cndmask_b32_e32 v26, v23, v25, vcc
	v_add_u32_e32 v0, s21, v26
	v_lshl_add_u64 v[36:37], v[26:27], 1, s[16:17]
	v_lshl_add_u64 v[44:45], v[0:1], 1, s[16:17]
	global_load_ushort v28, v[30:31], off
	global_load_ushort v27, v[32:33], off
	;; [unrolled: 1-line block ×8, first 2 shown]
.LBB51_45:                              ;   in Loop: Header=BB51_19 Depth=1
	v_cmp_ne_u32_e32 vcc, 0, v2
	s_and_saveexec_b64 s[4:5], vcc
	s_cbranch_execnz .LBB51_59
; %bb.46:                               ;   in Loop: Header=BB51_19 Depth=1
	s_or_b64 exec, exec, s[4:5]
	v_cmp_ne_u32_e64 s[4:5], 0, v3
	s_and_saveexec_b64 s[6:7], s[4:5]
	s_cbranch_execnz .LBB51_60
.LBB51_47:                              ;   in Loop: Header=BB51_19 Depth=1
	s_or_b64 exec, exec, s[6:7]
	v_cmp_ne_u32_e64 s[6:7], 0, v4
	s_and_saveexec_b64 s[8:9], s[6:7]
	s_cbranch_execnz .LBB51_61
.LBB51_48:                              ;   in Loop: Header=BB51_19 Depth=1
	s_or_b64 exec, exec, s[8:9]
	v_cmp_ne_u32_e64 s[8:9], 0, v5
	s_and_saveexec_b64 s[34:35], s[8:9]
	s_cbranch_execnz .LBB51_62
.LBB51_49:                              ;   in Loop: Header=BB51_19 Depth=1
	s_or_b64 exec, exec, s[34:35]
	s_waitcnt vmcnt(4)
	v_add_u32_e32 v0, s15, v54
	s_and_saveexec_b64 s[34:35], vcc
	s_cbranch_execnz .LBB51_63
.LBB51_50:                              ;   in Loop: Header=BB51_19 Depth=1
	s_or_b64 exec, exec, s[34:35]
	s_and_saveexec_b64 s[34:35], s[4:5]
	s_cbranch_execnz .LBB51_64
.LBB51_51:                              ;   in Loop: Header=BB51_19 Depth=1
	s_or_b64 exec, exec, s[34:35]
	s_and_saveexec_b64 s[4:5], s[6:7]
	s_cbranch_execnz .LBB51_65
.LBB51_52:                              ;   in Loop: Header=BB51_19 Depth=1
	s_or_b64 exec, exec, s[4:5]
	s_and_b64 exec, exec, s[8:9]
	s_cbranch_execz .LBB51_54
.LBB51_53:                              ;   in Loop: Header=BB51_19 Depth=1
	v_cvt_f32_i32_e32 v6, v13
	s_waitcnt vmcnt(0)
	v_cvt_f32_f16_e32 v7, v22
	v_add_u32_e32 v0, 3, v0
	v_add_f32_e32 v6, v10, v6
	v_add_f32_e32 v6, v6, v7
	v_cvt_f16_f32_e32 v8, v6
	v_lshl_add_u64 v[6:7], v[0:1], 1, s[18:19]
	global_store_short v[6:7], v8, off
.LBB51_54:                              ;   in Loop: Header=BB51_19 Depth=1
	s_or_b64 exec, exec, s[30:31]
	v_add_u32_e32 v54, s37, v54
	v_add_u32_e32 v0, 4, v54
	v_cmp_gt_u32_e32 vcc, s15, v54
	v_cmp_le_u32_e64 s[4:5], s15, v0
	s_and_b64 s[4:5], vcc, s[4:5]
	s_and_saveexec_b64 s[6:7], s[4:5]
	s_cbranch_execz .LBB51_18
; %bb.55:                               ;   in Loop: Header=BB51_19 Depth=1
	v_cmp_ne_u32_e32 vcc, s38, v54
	s_and_saveexec_b64 s[8:9], vcc
	s_cbranch_execz .LBB51_17
; %bb.56:                               ;   in Loop: Header=BB51_19 Depth=1
	v_subrev_u32_e32 v0, s38, v54
	v_cmp_lt_u32_e32 vcc, 1, v0
	s_mov_b64 s[30:31], 0
	s_mov_b64 s[34:35], 0
	v_cndmask_b32_e32 v0, 1, v0, vcc
.LBB51_57:                              ;   Parent Loop BB51_19 Depth=1
                                        ; =>  This Inner Loop Header: Depth=2
	s_cmp_lg_u32 s34, 3
	s_cselect_b64 vcc, -1, 0
	s_cmp_lg_u32 s34, 2
	v_cndmask_b32_e32 v5, 0, v5, vcc
	s_cselect_b64 vcc, -1, 0
	s_cmp_lg_u32 s34, 1
	v_cndmask_b32_e32 v4, 0, v4, vcc
	;; [unrolled: 3-line block ×3, first 2 shown]
	s_cselect_b64 vcc, -1, 0
	s_add_u32 s34, s34, 1
	s_addc_u32 s35, s35, 0
	v_cmp_eq_u32_e64 s[4:5], s34, v0
	s_or_b64 s[30:31], s[4:5], s[30:31]
	v_cndmask_b32_e32 v2, 0, v2, vcc
	s_andn2_b64 exec, exec, s[30:31]
	s_cbranch_execnz .LBB51_57
; %bb.58:                               ;   in Loop: Header=BB51_19 Depth=1
	s_or_b64 exec, exec, s[30:31]
	s_branch .LBB51_17
.LBB51_59:                              ;   in Loop: Header=BB51_19 Depth=1
	v_cvt_f32_i32_e32 v12, v12
	s_waitcnt vmcnt(7)
	v_cvt_f32_f16_e32 v28, v28
	v_mov_b32_e32 v55, v1
	v_add_f32_e32 v9, v9, v12
	v_add_f32_e32 v9, v9, v28
	v_cvt_f16_f32_e32 v9, v9
	v_lshl_add_u64 v[28:29], v[54:55], 1, s[18:19]
	global_store_short v[28:29], v9, off
	s_or_b64 exec, exec, s[4:5]
	v_cmp_ne_u32_e64 s[4:5], 0, v3
	s_and_saveexec_b64 s[6:7], s[4:5]
	s_cbranch_execz .LBB51_47
.LBB51_60:                              ;   in Loop: Header=BB51_19 Depth=1
	v_cvt_f32_i32_e32 v9, v14
	s_waitcnt vmcnt(6)
	v_cvt_f32_f16_e32 v12, v27
	v_mov_b32_e32 v61, v1
	v_lshl_add_u64 v[28:29], v[60:61], 1, s[18:19]
	v_add_f32_e32 v6, v6, v9
	v_add_f32_e32 v6, v6, v12
	v_cvt_f16_f32_e32 v6, v6
	global_store_short v[28:29], v6, off
	s_or_b64 exec, exec, s[6:7]
	v_cmp_ne_u32_e64 s[6:7], 0, v4
	s_and_saveexec_b64 s[8:9], s[6:7]
	s_cbranch_execz .LBB51_48
.LBB51_61:                              ;   in Loop: Header=BB51_19 Depth=1
	v_cvt_f32_i32_e32 v6, v16
	s_waitcnt vmcnt(5)
	v_cvt_f32_f16_e32 v9, v26
	v_mov_b32_e32 v59, v1
	v_add_f32_e32 v6, v7, v6
	v_add_f32_e32 v6, v6, v9
	v_cvt_f16_f32_e32 v9, v6
	v_lshl_add_u64 v[6:7], v[58:59], 1, s[18:19]
	global_store_short v[6:7], v9, off
	s_or_b64 exec, exec, s[8:9]
	v_cmp_ne_u32_e64 s[8:9], 0, v5
	s_and_saveexec_b64 s[34:35], s[8:9]
	s_cbranch_execz .LBB51_49
.LBB51_62:                              ;   in Loop: Header=BB51_19 Depth=1
	v_cvt_f32_i32_e32 v6, v11
	s_waitcnt vmcnt(4)
	v_cvt_f32_f16_e32 v0, v0
	v_mov_b32_e32 v57, v1
	v_add_f32_e32 v6, v8, v6
	v_add_f32_e32 v0, v6, v0
	v_cvt_f16_f32_e32 v0, v0
	v_lshl_add_u64 v[6:7], v[56:57], 1, s[18:19]
	global_store_short v[6:7], v0, off
	s_or_b64 exec, exec, s[34:35]
	v_add_u32_e32 v0, s15, v54
	s_and_saveexec_b64 s[34:35], vcc
	s_cbranch_execz .LBB51_50
.LBB51_63:                              ;   in Loop: Header=BB51_19 Depth=1
	v_cvt_f32_i32_e32 v6, v21
	s_waitcnt vmcnt(3)
	v_cvt_f32_f16_e32 v7, v25
	v_add_f32_e32 v6, v19, v6
	v_add_f32_e32 v6, v6, v7
	v_cvt_f16_f32_e32 v8, v6
	v_lshl_add_u64 v[6:7], v[0:1], 1, s[18:19]
	global_store_short v[6:7], v8, off
	s_or_b64 exec, exec, s[34:35]
	s_and_saveexec_b64 s[34:35], s[4:5]
	s_cbranch_execz .LBB51_51
.LBB51_64:                              ;   in Loop: Header=BB51_19 Depth=1
	v_cvt_f32_i32_e32 v6, v20
	s_waitcnt vmcnt(2)
	v_cvt_f32_f16_e32 v7, v24
	v_add_f32_e32 v6, v18, v6
	v_add_f32_e32 v6, v6, v7
	v_cvt_f16_f32_e32 v8, v6
	v_add_u32_e32 v6, 1, v0
	v_mov_b32_e32 v7, v1
	v_lshl_add_u64 v[6:7], v[6:7], 1, s[18:19]
	global_store_short v[6:7], v8, off
	s_or_b64 exec, exec, s[34:35]
	s_and_saveexec_b64 s[4:5], s[6:7]
	s_cbranch_execz .LBB51_52
.LBB51_65:                              ;   in Loop: Header=BB51_19 Depth=1
	v_cvt_f32_i32_e32 v6, v17
	s_waitcnt vmcnt(1)
	v_cvt_f32_f16_e32 v7, v23
	v_add_f32_e32 v6, v15, v6
	v_add_f32_e32 v6, v6, v7
	v_cvt_f16_f32_e32 v8, v6
	v_add_u32_e32 v6, 2, v0
	v_mov_b32_e32 v7, v1
	v_lshl_add_u64 v[6:7], v[6:7], 1, s[18:19]
	global_store_short v[6:7], v8, off
	s_or_b64 exec, exec, s[4:5]
	s_and_b64 exec, exec, s[8:9]
	s_cbranch_execnz .LBB51_53
	s_branch .LBB51_54
.LBB51_66:
	s_endpgm
	.section	.rodata,"a",@progbits
	.p2align	6, 0x0
	.amdhsa_kernel _Z12wvSplitK_hf_I6__halfLi32ELi4ELi16ELi8ELi2ELi2EEviiiiiiPKT_S3_S3_PS1_ii
		.amdhsa_group_segment_fixed_size 65536
		.amdhsa_private_segment_fixed_size 0
		.amdhsa_kernarg_size 64
		.amdhsa_user_sgpr_count 2
		.amdhsa_user_sgpr_dispatch_ptr 0
		.amdhsa_user_sgpr_queue_ptr 0
		.amdhsa_user_sgpr_kernarg_segment_ptr 1
		.amdhsa_user_sgpr_dispatch_id 0
		.amdhsa_user_sgpr_kernarg_preload_length 0
		.amdhsa_user_sgpr_kernarg_preload_offset 0
		.amdhsa_user_sgpr_private_segment_size 0
		.amdhsa_uses_dynamic_stack 0
		.amdhsa_enable_private_segment 0
		.amdhsa_system_sgpr_workgroup_id_x 1
		.amdhsa_system_sgpr_workgroup_id_y 0
		.amdhsa_system_sgpr_workgroup_id_z 0
		.amdhsa_system_sgpr_workgroup_info 0
		.amdhsa_system_vgpr_workitem_id 1
		.amdhsa_next_free_vgpr 80
		.amdhsa_next_free_sgpr 40
		.amdhsa_accum_offset 80
		.amdhsa_reserve_vcc 1
		.amdhsa_float_round_mode_32 0
		.amdhsa_float_round_mode_16_64 0
		.amdhsa_float_denorm_mode_32 3
		.amdhsa_float_denorm_mode_16_64 3
		.amdhsa_dx10_clamp 1
		.amdhsa_ieee_mode 1
		.amdhsa_fp16_overflow 0
		.amdhsa_tg_split 0
		.amdhsa_exception_fp_ieee_invalid_op 0
		.amdhsa_exception_fp_denorm_src 0
		.amdhsa_exception_fp_ieee_div_zero 0
		.amdhsa_exception_fp_ieee_overflow 0
		.amdhsa_exception_fp_ieee_underflow 0
		.amdhsa_exception_fp_ieee_inexact 0
		.amdhsa_exception_int_div_zero 0
	.end_amdhsa_kernel
	.section	.text._Z12wvSplitK_hf_I6__halfLi32ELi4ELi16ELi8ELi2ELi2EEviiiiiiPKT_S3_S3_PS1_ii,"axG",@progbits,_Z12wvSplitK_hf_I6__halfLi32ELi4ELi16ELi8ELi2ELi2EEviiiiiiPKT_S3_S3_PS1_ii,comdat
.Lfunc_end51:
	.size	_Z12wvSplitK_hf_I6__halfLi32ELi4ELi16ELi8ELi2ELi2EEviiiiiiPKT_S3_S3_PS1_ii, .Lfunc_end51-_Z12wvSplitK_hf_I6__halfLi32ELi4ELi16ELi8ELi2ELi2EEviiiiiiPKT_S3_S3_PS1_ii
                                        ; -- End function
	.section	.AMDGPU.csdata,"",@progbits
; Kernel info:
; codeLenInByte = 4156
; NumSgprs: 46
; NumVgprs: 80
; NumAgprs: 0
; TotalNumVgprs: 80
; ScratchSize: 0
; MemoryBound: 1
; FloatMode: 240
; IeeeMode: 1
; LDSByteSize: 65536 bytes/workgroup (compile time only)
; SGPRBlocks: 5
; VGPRBlocks: 9
; NumSGPRsForWavesPerEU: 46
; NumVGPRsForWavesPerEU: 80
; AccumOffset: 80
; Occupancy: 2
; WaveLimiterHint : 0
; COMPUTE_PGM_RSRC2:SCRATCH_EN: 0
; COMPUTE_PGM_RSRC2:USER_SGPR: 2
; COMPUTE_PGM_RSRC2:TRAP_HANDLER: 0
; COMPUTE_PGM_RSRC2:TGID_X_EN: 1
; COMPUTE_PGM_RSRC2:TGID_Y_EN: 0
; COMPUTE_PGM_RSRC2:TGID_Z_EN: 0
; COMPUTE_PGM_RSRC2:TIDIG_COMP_CNT: 1
; COMPUTE_PGM_RSRC3_GFX90A:ACCUM_OFFSET: 19
; COMPUTE_PGM_RSRC3_GFX90A:TG_SPLIT: 0
	.section	.text._Z16wvSplitK_hf_big_I6__halfLi32ELi4ELi16ELi8ELi2ELi2EEviiiiiiPKT_S3_S3_PS1_ii,"axG",@progbits,_Z16wvSplitK_hf_big_I6__halfLi32ELi4ELi16ELi8ELi2ELi2EEviiiiiiPKT_S3_S3_PS1_ii,comdat
	.protected	_Z16wvSplitK_hf_big_I6__halfLi32ELi4ELi16ELi8ELi2ELi2EEviiiiiiPKT_S3_S3_PS1_ii ; -- Begin function _Z16wvSplitK_hf_big_I6__halfLi32ELi4ELi16ELi8ELi2ELi2EEviiiiiiPKT_S3_S3_PS1_ii
	.globl	_Z16wvSplitK_hf_big_I6__halfLi32ELi4ELi16ELi8ELi2ELi2EEviiiiiiPKT_S3_S3_PS1_ii
	.p2align	8
	.type	_Z16wvSplitK_hf_big_I6__halfLi32ELi4ELi16ELi8ELi2ELi2EEviiiiiiPKT_S3_S3_PS1_ii,@function
_Z16wvSplitK_hf_big_I6__halfLi32ELi4ELi16ELi8ELi2ELi2EEviiiiiiPKT_S3_S3_PS1_ii: ; @_Z16wvSplitK_hf_big_I6__halfLi32ELi4ELi16ELi8ELi2ELi2EEviiiiiiPKT_S3_S3_PS1_ii
; %bb.0:
	s_load_dwordx2 s[8:9], s[0:1], 0x38
	v_bfe_u32 v7, v0, 10, 10
	s_waitcnt lgkmcnt(0)
	v_cmp_gt_u32_e32 vcc, s8, v7
	s_and_saveexec_b64 s[4:5], vcc
	s_cbranch_execz .LBB52_56
; %bb.1:
	s_load_dwordx4 s[20:23], s[0:1], 0x0
	s_mul_i32 s2, s2, s8
	v_add_lshl_u32 v54, s2, v7, 2
	s_mov_b32 s4, 1
	v_add_u32_e32 v1, 4, v54
	s_mov_b32 s5, s4
	s_waitcnt lgkmcnt(0)
	v_cmp_gt_u32_e32 vcc, s23, v54
	v_cmp_le_u32_e64 s[2:3], s23, v1
	s_mov_b32 s6, s4
	s_mov_b32 s7, s4
	v_mov_b64_e32 v[2:3], s[4:5]
	s_and_b64 s[10:11], vcc, s[2:3]
	v_mov_b64_e32 v[4:5], s[6:7]
	s_and_saveexec_b64 s[2:3], s[10:11]
	s_cbranch_execz .LBB52_7
; %bb.2:
	s_add_i32 s16, s23, -4
	v_mov_b64_e32 v[2:3], s[4:5]
	v_cmp_ne_u32_e32 vcc, s16, v54
	v_mov_b64_e32 v[4:5], s[6:7]
	s_and_saveexec_b64 s[10:11], vcc
	s_cbranch_execz .LBB52_6
; %bb.3:
	v_subrev_u32_e32 v1, s16, v54
	v_cmp_lt_u32_e32 vcc, 1, v1
	s_mov_b64 s[12:13], 0
	s_mov_b64 s[14:15], 0
	v_cndmask_b32_e32 v6, 1, v1, vcc
	s_mov_b32 s5, s4
	s_mov_b32 s6, s4
	;; [unrolled: 1-line block ×3, first 2 shown]
.LBB52_4:                               ; =>This Inner Loop Header: Depth=1
	s_cmp_lg_u32 s14, 3
	s_cselect_b32 s7, s7, 0
	s_cmp_lg_u32 s14, 2
	s_cselect_b32 s6, s6, 0
	;; [unrolled: 2-line block ×4, first 2 shown]
	s_add_u32 s14, s14, 1
	s_addc_u32 s15, s15, 0
	v_cmp_eq_u32_e32 vcc, s14, v6
	v_mov_b64_e32 v[2:3], s[4:5]
	s_or_b64 s[12:13], vcc, s[12:13]
	v_mov_b64_e32 v[4:5], s[6:7]
	s_andn2_b64 exec, exec, s[12:13]
	s_cbranch_execnz .LBB52_4
; %bb.5:
	s_or_b64 exec, exec, s[12:13]
	v_mov_b32_e32 v54, s16
.LBB52_6:
	s_or_b64 exec, exec, s[10:11]
.LBB52_7:
	s_or_b64 exec, exec, s[2:3]
	s_lshl_b32 s2, s8, 2
	s_abs_i32 s3, s2
	v_cvt_f32_u32_e32 v1, s3
	s_sub_i32 s6, 0, s3
	s_abs_i32 s5, s23
	s_ashr_i32 s4, s23, 31
	v_rcp_iflag_f32_e32 v1, v1
	s_nop 0
	v_mul_f32_e32 v1, 0x4f7ffffe, v1
	v_cvt_u32_f32_e32 v1, v1
	s_nop 0
	v_readfirstlane_b32 s7, v1
	s_mul_i32 s6, s6, s7
	s_mul_hi_u32 s6, s7, s6
	s_add_i32 s7, s7, s6
	s_mul_hi_u32 s6, s5, s7
	s_mul_i32 s6, s6, s3
	s_sub_i32 s5, s5, s6
	s_sub_i32 s6, s5, s3
	s_cmp_ge_u32 s5, s3
	s_cselect_b32 s5, s6, s5
	s_sub_i32 s6, s5, s3
	s_cmp_ge_u32 s5, s3
	s_cselect_b32 s3, s6, s5
	s_xor_b32 s3, s3, s4
	s_sub_i32 s3, s3, s4
	s_add_i32 s2, s2, s23
	s_sub_i32 s2, s2, s3
	s_cmp_eq_u32 s3, 0
	s_cselect_b32 s33, s23, s2
	v_cmp_gt_u32_e32 vcc, s33, v54
	s_and_b64 exec, exec, vcc
	s_cbranch_execz .LBB52_56
; %bb.8:
	s_load_dwordx8 s[12:19], s[0:1], 0x10
	s_min_u32 s40, s22, 0x4000
	s_cmp_lg_u32 s20, 0
	s_load_dwordx2 s[24:25], s[0:1], 0x30
	s_cselect_b64 s[2:3], -1, 0
	s_waitcnt lgkmcnt(0)
	v_cvt_f32_u32_e32 v1, s12
	s_cmp_lg_u32 s22, 0
	s_mul_i32 s0, s9, s8
	s_cselect_b64 s[4:5], -1, 0
	v_rcp_iflag_f32_e32 v1, v1
	s_lshl_b32 s41, s8, 8
	s_add_i32 s42, s20, -8
	s_add_i32 s43, s23, -1
	v_mul_f32_e32 v1, 0x4f7ffffe, v1
	v_cvt_u32_f32_e32 v1, v1
	s_lshl_b32 s44, s0, 2
	s_cmp_lg_u64 s[18:19], 0
	s_cselect_b64 s[28:29], -1, 0
	s_sub_i32 s6, 0, s12
	v_mul_lo_u32 v6, s6, v1
	s_abs_i32 s6, s13
	s_add_i32 s45, s23, -4
	s_sub_i32 s7, 1, s6
	s_cmp_lt_u32 s6, 2
	v_and_b32_e32 v0, 0x3ff, v0
	s_cselect_b32 s7, s7, 1
	v_lshlrev_b32_e32 v64, 3, v0
	v_cmp_eq_u32_e64 s[0:1], 31, v0
	s_sub_i32 s9, s7, s6
	v_lshlrev_b32_e32 v0, 4, v0
	s_cmp_ge_u32 s7, s6
	v_lshl_add_u32 v66, v7, 9, v0
	v_cndmask_b32_e64 v0, 0, 1, s[2:3]
	v_mul_hi_u32 v6, v1, v6
	s_cselect_b32 s13, s9, s7
	s_add_u32 s30, s24, 2
	v_lshl_add_u32 v67, v7, 8, v64
	v_cmp_ne_u32_e64 s[2:3], 1, v0
	v_cndmask_b32_e64 v0, 0, 1, s[4:5]
	s_mov_b64 s[26:27], 0
	v_add_u32_e32 v65, v1, v6
	v_mov_b32_e32 v1, 0
	s_mul_i32 s13, s13, s12
	s_addc_u32 s31, s25, 0
	s_lshl_b32 s46, s40, 1
	s_lshl_b32 s47, s8, 9
	v_add_u32_e32 v68, s22, v67
	v_cmp_ne_u32_e64 s[4:5], 1, v0
	s_branch .LBB52_12
.LBB52_9:                               ;   in Loop: Header=BB52_12 Depth=1
	s_or_b64 exec, exec, s[10:11]
	v_mov_b32_e32 v54, s45
.LBB52_10:                              ;   in Loop: Header=BB52_12 Depth=1
	s_or_b64 exec, exec, s[8:9]
.LBB52_11:                              ;   in Loop: Header=BB52_12 Depth=1
	s_or_b64 exec, exec, s[34:35]
	v_cmp_le_u32_e32 vcc, s33, v54
	s_or_b64 s[26:27], vcc, s[26:27]
	s_andn2_b64 exec, exec, s[26:27]
	s_cbranch_execz .LBB52_56
.LBB52_12:                              ; =>This Loop Header: Depth=1
                                        ;     Child Loop BB52_17 Depth 2
                                        ;       Child Loop BB52_22 Depth 3
                                        ;     Child Loop BB52_47 Depth 2
	s_mov_b32 s36, 0
	s_and_b64 vcc, exec, s[2:3]
	v_mov_b32_e32 v75, v1
	v_mov_b32_e32 v74, v1
	v_mov_b32_e32 v73, v1
	v_mov_b32_e32 v72, v1
	v_mov_b32_e32 v71, v1
	v_mov_b32_e32 v70, v1
	v_mov_b32_e32 v69, v1
	v_mov_b32_e32 v55, v1
	s_cbranch_vccnz .LBB52_29
; %bb.13:                               ;   in Loop: Header=BB52_12 Depth=1
	v_add_u32_e32 v6, 1, v54
	v_add_u32_e32 v8, 2, v54
	;; [unrolled: 1-line block ×3, first 2 shown]
	v_min_u32_e32 v0, s43, v54
	v_min_u32_e32 v6, s43, v6
	;; [unrolled: 1-line block ×4, first 2 shown]
	v_mul_lo_u32 v0, v0, s21
	v_mul_lo_u32 v6, v6, s21
	v_mov_b32_e32 v7, v1
	v_mul_lo_u32 v8, v8, s21
	v_mov_b32_e32 v9, v1
	;; [unrolled: 2-line block ×3, first 2 shown]
	v_cmp_gt_u32_e64 s[6:7], s23, v54
	v_mov_b32_e32 v55, 0
	v_lshlrev_b64 v[56:57], 1, v[0:1]
	v_lshlrev_b64 v[58:59], 1, v[6:7]
	;; [unrolled: 1-line block ×4, first 2 shown]
	v_mov_b32_e32 v69, 0
	v_mov_b32_e32 v70, 0
	;; [unrolled: 1-line block ×7, first 2 shown]
	s_mov_b32 s37, 0
	s_branch .LBB52_17
.LBB52_14:                              ;   in Loop: Header=BB52_17 Depth=2
	s_or_b64 exec, exec, s[34:35]
.LBB52_15:                              ;   in Loop: Header=BB52_17 Depth=2
	s_or_b64 exec, exec, s[10:11]
	s_waitcnt vmcnt(7) lgkmcnt(1)
	;;#ASMSTART
	v_dot2c_f32_f16 v75, v50, v46
	;;#ASMEND
	s_waitcnt vmcnt(6)
	;;#ASMSTART
	v_dot2c_f32_f16 v74, v50, v38
	;;#ASMEND
	s_waitcnt vmcnt(5)
	;; [unrolled: 4-line block ×3, first 2 shown]
	;;#ASMSTART
	v_dot2c_f32_f16 v72, v50, v30
	;;#ASMEND
	s_waitcnt lgkmcnt(0)
	;;#ASMSTART
	v_dot2c_f32_f16 v71, v42, v46
	;;#ASMEND
	;;#ASMSTART
	v_dot2c_f32_f16 v70, v42, v38
	;;#ASMEND
	;;#ASMSTART
	v_dot2c_f32_f16 v69, v42, v34
	;;#ASMEND
	;;#ASMSTART
	v_dot2c_f32_f16 v55, v42, v30
	;;#ASMEND
	;;#ASMSTART
	v_dot2c_f32_f16 v75, v51, v47
	;;#ASMEND
	;;#ASMSTART
	v_dot2c_f32_f16 v74, v51, v39
	;;#ASMEND
	;;#ASMSTART
	v_dot2c_f32_f16 v73, v51, v35
	;;#ASMEND
	;;#ASMSTART
	v_dot2c_f32_f16 v72, v51, v31
	;;#ASMEND
	s_nop 0
	;;#ASMSTART
	v_dot2c_f32_f16 v71, v43, v47
	;;#ASMEND
	;;#ASMSTART
	v_dot2c_f32_f16 v70, v43, v39
	;;#ASMEND
	;;#ASMSTART
	v_dot2c_f32_f16 v69, v43, v35
	;;#ASMEND
	;;#ASMSTART
	v_dot2c_f32_f16 v55, v43, v31
	;;#ASMEND
	;;#ASMSTART
	v_dot2c_f32_f16 v75, v52, v48
	;;#ASMEND
	;;#ASMSTART
	v_dot2c_f32_f16 v74, v52, v40
	;;#ASMEND
	;;#ASMSTART
	v_dot2c_f32_f16 v73, v52, v36
	;;#ASMEND
	;;#ASMSTART
	v_dot2c_f32_f16 v72, v52, v32
	;;#ASMEND
	s_nop 0
	;; [unrolled: 25-line block ×3, first 2 shown]
	;;#ASMSTART
	v_dot2c_f32_f16 v71, v45, v49
	;;#ASMEND
	;;#ASMSTART
	v_dot2c_f32_f16 v70, v45, v41
	;;#ASMEND
	;; [unrolled: 3-line block ×4, first 2 shown]
	s_waitcnt vmcnt(3)
	;;#ASMSTART
	v_dot2c_f32_f16 v75, v26, v22
	;;#ASMEND
	s_waitcnt vmcnt(2)
	;;#ASMSTART
	v_dot2c_f32_f16 v74, v26, v14
	;;#ASMEND
	;; [unrolled: 4-line block ×4, first 2 shown]
	;;#ASMSTART
	v_dot2c_f32_f16 v71, v18, v22
	;;#ASMEND
	;;#ASMSTART
	v_dot2c_f32_f16 v70, v18, v14
	;;#ASMEND
	;;#ASMSTART
	v_dot2c_f32_f16 v69, v18, v10
	;;#ASMEND
	;;#ASMSTART
	v_dot2c_f32_f16 v55, v18, v6
	;;#ASMEND
	;;#ASMSTART
	v_dot2c_f32_f16 v75, v27, v23
	;;#ASMEND
	;;#ASMSTART
	v_dot2c_f32_f16 v74, v27, v15
	;;#ASMEND
	;;#ASMSTART
	v_dot2c_f32_f16 v73, v27, v11
	;;#ASMEND
	s_nop 0
	;;#ASMSTART
	v_dot2c_f32_f16 v72, v27, v7
	;;#ASMEND
	;;#ASMSTART
	v_dot2c_f32_f16 v71, v19, v23
	;;#ASMEND
	;;#ASMSTART
	v_dot2c_f32_f16 v70, v19, v15
	;;#ASMEND
	;;#ASMSTART
	v_dot2c_f32_f16 v69, v19, v11
	;;#ASMEND
	;;#ASMSTART
	v_dot2c_f32_f16 v55, v19, v7
	;;#ASMEND
	;;#ASMSTART
	v_dot2c_f32_f16 v75, v28, v24
	;;#ASMEND
	;;#ASMSTART
	v_dot2c_f32_f16 v74, v28, v16
	;;#ASMEND
	;;#ASMSTART
	v_dot2c_f32_f16 v73, v28, v12
	;;#ASMEND
	s_nop 0
	;;#ASMSTART
	v_dot2c_f32_f16 v72, v28, v8
	;;#ASMEND
	;; [unrolled: 25-line block ×3, first 2 shown]
	;;#ASMSTART
	v_dot2c_f32_f16 v71, v21, v25
	;;#ASMEND
	;;#ASMSTART
	v_dot2c_f32_f16 v70, v21, v17
	;;#ASMEND
	;; [unrolled: 3-line block ×4, first 2 shown]
.LBB52_16:                              ;   in Loop: Header=BB52_17 Depth=2
	s_or_b64 exec, exec, s[8:9]
	s_addk_i32 s37, 0x200
	s_cmp_ge_u32 s37, s20
	s_cbranch_scc1 .LBB52_29
.LBB52_17:                              ;   Parent Loop BB52_12 Depth=1
                                        ; =>  This Loop Header: Depth=2
                                        ;       Child Loop BB52_22 Depth 3
	s_cmp_eq_u32 s37, 0
	s_cselect_b64 s[8:9], -1, 0
	s_add_i32 s10, s36, s40
	s_cmp_eq_u32 s37, s10
	s_cselect_b64 s[34:35], -1, 0
	s_or_b64 s[34:35], s[8:9], s[34:35]
	s_andn2_b64 vcc, exec, s[34:35]
	s_cbranch_vccz .LBB52_19
; %bb.18:                               ;   in Loop: Header=BB52_17 Depth=2
	s_and_saveexec_b64 s[8:9], s[6:7]
	s_cbranch_execz .LBB52_16
	s_branch .LBB52_26
.LBB52_19:                              ;   in Loop: Header=BB52_17 Depth=2
	s_and_b64 s[8:9], s[8:9], exec
	s_cselect_b32 s36, s36, s10
	s_and_b64 vcc, exec, s[4:5]
	s_barrier
	s_cbranch_vccnz .LBB52_25
; %bb.20:                               ;   in Loop: Header=BB52_17 Depth=2
	v_add_u32_e32 v6, s36, v68
	v_add_u32_e32 v7, s36, v67
	s_mov_b32 s38, 0
	s_mov_b64 s[10:11], 0
	v_mov_b32_e32 v8, v66
                                        ; implicit-def: $sgpr34_sgpr35
	s_branch .LBB52_22
.LBB52_21:                              ;   in Loop: Header=BB52_22 Depth=3
	s_or_b64 exec, exec, s[8:9]
	s_and_b64 s[8:9], exec, s[34:35]
	s_or_b64 s[10:11], s[8:9], s[10:11]
	s_andn2_b64 exec, exec, s[10:11]
	s_cbranch_execz .LBB52_24
.LBB52_22:                              ;   Parent Loop BB52_12 Depth=1
                                        ;     Parent Loop BB52_17 Depth=2
                                        ; =>    This Inner Loop Header: Depth=3
	v_add_u32_e32 v9, s38, v67
	v_add_u32_e32 v0, s38, v7
	v_cmp_gt_u32_e32 vcc, s22, v0
	v_cmp_gt_u32_e64 s[8:9], s40, v9
	s_and_b64 s[48:49], s[8:9], vcc
	s_or_b64 s[34:35], s[34:35], exec
	s_and_saveexec_b64 s[8:9], s[48:49]
	s_cbranch_execz .LBB52_21
; %bb.23:                               ;   in Loop: Header=BB52_22 Depth=3
	v_lshl_add_u64 v[10:11], v[0:1], 1, s[16:17]
	v_add_u32_e32 v0, s38, v6
	global_load_dwordx4 v[10:13], v[10:11], off
	v_lshl_add_u64 v[14:15], v[0:1], 1, s[16:17]
	global_load_dwordx4 v[14:17], v[14:15], off
	s_add_i32 s38, s38, s41
	s_cmp_ge_u32 s38, s40
	s_cselect_b64 s[48:49], -1, 0
	s_andn2_b64 s[34:35], s[34:35], exec
	s_and_b64 s[48:49], s[48:49], exec
	v_add_u32_e32 v0, s46, v8
	s_or_b64 s[34:35], s[34:35], s[48:49]
	s_waitcnt vmcnt(1)
	ds_write_b128 v8, v[10:13]
	v_add_u32_e32 v8, s47, v8
	s_waitcnt vmcnt(0)
	ds_write2_b64 v0, v[14:15], v[16:17] offset1:1
	s_branch .LBB52_21
.LBB52_24:                              ;   in Loop: Header=BB52_17 Depth=2
	s_or_b64 exec, exec, s[10:11]
.LBB52_25:                              ;   in Loop: Header=BB52_17 Depth=2
	s_waitcnt lgkmcnt(0)
	s_barrier
	s_and_saveexec_b64 s[8:9], s[6:7]
	s_cbranch_execz .LBB52_16
.LBB52_26:                              ;   in Loop: Header=BB52_17 Depth=2
	v_add_u32_e32 v76, s37, v64
	v_min_u32_e32 v0, s42, v76
	v_lshl_add_u64 v[6:7], v[0:1], 1, s[14:15]
	v_lshl_add_u64 v[8:9], v[6:7], 0, v[56:57]
	v_add_u32_e32 v77, 0x100, v76
	v_lshl_add_u64 v[10:11], v[6:7], 0, v[58:59]
	global_load_dwordx4 v[46:49], v[8:9], off nt
	global_load_dwordx4 v[38:41], v[10:11], off nt
	v_lshl_add_u64 v[8:9], v[6:7], 0, v[60:61]
	v_lshl_add_u64 v[6:7], v[6:7], 0, v[62:63]
	v_min_u32_e32 v0, s42, v77
	global_load_dwordx4 v[34:37], v[8:9], off nt
	global_load_dwordx4 v[30:33], v[6:7], off nt
	v_lshl_add_u64 v[6:7], v[0:1], 1, s[14:15]
	v_lshl_add_u64 v[8:9], v[6:7], 0, v[56:57]
	;; [unrolled: 1-line block ×4, first 2 shown]
	global_load_dwordx4 v[22:25], v[8:9], off nt
	global_load_dwordx4 v[14:17], v[10:11], off nt
	v_lshl_add_u64 v[20:21], v[6:7], 0, v[62:63]
	global_load_dwordx4 v[10:13], v[18:19], off nt
	global_load_dwordx4 v[6:9], v[20:21], off nt
	v_cmp_gt_u32_e32 vcc, s20, v76
	v_mov_b32_e32 v50, 0
	v_mov_b32_e32 v51, 0
	;; [unrolled: 1-line block ×8, first 2 shown]
	s_waitcnt vmcnt(10)
	v_mov_b32_e32 v26, 0
	v_mov_b32_e32 v27, 0
	;; [unrolled: 1-line block ×8, first 2 shown]
	s_and_saveexec_b64 s[10:11], vcc
	s_cbranch_execz .LBB52_15
; %bb.27:                               ;   in Loop: Header=BB52_17 Depth=2
	v_subrev_u32_e32 v0, s36, v76
	v_lshlrev_b32_e32 v76, 1, v0
	v_lshl_add_u32 v0, s40, 1, v76
	ds_read_b128 v[50:53], v76
	ds_read_b128 v[42:45], v0
	v_cmp_gt_u32_e32 vcc, s20, v77
	v_mov_b32_e32 v21, 0
	v_mov_b32_e32 v20, 0
	;; [unrolled: 1-line block ×8, first 2 shown]
	s_and_saveexec_b64 s[34:35], vcc
	s_cbranch_execz .LBB52_14
; %bb.28:                               ;   in Loop: Header=BB52_17 Depth=2
	ds_read_b128 v[26:29], v76 offset:512
	ds_read_b128 v[18:21], v0 offset:512
	s_branch .LBB52_14
.LBB52_29:                              ;   in Loop: Header=BB52_12 Depth=1
	v_cmp_le_u32_e32 vcc, s23, v54
	s_and_saveexec_b64 s[6:7], vcc
	s_xor_b64 s[6:7], exec, s[6:7]
; %bb.30:                               ;   in Loop: Header=BB52_12 Depth=1
	v_add_u32_e32 v54, s44, v54
                                        ; implicit-def: $vgpr75
                                        ; implicit-def: $vgpr74
                                        ; implicit-def: $vgpr73
                                        ; implicit-def: $vgpr72
                                        ; implicit-def: $vgpr71
                                        ; implicit-def: $vgpr70
                                        ; implicit-def: $vgpr69
                                        ; implicit-def: $vgpr55
; %bb.31:                               ;   in Loop: Header=BB52_12 Depth=1
	s_andn2_saveexec_b64 s[34:35], s[6:7]
	s_cbranch_execz .LBB52_11
; %bb.32:                               ;   in Loop: Header=BB52_12 Depth=1
	v_cvt_i32_f32_e32 v0, v75
	v_cvt_i32_f32_e32 v6, v74
	;; [unrolled: 1-line block ×4, first 2 shown]
	v_cvt_f32_i32_dpp v0, v0 row_shr:8 row_mask:0xf bank_mask:0xf bound_ctrl:1
	v_cvt_f32_i32_dpp v6, v6 row_shr:8 row_mask:0xf bank_mask:0xf bound_ctrl:1
	;; [unrolled: 1-line block ×4, first 2 shown]
	v_add_f32_e32 v0, v75, v0
	v_cvt_i32_f32_e32 v9, v0
	v_add_f32_e32 v6, v74, v6
	v_cvt_i32_f32_e32 v10, v6
	v_add_f32_e32 v7, v73, v7
	v_cvt_f32_i32_dpp v9, v9 row_shr:4 row_mask:0xf bank_mask:0xf bound_ctrl:1
	v_cvt_i32_f32_e32 v11, v7
	v_cvt_f32_i32_dpp v10, v10 row_shr:4 row_mask:0xf bank_mask:0xf bound_ctrl:1
	v_add_f32_e32 v8, v72, v8
	v_add_f32_e32 v0, v0, v9
	v_cvt_i32_f32_e32 v9, v0
	v_add_f32_e32 v6, v6, v10
	v_cvt_i32_f32_e32 v10, v6
	v_cvt_f32_i32_dpp v11, v11 row_shr:4 row_mask:0xf bank_mask:0xf bound_ctrl:1
	v_cvt_f32_i32_dpp v9, v9 row_shr:2 row_mask:0xf bank_mask:0xf bound_ctrl:1
	v_cvt_i32_f32_e32 v12, v8
	v_cvt_f32_i32_dpp v10, v10 row_shr:2 row_mask:0xf bank_mask:0xf bound_ctrl:1
	v_add_f32_e32 v7, v7, v11
	v_add_f32_e32 v0, v0, v9
	v_cvt_i32_f32_e32 v9, v0
	v_add_f32_e32 v6, v6, v10
	v_cvt_i32_f32_e32 v10, v6
	v_cvt_i32_f32_e32 v11, v7
	v_cvt_f32_i32_dpp v9, v9 row_shr:1 row_mask:0xf bank_mask:0xf bound_ctrl:1
	v_cvt_f32_i32_dpp v12, v12 row_shr:4 row_mask:0xf bank_mask:0xf bound_ctrl:1
	;; [unrolled: 1-line block ×4, first 2 shown]
	v_add_f32_e32 v0, v0, v9
	v_cvt_i32_f32_e32 v9, v0
	v_add_f32_e32 v6, v6, v10
	v_add_f32_e32 v13, v7, v11
	;; [unrolled: 1-line block ×3, first 2 shown]
	v_cvt_f32_i32_dpp v7, v9 row_bcast:15 row_mask:0xf bank_mask:0xf bound_ctrl:1
	v_cvt_i32_f32_e32 v9, v6
	v_cvt_i32_f32_e32 v12, v8
	;; [unrolled: 1-line block ×3, first 2 shown]
	v_add_f32_e32 v11, v0, v7
	v_cvt_f32_i32_dpp v7, v9 row_bcast:15 row_mask:0xf bank_mask:0xf bound_ctrl:1
	v_cvt_i32_f32_e32 v0, v11
	v_cvt_f32_i32_dpp v9, v10 row_shr:1 row_mask:0xf bank_mask:0xf bound_ctrl:1
	v_cvt_f32_i32_dpp v10, v12 row_shr:2 row_mask:0xf bank_mask:0xf bound_ctrl:1
	v_add_f32_e32 v7, v6, v7
	v_cvt_i32_f32_e32 v6, v71
	v_mov_b32_dpp v14, v0 row_bcast:31 row_mask:0xf bank_mask:0xf bound_ctrl:1
	v_add_f32_e32 v8, v8, v10
	v_add_f32_e32 v0, v13, v9
	v_cvt_f32_i32_dpp v6, v6 row_shr:8 row_mask:0xf bank_mask:0xf bound_ctrl:1
	v_cvt_i32_f32_e32 v9, v8
	v_cvt_i32_f32_e32 v10, v0
	;; [unrolled: 1-line block ×3, first 2 shown]
	v_add_f32_e32 v6, v71, v6
	v_cvt_f32_i32_dpp v9, v9 row_shr:1 row_mask:0xf bank_mask:0xf bound_ctrl:1
	v_cvt_i32_f32_e32 v13, v6
	v_cvt_f32_i32_dpp v10, v10 row_bcast:15 row_mask:0xf bank_mask:0xf bound_ctrl:1
	v_mov_b32_dpp v16, v12 row_bcast:31 row_mask:0xf bank_mask:0xf bound_ctrl:1
	v_add_f32_e32 v8, v8, v9
	v_cvt_f32_i32_dpp v12, v13 row_shr:4 row_mask:0xf bank_mask:0xf bound_ctrl:1
	v_cvt_i32_f32_e32 v15, v8
	v_add_f32_e32 v9, v0, v10
	v_cvt_i32_f32_e32 v10, v70
	v_add_f32_e32 v6, v6, v12
	v_cvt_f32_i32_dpp v0, v15 row_bcast:15 row_mask:0xf bank_mask:0xf bound_ctrl:1
	v_cvt_i32_f32_e32 v12, v6
	v_cvt_f32_i32_dpp v15, v10 row_shr:8 row_mask:0xf bank_mask:0xf bound_ctrl:1
	v_cvt_i32_f32_e32 v13, v9
	v_add_f32_e32 v10, v8, v0
	v_cvt_f32_i32_dpp v0, v12 row_shr:2 row_mask:0xf bank_mask:0xf bound_ctrl:1
	v_add_f32_e32 v12, v70, v15
	v_cvt_i32_f32_e32 v15, v12
	v_cvt_i32_f32_e32 v8, v10
	v_add_f32_e32 v0, v6, v0
	v_cvt_i32_f32_e32 v6, v0
	v_cvt_f32_i32_dpp v15, v15 row_shr:4 row_mask:0xf bank_mask:0xf bound_ctrl:1
	v_mov_b32_dpp v18, v13 row_bcast:31 row_mask:0xf bank_mask:0xf bound_ctrl:1
	v_mov_b32_dpp v13, v8 row_bcast:31 row_mask:0xf bank_mask:0xf bound_ctrl:1
	v_cvt_f32_i32_dpp v6, v6 row_shr:1 row_mask:0xf bank_mask:0xf bound_ctrl:1
	v_cvt_i32_f32_e32 v8, v69
	v_add_f32_e32 v12, v12, v15
	v_cvt_i32_f32_e32 v15, v55
	v_add_f32_e32 v0, v0, v6
	v_cvt_f32_i32_dpp v8, v8 row_shr:8 row_mask:0xf bank_mask:0xf bound_ctrl:1
	v_cvt_i32_f32_e32 v17, v12
	v_cvt_f32_i32_dpp v6, v15 row_shr:8 row_mask:0xf bank_mask:0xf bound_ctrl:1
	v_cvt_i32_f32_e32 v20, v0
	v_add_f32_e32 v8, v69, v8
	v_cvt_f32_i32_dpp v15, v17 row_shr:2 row_mask:0xf bank_mask:0xf bound_ctrl:1
	v_add_f32_e32 v6, v55, v6
	v_cvt_i32_f32_e32 v17, v8
	v_cvt_i32_f32_e32 v19, v6
	v_add_f32_e32 v12, v12, v15
	v_cvt_f32_i32_dpp v20, v20 row_bcast:15 row_mask:0xf bank_mask:0xf bound_ctrl:1
	v_cvt_f32_i32_dpp v17, v17 row_shr:4 row_mask:0xf bank_mask:0xf bound_ctrl:1
	v_cvt_f32_i32_dpp v15, v19 row_shr:4 row_mask:0xf bank_mask:0xf bound_ctrl:1
	v_cvt_i32_f32_e32 v19, v12
	v_add_f32_e32 v21, v0, v20
	v_add_f32_e32 v8, v8, v17
	;; [unrolled: 1-line block ×3, first 2 shown]
	v_cvt_i32_f32_e32 v17, v8
	v_cvt_i32_f32_e32 v15, v6
	v_cvt_f32_i32_dpp v19, v19 row_shr:1 row_mask:0xf bank_mask:0xf bound_ctrl:1
	v_cvt_f32_i32_dpp v17, v17 row_shr:2 row_mask:0xf bank_mask:0xf bound_ctrl:1
	;; [unrolled: 1-line block ×3, first 2 shown]
	v_add_f32_e32 v12, v12, v19
	v_cvt_i32_f32_e32 v19, v12
	v_add_f32_e32 v8, v8, v17
	v_add_f32_e32 v6, v6, v15
	v_cvt_i32_f32_e32 v17, v8
	v_cvt_i32_f32_e32 v15, v6
	s_nop 0
	v_cvt_f32_i32_dpp v17, v17 row_shr:1 row_mask:0xf bank_mask:0xf bound_ctrl:1
	v_cvt_f32_i32_dpp v0, v15 row_shr:1 row_mask:0xf bank_mask:0xf bound_ctrl:1
	v_cvt_f32_i32_dpp v15, v19 row_bcast:15 row_mask:0xf bank_mask:0xf bound_ctrl:1
	v_cvt_i32_f32_e32 v19, v21
	v_add_f32_e32 v8, v8, v17
	v_add_f32_e32 v0, v6, v0
	v_cvt_i32_f32_e32 v17, v8
	v_cvt_i32_f32_e32 v6, v0
	v_add_f32_e32 v20, v12, v15
	v_cvt_i32_f32_e32 v15, v20
	v_cvt_f32_i32_dpp v17, v17 row_bcast:15 row_mask:0xf bank_mask:0xf bound_ctrl:1
	v_cvt_f32_i32_dpp v6, v6 row_bcast:15 row_mask:0xf bank_mask:0xf bound_ctrl:1
	v_mov_b32_dpp v23, v19 row_bcast:31 row_mask:0xf bank_mask:0xf bound_ctrl:1
	v_mov_b32_dpp v22, v15 row_bcast:31 row_mask:0xf bank_mask:0xf bound_ctrl:1
	v_add_f32_e32 v17, v8, v17
	v_add_f32_e32 v12, v0, v6
	v_cvt_i32_f32_e32 v8, v17
	v_cvt_i32_f32_e32 v0, v12
	s_nop 0
	v_mov_b32_dpp v19, v8 row_bcast:31 row_mask:0xf bank_mask:0xf bound_ctrl:1
	v_mov_b32_dpp v15, v0 row_bcast:31 row_mask:0xf bank_mask:0xf bound_ctrl:1
	s_and_saveexec_b64 s[36:37], s[0:1]
	s_cbranch_execz .LBB52_44
; %bb.33:                               ;   in Loop: Header=BB52_12 Depth=1
	s_andn2_b64 vcc, exec, s[28:29]
	v_mov_b32_e32 v30, 0
	v_add_u32_e32 v8, 2, v54
	v_add_u32_e32 v6, 3, v54
	v_mov_b32_e32 v29, 0
	v_mov_b32_e32 v28, 0
	;; [unrolled: 1-line block ×3, first 2 shown]
	s_waitcnt vmcnt(3)
	v_mov_b32_e32 v27, 0
	s_waitcnt vmcnt(2)
	v_mov_b32_e32 v26, 0
	;; [unrolled: 2-line block ×4, first 2 shown]
	s_cbranch_vccnz .LBB52_35
; %bb.34:                               ;   in Loop: Header=BB52_12 Depth=1
	v_mul_hi_u32 v0, v54, v65
	v_mul_lo_u32 v0, v0, s12
	v_sub_u32_e32 v0, v54, v0
	v_subrev_u32_e32 v24, s12, v0
	v_cmp_le_u32_e32 vcc, s12, v0
	v_mov_b32_e32 v27, v1
	v_mov_b32_e32 v29, v1
	v_cndmask_b32_e32 v0, v0, v24, vcc
	v_subrev_u32_e32 v24, s12, v0
	v_cmp_le_u32_e32 vcc, s12, v0
	s_nop 1
	v_cndmask_b32_e32 v0, v0, v24, vcc
	v_add_u32_e32 v24, 1, v54
	v_mul_hi_u32 v25, v24, v65
	v_mul_lo_u32 v25, v25, s12
	v_sub_u32_e32 v24, v24, v25
	v_subrev_u32_e32 v25, s12, v24
	v_cmp_le_u32_e32 vcc, s12, v24
	v_lshl_add_u64 v[32:33], v[0:1], 1, s[18:19]
	v_add_u32_e32 v0, s13, v0
	v_cndmask_b32_e32 v24, v24, v25, vcc
	v_subrev_u32_e32 v25, s12, v24
	v_cmp_le_u32_e32 vcc, s12, v24
	v_lshl_add_u64 v[40:41], v[0:1], 1, s[18:19]
	s_nop 0
	v_cndmask_b32_e32 v24, v24, v25, vcc
	v_mov_b32_e32 v25, v1
	v_lshl_add_u64 v[34:35], v[24:25], 1, s[18:19]
	v_mul_hi_u32 v25, v8, v65
	v_mul_lo_u32 v25, v25, s12
	v_sub_u32_e32 v25, v8, v25
	v_subrev_u32_e32 v26, s12, v25
	v_cmp_le_u32_e32 vcc, s12, v25
	v_add_u32_e32 v0, s13, v24
	v_lshl_add_u64 v[42:43], v[0:1], 1, s[18:19]
	v_cndmask_b32_e32 v25, v25, v26, vcc
	v_subrev_u32_e32 v26, s12, v25
	v_cmp_le_u32_e32 vcc, s12, v25
	s_nop 1
	v_cndmask_b32_e32 v26, v25, v26, vcc
	v_mul_hi_u32 v25, v6, v65
	v_mul_lo_u32 v25, v25, s12
	v_sub_u32_e32 v25, v6, v25
	v_lshl_add_u64 v[36:37], v[26:27], 1, s[18:19]
	v_subrev_u32_e32 v27, s12, v25
	v_cmp_le_u32_e32 vcc, s12, v25
	v_add_u32_e32 v0, s13, v26
	v_lshl_add_u64 v[44:45], v[0:1], 1, s[18:19]
	v_cndmask_b32_e32 v25, v25, v27, vcc
	v_subrev_u32_e32 v27, s12, v25
	v_cmp_le_u32_e32 vcc, s12, v25
	s_nop 1
	v_cndmask_b32_e32 v28, v25, v27, vcc
	v_add_u32_e32 v0, s13, v28
	v_lshl_add_u64 v[38:39], v[28:29], 1, s[18:19]
	v_lshl_add_u64 v[46:47], v[0:1], 1, s[18:19]
	global_load_ushort v30, v[32:33], off
	global_load_ushort v29, v[34:35], off
	;; [unrolled: 1-line block ×8, first 2 shown]
.LBB52_35:                              ;   in Loop: Header=BB52_12 Depth=1
	v_cmp_ne_u32_e32 vcc, 0, v2
	s_and_saveexec_b64 s[6:7], vcc
	s_cbranch_execnz .LBB52_49
; %bb.36:                               ;   in Loop: Header=BB52_12 Depth=1
	s_or_b64 exec, exec, s[6:7]
	v_cmp_ne_u32_e64 s[6:7], 0, v3
	s_and_saveexec_b64 s[8:9], s[6:7]
	s_cbranch_execnz .LBB52_50
.LBB52_37:                              ;   in Loop: Header=BB52_12 Depth=1
	s_or_b64 exec, exec, s[8:9]
	v_cmp_ne_u32_e64 s[8:9], 0, v4
	s_and_saveexec_b64 s[10:11], s[8:9]
	s_cbranch_execnz .LBB52_51
.LBB52_38:                              ;   in Loop: Header=BB52_12 Depth=1
	s_or_b64 exec, exec, s[10:11]
	v_cmp_ne_u32_e64 s[10:11], 0, v5
	s_and_saveexec_b64 s[38:39], s[10:11]
	s_cbranch_execnz .LBB52_52
.LBB52_39:                              ;   in Loop: Header=BB52_12 Depth=1
	s_or_b64 exec, exec, s[38:39]
	s_waitcnt vmcnt(4)
	v_add_u32_e32 v0, s23, v54
	s_and_saveexec_b64 s[38:39], vcc
	s_cbranch_execnz .LBB52_53
.LBB52_40:                              ;   in Loop: Header=BB52_12 Depth=1
	s_or_b64 exec, exec, s[38:39]
	s_and_saveexec_b64 s[38:39], s[6:7]
	s_cbranch_execnz .LBB52_54
.LBB52_41:                              ;   in Loop: Header=BB52_12 Depth=1
	s_or_b64 exec, exec, s[38:39]
	s_and_saveexec_b64 s[6:7], s[8:9]
	s_cbranch_execnz .LBB52_55
.LBB52_42:                              ;   in Loop: Header=BB52_12 Depth=1
	s_or_b64 exec, exec, s[6:7]
	s_and_b64 exec, exec, s[10:11]
	s_cbranch_execz .LBB52_44
.LBB52_43:                              ;   in Loop: Header=BB52_12 Depth=1
	v_cvt_f32_i32_e32 v6, v15
	s_waitcnt vmcnt(0)
	v_cvt_f32_f16_e32 v7, v24
	v_add_u32_e32 v0, 3, v0
	v_add_f32_e32 v6, v12, v6
	v_add_f32_e32 v6, v6, v7
	v_cvt_f16_f32_e32 v8, v6
	v_lshl_add_u64 v[6:7], v[0:1], 1, s[24:25]
	global_store_short v[6:7], v8, off
.LBB52_44:                              ;   in Loop: Header=BB52_12 Depth=1
	s_or_b64 exec, exec, s[36:37]
	v_add_u32_e32 v54, s44, v54
	v_add_u32_e32 v0, 4, v54
	v_cmp_gt_u32_e32 vcc, s23, v54
	v_cmp_le_u32_e64 s[6:7], s23, v0
	s_and_b64 s[6:7], vcc, s[6:7]
	s_and_saveexec_b64 s[8:9], s[6:7]
	s_cbranch_execz .LBB52_10
; %bb.45:                               ;   in Loop: Header=BB52_12 Depth=1
	v_cmp_ne_u32_e32 vcc, s45, v54
	s_and_saveexec_b64 s[10:11], vcc
	s_cbranch_execz .LBB52_9
; %bb.46:                               ;   in Loop: Header=BB52_12 Depth=1
	v_subrev_u32_e32 v0, s45, v54
	v_cmp_lt_u32_e32 vcc, 1, v0
	s_mov_b64 s[36:37], 0
	s_mov_b64 s[38:39], 0
	v_cndmask_b32_e32 v0, 1, v0, vcc
.LBB52_47:                              ;   Parent Loop BB52_12 Depth=1
                                        ; =>  This Inner Loop Header: Depth=2
	s_cmp_lg_u32 s38, 3
	s_cselect_b64 vcc, -1, 0
	s_cmp_lg_u32 s38, 2
	v_cndmask_b32_e32 v5, 0, v5, vcc
	s_cselect_b64 vcc, -1, 0
	s_cmp_lg_u32 s38, 1
	v_cndmask_b32_e32 v4, 0, v4, vcc
	;; [unrolled: 3-line block ×3, first 2 shown]
	s_cselect_b64 vcc, -1, 0
	s_add_u32 s38, s38, 1
	s_addc_u32 s39, s39, 0
	v_cmp_eq_u32_e64 s[6:7], s38, v0
	s_or_b64 s[36:37], s[6:7], s[36:37]
	v_cndmask_b32_e32 v2, 0, v2, vcc
	s_andn2_b64 exec, exec, s[36:37]
	s_cbranch_execnz .LBB52_47
; %bb.48:                               ;   in Loop: Header=BB52_12 Depth=1
	s_or_b64 exec, exec, s[36:37]
	s_branch .LBB52_9
.LBB52_49:                              ;   in Loop: Header=BB52_12 Depth=1
	v_cvt_f32_i32_e32 v14, v14
	s_waitcnt vmcnt(7)
	v_cvt_f32_f16_e32 v30, v30
	v_mov_b32_e32 v55, v1
	v_add_f32_e32 v11, v11, v14
	v_add_f32_e32 v11, v11, v30
	v_cvt_f16_f32_e32 v11, v11
	v_lshl_add_u64 v[30:31], v[54:55], 1, s[24:25]
	global_store_short v[30:31], v11, off
	s_or_b64 exec, exec, s[6:7]
	v_cmp_ne_u32_e64 s[6:7], 0, v3
	s_and_saveexec_b64 s[8:9], s[6:7]
	s_cbranch_execz .LBB52_37
.LBB52_50:                              ;   in Loop: Header=BB52_12 Depth=1
	v_cvt_f32_i32_e32 v11, v16
	s_waitcnt vmcnt(6)
	v_cvt_f32_f16_e32 v14, v29
	v_mov_b32_e32 v55, v1
	v_lshl_add_u64 v[30:31], v[54:55], 1, s[30:31]
	v_add_f32_e32 v7, v7, v11
	v_add_f32_e32 v7, v7, v14
	v_cvt_f16_f32_e32 v7, v7
	global_store_short v[30:31], v7, off
	s_or_b64 exec, exec, s[8:9]
	v_cmp_ne_u32_e64 s[8:9], 0, v4
	s_and_saveexec_b64 s[10:11], s[8:9]
	s_cbranch_execz .LBB52_38
.LBB52_51:                              ;   in Loop: Header=BB52_12 Depth=1
	v_cvt_f32_i32_e32 v7, v18
	s_waitcnt vmcnt(5)
	v_cvt_f32_f16_e32 v11, v28
	v_add_f32_e32 v7, v9, v7
	v_add_f32_e32 v7, v7, v11
	v_cvt_f16_f32_e32 v7, v7
	v_mov_b32_e32 v9, v1
	v_lshl_add_u64 v[8:9], v[8:9], 1, s[24:25]
	global_store_short v[8:9], v7, off
	s_or_b64 exec, exec, s[10:11]
	v_cmp_ne_u32_e64 s[10:11], 0, v5
	s_and_saveexec_b64 s[38:39], s[10:11]
	s_cbranch_execz .LBB52_39
.LBB52_52:                              ;   in Loop: Header=BB52_12 Depth=1
	v_cvt_f32_i32_e32 v7, v13
	s_waitcnt vmcnt(4)
	v_cvt_f32_f16_e32 v0, v0
	v_add_f32_e32 v7, v10, v7
	v_add_f32_e32 v0, v7, v0
	v_cvt_f16_f32_e32 v0, v0
	v_mov_b32_e32 v7, v1
	v_lshl_add_u64 v[6:7], v[6:7], 1, s[24:25]
	global_store_short v[6:7], v0, off
	s_or_b64 exec, exec, s[38:39]
	v_add_u32_e32 v0, s23, v54
	s_and_saveexec_b64 s[38:39], vcc
	s_cbranch_execz .LBB52_40
.LBB52_53:                              ;   in Loop: Header=BB52_12 Depth=1
	v_cvt_f32_i32_e32 v6, v23
	s_waitcnt vmcnt(3)
	v_cvt_f32_f16_e32 v7, v27
	v_add_f32_e32 v6, v21, v6
	v_add_f32_e32 v6, v6, v7
	v_cvt_f16_f32_e32 v8, v6
	v_lshl_add_u64 v[6:7], v[0:1], 1, s[24:25]
	global_store_short v[6:7], v8, off
	s_or_b64 exec, exec, s[38:39]
	s_and_saveexec_b64 s[38:39], s[6:7]
	s_cbranch_execz .LBB52_41
.LBB52_54:                              ;   in Loop: Header=BB52_12 Depth=1
	v_cvt_f32_i32_e32 v6, v22
	s_waitcnt vmcnt(2)
	v_cvt_f32_f16_e32 v7, v26
	v_add_f32_e32 v6, v20, v6
	v_add_f32_e32 v6, v6, v7
	v_cvt_f16_f32_e32 v8, v6
	v_add_u32_e32 v6, 1, v0
	v_mov_b32_e32 v7, v1
	v_lshl_add_u64 v[6:7], v[6:7], 1, s[24:25]
	global_store_short v[6:7], v8, off
	s_or_b64 exec, exec, s[38:39]
	s_and_saveexec_b64 s[6:7], s[8:9]
	s_cbranch_execz .LBB52_42
.LBB52_55:                              ;   in Loop: Header=BB52_12 Depth=1
	v_cvt_f32_i32_e32 v6, v19
	s_waitcnt vmcnt(1)
	v_cvt_f32_f16_e32 v7, v25
	v_add_f32_e32 v6, v17, v6
	v_add_f32_e32 v6, v6, v7
	v_cvt_f16_f32_e32 v8, v6
	v_add_u32_e32 v6, 2, v0
	v_mov_b32_e32 v7, v1
	v_lshl_add_u64 v[6:7], v[6:7], 1, s[24:25]
	global_store_short v[6:7], v8, off
	s_or_b64 exec, exec, s[6:7]
	s_and_b64 exec, exec, s[10:11]
	s_cbranch_execnz .LBB52_43
	s_branch .LBB52_44
.LBB52_56:
	s_endpgm
	.section	.rodata,"a",@progbits
	.p2align	6, 0x0
	.amdhsa_kernel _Z16wvSplitK_hf_big_I6__halfLi32ELi4ELi16ELi8ELi2ELi2EEviiiiiiPKT_S3_S3_PS1_ii
		.amdhsa_group_segment_fixed_size 65536
		.amdhsa_private_segment_fixed_size 0
		.amdhsa_kernarg_size 64
		.amdhsa_user_sgpr_count 2
		.amdhsa_user_sgpr_dispatch_ptr 0
		.amdhsa_user_sgpr_queue_ptr 0
		.amdhsa_user_sgpr_kernarg_segment_ptr 1
		.amdhsa_user_sgpr_dispatch_id 0
		.amdhsa_user_sgpr_kernarg_preload_length 0
		.amdhsa_user_sgpr_kernarg_preload_offset 0
		.amdhsa_user_sgpr_private_segment_size 0
		.amdhsa_uses_dynamic_stack 0
		.amdhsa_enable_private_segment 0
		.amdhsa_system_sgpr_workgroup_id_x 1
		.amdhsa_system_sgpr_workgroup_id_y 0
		.amdhsa_system_sgpr_workgroup_id_z 0
		.amdhsa_system_sgpr_workgroup_info 0
		.amdhsa_system_vgpr_workitem_id 1
		.amdhsa_next_free_vgpr 78
		.amdhsa_next_free_sgpr 50
		.amdhsa_accum_offset 80
		.amdhsa_reserve_vcc 1
		.amdhsa_float_round_mode_32 0
		.amdhsa_float_round_mode_16_64 0
		.amdhsa_float_denorm_mode_32 3
		.amdhsa_float_denorm_mode_16_64 3
		.amdhsa_dx10_clamp 1
		.amdhsa_ieee_mode 1
		.amdhsa_fp16_overflow 0
		.amdhsa_tg_split 0
		.amdhsa_exception_fp_ieee_invalid_op 0
		.amdhsa_exception_fp_denorm_src 0
		.amdhsa_exception_fp_ieee_div_zero 0
		.amdhsa_exception_fp_ieee_overflow 0
		.amdhsa_exception_fp_ieee_underflow 0
		.amdhsa_exception_fp_ieee_inexact 0
		.amdhsa_exception_int_div_zero 0
	.end_amdhsa_kernel
	.section	.text._Z16wvSplitK_hf_big_I6__halfLi32ELi4ELi16ELi8ELi2ELi2EEviiiiiiPKT_S3_S3_PS1_ii,"axG",@progbits,_Z16wvSplitK_hf_big_I6__halfLi32ELi4ELi16ELi8ELi2ELi2EEviiiiiiPKT_S3_S3_PS1_ii,comdat
.Lfunc_end52:
	.size	_Z16wvSplitK_hf_big_I6__halfLi32ELi4ELi16ELi8ELi2ELi2EEviiiiiiPKT_S3_S3_PS1_ii, .Lfunc_end52-_Z16wvSplitK_hf_big_I6__halfLi32ELi4ELi16ELi8ELi2ELi2EEviiiiiiPKT_S3_S3_PS1_ii
                                        ; -- End function
	.section	.AMDGPU.csdata,"",@progbits
; Kernel info:
; codeLenInByte = 4008
; NumSgprs: 56
; NumVgprs: 78
; NumAgprs: 0
; TotalNumVgprs: 78
; ScratchSize: 0
; MemoryBound: 0
; FloatMode: 240
; IeeeMode: 1
; LDSByteSize: 65536 bytes/workgroup (compile time only)
; SGPRBlocks: 6
; VGPRBlocks: 9
; NumSGPRsForWavesPerEU: 56
; NumVGPRsForWavesPerEU: 78
; AccumOffset: 80
; Occupancy: 2
; WaveLimiterHint : 0
; COMPUTE_PGM_RSRC2:SCRATCH_EN: 0
; COMPUTE_PGM_RSRC2:USER_SGPR: 2
; COMPUTE_PGM_RSRC2:TRAP_HANDLER: 0
; COMPUTE_PGM_RSRC2:TGID_X_EN: 1
; COMPUTE_PGM_RSRC2:TGID_Y_EN: 0
; COMPUTE_PGM_RSRC2:TGID_Z_EN: 0
; COMPUTE_PGM_RSRC2:TIDIG_COMP_CNT: 1
; COMPUTE_PGM_RSRC3_GFX90A:ACCUM_OFFSET: 19
; COMPUTE_PGM_RSRC3_GFX90A:TG_SPLIT: 0
	.section	.text._Z16wvSplitK_hf_sml_I6__halfLi64ELi1ELi16ELi8ELi4ELi2EEviiiiiiPKT_S3_S3_PS1_ii,"axG",@progbits,_Z16wvSplitK_hf_sml_I6__halfLi64ELi1ELi16ELi8ELi4ELi2EEviiiiiiPKT_S3_S3_PS1_ii,comdat
	.protected	_Z16wvSplitK_hf_sml_I6__halfLi64ELi1ELi16ELi8ELi4ELi2EEviiiiiiPKT_S3_S3_PS1_ii ; -- Begin function _Z16wvSplitK_hf_sml_I6__halfLi64ELi1ELi16ELi8ELi4ELi2EEviiiiiiPKT_S3_S3_PS1_ii
	.globl	_Z16wvSplitK_hf_sml_I6__halfLi64ELi1ELi16ELi8ELi4ELi2EEviiiiiiPKT_S3_S3_PS1_ii
	.p2align	8
	.type	_Z16wvSplitK_hf_sml_I6__halfLi64ELi1ELi16ELi8ELi4ELi2EEviiiiiiPKT_S3_S3_PS1_ii,@function
_Z16wvSplitK_hf_sml_I6__halfLi64ELi1ELi16ELi8ELi4ELi2EEviiiiiiPKT_S3_S3_PS1_ii: ; @_Z16wvSplitK_hf_sml_I6__halfLi64ELi1ELi16ELi8ELi4ELi2EEviiiiiiPKT_S3_S3_PS1_ii
; %bb.0:
	s_load_dwordx4 s[4:7], s[0:1], 0x0
	s_load_dwordx2 s[8:9], s[0:1], 0x10
	s_load_dwordx2 s[10:11], s[0:1], 0x28
	v_and_b32_e32 v2, 0x3ff, v0
	v_bfe_u32 v3, v0, 10, 10
	v_lshlrev_b32_e32 v54, 3, v2
	s_waitcnt lgkmcnt(0)
	s_lshl_b32 s6, s6, 1
	v_lshl_add_u32 v4, v3, 9, v54
	s_min_u32 s3, s6, 0x8000
	v_cmp_gt_u32_e32 vcc, s3, v4
	s_and_saveexec_b64 s[12:13], vcc
	s_cbranch_execz .LBB53_3
; %bb.1:
	s_load_dwordx2 s[14:15], s[0:1], 0x20
	v_mov_b32_e32 v7, 0
	v_lshlrev_b32_e32 v6, 10, v3
	v_lshlrev_b32_e32 v8, 4, v2
	v_mov_b32_e32 v9, v7
	v_lshl_add_u64 v[0:1], v[6:7], 0, v[8:9]
	s_waitcnt lgkmcnt(0)
	v_lshl_add_u64 v[0:1], s[14:15], 0, v[0:1]
	v_add_u32_e32 v5, v6, v8
	s_mov_b64 s[14:15], 0
	s_mov_b64 s[16:17], 0x4000
.LBB53_2:                               ; =>This Inner Loop Header: Depth=1
	global_load_dwordx4 v[6:9], v[0:1], off
	v_add_u32_e32 v4, 0x2000, v4
	v_cmp_le_u32_e32 vcc, s3, v4
	v_lshl_add_u64 v[0:1], v[0:1], 0, s[16:17]
	s_or_b64 s[14:15], vcc, s[14:15]
	s_waitcnt vmcnt(0)
	ds_write_b128 v5, v[6:9]
	v_add_u32_e32 v5, 0x4000, v5
	s_andn2_b64 exec, exec, s[14:15]
	s_cbranch_execnz .LBB53_2
.LBB53_3:
	s_or_b64 exec, exec, s[12:13]
	s_load_dwordx2 s[20:21], s[0:1], 0x38
	s_waitcnt lgkmcnt(0)
	s_barrier
	v_cmp_gt_u32_e32 vcc, s20, v3
	s_and_saveexec_b64 s[12:13], vcc
	s_cbranch_execz .LBB53_24
; %bb.4:
	s_mul_i32 s2, s2, s20
	v_add_u32_e32 v48, s2, v3
	v_cmp_gt_u32_e32 vcc, s7, v48
	s_and_b64 exec, exec, vcc
	s_cbranch_execz .LBB53_24
; %bb.5:
	v_cvt_f32_u32_e32 v0, s8
	s_cmp_lg_u32 s4, 0
	s_cselect_b64 s[2:3], -1, 0
	s_add_i32 s28, s4, -8
	v_rcp_iflag_f32_e32 v0, v0
	s_add_i32 s29, s7, -1
	s_cmp_lg_u64 s[10:11], 0
	s_cselect_b64 s[18:19], -1, 0
	v_mul_f32_e32 v0, 0x4f7ffffe, v0
	v_cvt_u32_f32_e32 v0, v0
	s_mul_i32 s30, s21, s20
	s_sub_i32 s20, 0, s8
	s_abs_i32 s9, s9
	v_mul_lo_u32 v1, s20, v0
	s_sub_i32 s20, 1, s9
	s_cmp_lt_u32 s9, 2
	s_load_dwordx2 s[12:13], s[0:1], 0x18
	s_load_dwordx2 s[14:15], s[0:1], 0x30
	s_cselect_b32 s20, s20, 1
	s_sub_i32 s21, s20, s9
	v_mul_hi_u32 v1, v0, v1
	s_cmp_ge_u32 s20, s9
	v_add_u32_e32 v55, v0, v1
	s_cselect_b32 s9, s21, s20
	v_cndmask_b32_e64 v0, 0, 1, s[2:3]
	v_cmp_eq_u32_e64 s[0:1], 63, v2
	s_mov_b64 s[16:17], 0
	v_mov_b32_e32 v51, 0
	s_mul_i32 s9, s9, s8
	v_lshlrev_b32_e32 v56, 4, v2
	v_cmp_ne_u32_e64 s[2:3], 1, v0
	s_branch .LBB53_8
.LBB53_6:                               ;   in Loop: Header=BB53_8 Depth=1
	v_cvt_f32_i32_e32 v3, v3
	v_cvt_f32_i32_e32 v2, v2
	s_waitcnt vmcnt(1)
	v_cvt_f32_f16_e32 v5, v5
	v_add_u32_e32 v50, s7, v48
	v_add_f32_e32 v0, v0, v3
	s_waitcnt vmcnt(0)
	v_cvt_f32_f16_e32 v3, v4
	v_add_f32_e32 v2, v1, v2
	v_add_f32_e32 v0, v0, v5
	v_cvt_f16_f32_e32 v4, v0
	v_add_f32_e32 v2, v2, v3
	v_cvt_f16_f32_e32 v2, v2
	s_waitcnt lgkmcnt(0)
	v_lshl_add_u64 v[0:1], v[48:49], 1, s[14:15]
	global_store_short v[0:1], v4, off
	v_lshl_add_u64 v[0:1], v[50:51], 1, s[14:15]
	global_store_short v[0:1], v2, off
.LBB53_7:                               ;   in Loop: Header=BB53_8 Depth=1
	s_or_b64 exec, exec, s[20:21]
	v_add_u32_e32 v48, s30, v48
	v_cmp_le_u32_e32 vcc, s7, v48
	s_or_b64 s[16:17], vcc, s[16:17]
	s_andn2_b64 exec, exec, s[16:17]
	s_cbranch_execz .LBB53_24
.LBB53_8:                               ; =>This Loop Header: Depth=1
                                        ;     Child Loop BB53_14 Depth 2
	s_mov_b32 s31, 0
	s_and_b64 vcc, exec, s[2:3]
	v_mov_b32_e32 v57, v51
	v_mov_b32_e32 v49, v51
	s_cbranch_vccnz .LBB53_19
; %bb.9:                                ;   in Loop: Header=BB53_8 Depth=1
	v_min_u32_e32 v0, s29, v48
	v_mul_lo_u32 v50, v0, s5
	s_waitcnt lgkmcnt(0)
	v_lshl_add_u64 v[52:53], v[50:51], 1, s[12:13]
	v_mov_b32_e32 v49, 0
	v_mov_b32_e32 v58, v56
	;; [unrolled: 1-line block ×3, first 2 shown]
	s_branch .LBB53_14
.LBB53_10:                              ;   in Loop: Header=BB53_14 Depth=2
	s_or_b64 exec, exec, s[26:27]
.LBB53_11:                              ;   in Loop: Header=BB53_14 Depth=2
	s_or_b64 exec, exec, s[24:25]
.LBB53_12:                              ;   in Loop: Header=BB53_14 Depth=2
	s_or_b64 exec, exec, s[22:23]
.LBB53_13:                              ;   in Loop: Header=BB53_14 Depth=2
	s_or_b64 exec, exec, s[20:21]
	s_waitcnt vmcnt(3) lgkmcnt(1)
	;;#ASMSTART
	v_dot2c_f32_f16 v49, v36, v16
	;;#ASMEND
	s_waitcnt lgkmcnt(0)
	;;#ASMSTART
	v_dot2c_f32_f16 v57, v28, v16
	;;#ASMEND
	s_addk_i32 s31, 0x800
	;;#ASMSTART
	v_dot2c_f32_f16 v49, v37, v17
	;;#ASMEND
	;;#ASMSTART
	v_dot2c_f32_f16 v57, v29, v17
	;;#ASMEND
	s_cmp_ge_u32 s31, s4
	;;#ASMSTART
	v_dot2c_f32_f16 v49, v38, v18
	;;#ASMEND
	;;#ASMSTART
	v_dot2c_f32_f16 v57, v30, v18
	;;#ASMEND
	v_add_u32_e32 v58, 0x1000, v58
	;;#ASMSTART
	v_dot2c_f32_f16 v49, v39, v19
	;;#ASMEND
	;;#ASMSTART
	v_dot2c_f32_f16 v57, v31, v19
	;;#ASMEND
	s_waitcnt vmcnt(2)
	;;#ASMSTART
	v_dot2c_f32_f16 v49, v44, v8
	;;#ASMEND
	;;#ASMSTART
	v_dot2c_f32_f16 v57, v32, v8
	;;#ASMEND
	s_nop 0
	;;#ASMSTART
	v_dot2c_f32_f16 v49, v45, v9
	;;#ASMEND
	;;#ASMSTART
	v_dot2c_f32_f16 v57, v33, v9
	;;#ASMEND
	s_nop 0
	;;#ASMSTART
	v_dot2c_f32_f16 v49, v46, v10
	;;#ASMEND
	;;#ASMSTART
	v_dot2c_f32_f16 v57, v34, v10
	;;#ASMEND
	s_nop 0
	;;#ASMSTART
	v_dot2c_f32_f16 v49, v47, v11
	;;#ASMEND
	;;#ASMSTART
	v_dot2c_f32_f16 v57, v35, v11
	;;#ASMEND
	s_waitcnt vmcnt(1)
	;;#ASMSTART
	v_dot2c_f32_f16 v49, v40, v4
	;;#ASMEND
	;;#ASMSTART
	v_dot2c_f32_f16 v57, v24, v4
	;;#ASMEND
	s_nop 0
	;;#ASMSTART
	v_dot2c_f32_f16 v49, v41, v5
	;;#ASMEND
	;;#ASMSTART
	v_dot2c_f32_f16 v57, v25, v5
	;;#ASMEND
	s_nop 0
	;;#ASMSTART
	v_dot2c_f32_f16 v49, v42, v6
	;;#ASMEND
	;;#ASMSTART
	v_dot2c_f32_f16 v57, v26, v6
	;;#ASMEND
	s_nop 0
	;;#ASMSTART
	v_dot2c_f32_f16 v49, v43, v7
	;;#ASMEND
	;;#ASMSTART
	v_dot2c_f32_f16 v57, v27, v7
	;;#ASMEND
	s_waitcnt vmcnt(0)
	;;#ASMSTART
	v_dot2c_f32_f16 v49, v20, v0
	;;#ASMEND
	;;#ASMSTART
	v_dot2c_f32_f16 v57, v12, v0
	;;#ASMEND
	s_nop 0
	;;#ASMSTART
	v_dot2c_f32_f16 v49, v21, v1
	;;#ASMEND
	;;#ASMSTART
	v_dot2c_f32_f16 v57, v13, v1
	;;#ASMEND
	s_nop 0
	;;#ASMSTART
	v_dot2c_f32_f16 v49, v22, v2
	;;#ASMEND
	;;#ASMSTART
	v_dot2c_f32_f16 v57, v14, v2
	;;#ASMEND
	s_nop 0
	;;#ASMSTART
	v_dot2c_f32_f16 v49, v23, v3
	;;#ASMEND
	;;#ASMSTART
	v_dot2c_f32_f16 v57, v15, v3
	;;#ASMEND
	s_cbranch_scc1 .LBB53_19
.LBB53_14:                              ;   Parent Loop BB53_8 Depth=1
                                        ; =>  This Inner Loop Header: Depth=2
	v_add_u32_e32 v20, s31, v54
	v_min_u32_e32 v50, s28, v20
	v_add_u32_e32 v61, 0x200, v20
	v_lshl_add_u64 v[0:1], v[50:51], 1, v[52:53]
	v_min_u32_e32 v50, s28, v61
	v_add_u32_e32 v60, 0x400, v20
	v_lshl_add_u64 v[2:3], v[50:51], 1, v[52:53]
	;; [unrolled: 3-line block ×3, first 2 shown]
	v_min_u32_e32 v50, s28, v59
	global_load_dwordx4 v[16:19], v[0:1], off nt
	global_load_dwordx4 v[8:11], v[2:3], off nt
	v_lshl_add_u64 v[14:15], v[50:51], 1, v[52:53]
	global_load_dwordx4 v[4:7], v[12:13], off nt
	global_load_dwordx4 v[0:3], v[14:15], off nt
	v_cmp_gt_u32_e32 vcc, s4, v20
	v_mov_b32_e32 v38, 0
	v_mov_b32_e32 v39, 0
	;; [unrolled: 1-line block ×32, first 2 shown]
	s_and_saveexec_b64 s[20:21], vcc
	s_cbranch_execz .LBB53_13
; %bb.15:                               ;   in Loop: Header=BB53_14 Depth=2
	v_add_u32_e32 v50, s6, v58
	ds_read_b128 v[36:39], v58
	ds_read_b128 v[28:31], v50
	v_cmp_gt_u32_e32 vcc, s4, v61
	v_mov_b32_e32 v15, 0
	v_mov_b32_e32 v14, 0
	;; [unrolled: 1-line block ×24, first 2 shown]
	s_and_saveexec_b64 s[22:23], vcc
	s_cbranch_execz .LBB53_12
; %bb.16:                               ;   in Loop: Header=BB53_14 Depth=2
	ds_read_b128 v[44:47], v58 offset:1024
	ds_read_b128 v[32:35], v50 offset:1024
	v_cmp_gt_u32_e32 vcc, s4, v60
	v_mov_b32_e32 v15, 0
	v_mov_b32_e32 v14, 0
	;; [unrolled: 1-line block ×16, first 2 shown]
	s_and_saveexec_b64 s[24:25], vcc
	s_cbranch_execz .LBB53_11
; %bb.17:                               ;   in Loop: Header=BB53_14 Depth=2
	ds_read_b128 v[40:43], v58 offset:2048
	ds_read_b128 v[24:27], v50 offset:2048
	v_cmp_gt_u32_e32 vcc, s4, v59
	v_mov_b32_e32 v15, 0
	v_mov_b32_e32 v14, 0
	;; [unrolled: 1-line block ×8, first 2 shown]
	s_and_saveexec_b64 s[26:27], vcc
	s_cbranch_execz .LBB53_10
; %bb.18:                               ;   in Loop: Header=BB53_14 Depth=2
	ds_read_b128 v[20:23], v58 offset:3072
	ds_read_b128 v[12:15], v50 offset:3072
	s_branch .LBB53_10
.LBB53_19:                              ;   in Loop: Header=BB53_8 Depth=1
	; sched_barrier mask(0x00000000)
	v_cvt_i32_f32_e32 v0, v49
	v_cvt_i32_f32_e32 v1, v57
	s_nop 0
	v_cvt_f32_i32_dpp v0, v0 row_shr:8 row_mask:0xf bank_mask:0xf bound_ctrl:1
	v_cvt_f32_i32_dpp v1, v1 row_shr:8 row_mask:0xf bank_mask:0xf bound_ctrl:1
	v_add_f32_e32 v0, v49, v0
	v_add_f32_e32 v1, v57, v1
	v_cvt_i32_f32_e32 v2, v0
	v_cvt_i32_f32_e32 v3, v1
	s_nop 0
	v_cvt_f32_i32_dpp v2, v2 row_shr:4 row_mask:0xf bank_mask:0xf bound_ctrl:1
	v_cvt_f32_i32_dpp v3, v3 row_shr:4 row_mask:0xf bank_mask:0xf bound_ctrl:1
	v_add_f32_e32 v0, v0, v2
	v_add_f32_e32 v1, v1, v3
	;; [unrolled: 7-line block ×4, first 2 shown]
	v_cvt_i32_f32_e32 v2, v0
	v_cvt_i32_f32_e32 v3, v1
	s_nop 0
	v_cvt_f32_i32_dpp v2, v2 row_bcast:15 row_mask:0xf bank_mask:0xf bound_ctrl:1
	v_cvt_f32_i32_dpp v3, v3 row_bcast:15 row_mask:0xf bank_mask:0xf bound_ctrl:1
	v_add_f32_e32 v0, v0, v2
	v_add_f32_e32 v1, v1, v3
	v_cvt_i32_f32_e32 v2, v0
	v_cvt_i32_f32_e32 v4, v1
	s_nop 0
	v_mov_b32_dpp v3, v2 row_bcast:31 row_mask:0xf bank_mask:0xf bound_ctrl:1
	v_mov_b32_dpp v2, v4 row_bcast:31 row_mask:0xf bank_mask:0xf bound_ctrl:1
	s_and_saveexec_b64 s[20:21], s[0:1]
	s_cbranch_execz .LBB53_7
; %bb.20:                               ;   in Loop: Header=BB53_8 Depth=1
	s_and_b64 vcc, exec, s[18:19]
	s_cbranch_vccz .LBB53_22
; %bb.21:                               ;   in Loop: Header=BB53_8 Depth=1
	v_mul_hi_u32 v4, v48, v55
	v_mul_lo_u32 v4, v4, s8
	v_sub_u32_e32 v4, v48, v4
	v_subrev_u32_e32 v5, s8, v4
	v_cmp_le_u32_e32 vcc, s8, v4
	v_mov_b32_e32 v49, v51
	s_nop 0
	v_cndmask_b32_e32 v4, v4, v5, vcc
	v_subrev_u32_e32 v5, s8, v4
	v_cmp_le_u32_e32 vcc, s8, v4
	s_nop 1
	v_cndmask_b32_e32 v50, v4, v5, vcc
	v_lshl_add_u64 v[6:7], v[50:51], 1, s[10:11]
	v_add_u32_e32 v50, s9, v50
	v_lshl_add_u64 v[8:9], v[50:51], 1, s[10:11]
	global_load_ushort v5, v[6:7], off
	global_load_ushort v4, v[8:9], off
	s_cbranch_execnz .LBB53_6
	s_branch .LBB53_23
.LBB53_22:                              ;   in Loop: Header=BB53_8 Depth=1
                                        ; implicit-def: $vgpr5
                                        ; implicit-def: $vgpr4
.LBB53_23:                              ;   in Loop: Header=BB53_8 Depth=1
	v_mov_b32_e32 v49, v51
	s_waitcnt vmcnt(0)
	v_mov_b32_e32 v4, 0
	v_mov_b32_e32 v5, 0
	s_branch .LBB53_6
.LBB53_24:
	s_endpgm
	.section	.rodata,"a",@progbits
	.p2align	6, 0x0
	.amdhsa_kernel _Z16wvSplitK_hf_sml_I6__halfLi64ELi1ELi16ELi8ELi4ELi2EEviiiiiiPKT_S3_S3_PS1_ii
		.amdhsa_group_segment_fixed_size 65536
		.amdhsa_private_segment_fixed_size 0
		.amdhsa_kernarg_size 64
		.amdhsa_user_sgpr_count 2
		.amdhsa_user_sgpr_dispatch_ptr 0
		.amdhsa_user_sgpr_queue_ptr 0
		.amdhsa_user_sgpr_kernarg_segment_ptr 1
		.amdhsa_user_sgpr_dispatch_id 0
		.amdhsa_user_sgpr_kernarg_preload_length 0
		.amdhsa_user_sgpr_kernarg_preload_offset 0
		.amdhsa_user_sgpr_private_segment_size 0
		.amdhsa_uses_dynamic_stack 0
		.amdhsa_enable_private_segment 0
		.amdhsa_system_sgpr_workgroup_id_x 1
		.amdhsa_system_sgpr_workgroup_id_y 0
		.amdhsa_system_sgpr_workgroup_id_z 0
		.amdhsa_system_sgpr_workgroup_info 0
		.amdhsa_system_vgpr_workitem_id 1
		.amdhsa_next_free_vgpr 62
		.amdhsa_next_free_sgpr 32
		.amdhsa_accum_offset 64
		.amdhsa_reserve_vcc 1
		.amdhsa_float_round_mode_32 0
		.amdhsa_float_round_mode_16_64 0
		.amdhsa_float_denorm_mode_32 3
		.amdhsa_float_denorm_mode_16_64 3
		.amdhsa_dx10_clamp 1
		.amdhsa_ieee_mode 1
		.amdhsa_fp16_overflow 0
		.amdhsa_tg_split 0
		.amdhsa_exception_fp_ieee_invalid_op 0
		.amdhsa_exception_fp_denorm_src 0
		.amdhsa_exception_fp_ieee_div_zero 0
		.amdhsa_exception_fp_ieee_overflow 0
		.amdhsa_exception_fp_ieee_underflow 0
		.amdhsa_exception_fp_ieee_inexact 0
		.amdhsa_exception_int_div_zero 0
	.end_amdhsa_kernel
	.section	.text._Z16wvSplitK_hf_sml_I6__halfLi64ELi1ELi16ELi8ELi4ELi2EEviiiiiiPKT_S3_S3_PS1_ii,"axG",@progbits,_Z16wvSplitK_hf_sml_I6__halfLi64ELi1ELi16ELi8ELi4ELi2EEviiiiiiPKT_S3_S3_PS1_ii,comdat
.Lfunc_end53:
	.size	_Z16wvSplitK_hf_sml_I6__halfLi64ELi1ELi16ELi8ELi4ELi2EEviiiiiiPKT_S3_S3_PS1_ii, .Lfunc_end53-_Z16wvSplitK_hf_sml_I6__halfLi64ELi1ELi16ELi8ELi4ELi2EEviiiiiiPKT_S3_S3_PS1_ii
                                        ; -- End function
	.section	.AMDGPU.csdata,"",@progbits
; Kernel info:
; codeLenInByte = 1828
; NumSgprs: 38
; NumVgprs: 62
; NumAgprs: 0
; TotalNumVgprs: 62
; ScratchSize: 0
; MemoryBound: 0
; FloatMode: 240
; IeeeMode: 1
; LDSByteSize: 65536 bytes/workgroup (compile time only)
; SGPRBlocks: 4
; VGPRBlocks: 7
; NumSGPRsForWavesPerEU: 38
; NumVGPRsForWavesPerEU: 62
; AccumOffset: 64
; Occupancy: 4
; WaveLimiterHint : 0
; COMPUTE_PGM_RSRC2:SCRATCH_EN: 0
; COMPUTE_PGM_RSRC2:USER_SGPR: 2
; COMPUTE_PGM_RSRC2:TRAP_HANDLER: 0
; COMPUTE_PGM_RSRC2:TGID_X_EN: 1
; COMPUTE_PGM_RSRC2:TGID_Y_EN: 0
; COMPUTE_PGM_RSRC2:TGID_Z_EN: 0
; COMPUTE_PGM_RSRC2:TIDIG_COMP_CNT: 1
; COMPUTE_PGM_RSRC3_GFX90A:ACCUM_OFFSET: 15
; COMPUTE_PGM_RSRC3_GFX90A:TG_SPLIT: 0
	.section	.text._Z12wvSplitK_hf_I6__halfLi64ELi1ELi16ELi8ELi4ELi2EEviiiiiiPKT_S3_S3_PS1_ii,"axG",@progbits,_Z12wvSplitK_hf_I6__halfLi64ELi1ELi16ELi8ELi4ELi2EEviiiiiiPKT_S3_S3_PS1_ii,comdat
	.protected	_Z12wvSplitK_hf_I6__halfLi64ELi1ELi16ELi8ELi4ELi2EEviiiiiiPKT_S3_S3_PS1_ii ; -- Begin function _Z12wvSplitK_hf_I6__halfLi64ELi1ELi16ELi8ELi4ELi2EEviiiiiiPKT_S3_S3_PS1_ii
	.globl	_Z12wvSplitK_hf_I6__halfLi64ELi1ELi16ELi8ELi4ELi2EEviiiiiiPKT_S3_S3_PS1_ii
	.p2align	8
	.type	_Z12wvSplitK_hf_I6__halfLi64ELi1ELi16ELi8ELi4ELi2EEviiiiiiPKT_S3_S3_PS1_ii,@function
_Z12wvSplitK_hf_I6__halfLi64ELi1ELi16ELi8ELi4ELi2EEviiiiiiPKT_S3_S3_PS1_ii: ; @_Z12wvSplitK_hf_I6__halfLi64ELi1ELi16ELi8ELi4ELi2EEviiiiiiPKT_S3_S3_PS1_ii
; %bb.0:
	s_load_dwordx2 s[4:5], s[0:1], 0x38
	s_load_dwordx4 s[8:11], s[0:1], 0x0
	s_load_dwordx2 s[16:17], s[0:1], 0x10
	v_bfe_u32 v3, v0, 10, 10
	v_mov_b32_e32 v62, 1
	s_waitcnt lgkmcnt(0)
	s_mul_i32 s2, s2, s4
	v_add_u32_e32 v48, s2, v3
	v_add_u32_e32 v1, 1, v48
	v_cmp_gt_u32_e32 vcc, s11, v48
	v_cmp_le_u32_e64 s[2:3], s11, v1
	s_and_b64 s[6:7], vcc, s[2:3]
	s_and_saveexec_b64 s[2:3], s[6:7]
; %bb.1:
	v_subrev_u32_e32 v1, s11, v48
	v_cmp_eq_u32_e32 vcc, -1, v1
	s_add_i32 s6, s11, -1
	v_mov_b32_e32 v48, s6
	v_cndmask_b32_e64 v62, 0, 1, vcc
; %bb.2:
	s_or_b64 exec, exec, s[2:3]
	s_load_dwordx4 s[12:15], s[0:1], 0x20
	v_and_b32_e32 v2, 0x3ff, v0
	v_lshlrev_b32_e32 v63, 3, v2
	s_lshl_b32 s33, s10, 1
	v_lshl_add_u32 v4, v3, 9, v63
	s_min_u32 s20, s33, 0x8000
	v_cmp_gt_u32_e32 vcc, s20, v4
	s_and_saveexec_b64 s[2:3], vcc
	s_cbranch_execz .LBB54_5
; %bb.3:
	v_mov_b32_e32 v7, 0
	v_lshlrev_b32_e32 v6, 10, v3
	v_lshlrev_b32_e32 v8, 4, v2
	v_mov_b32_e32 v9, v7
	v_lshl_add_u64 v[0:1], v[6:7], 0, v[8:9]
	s_waitcnt lgkmcnt(0)
	v_lshl_add_u64 v[0:1], s[12:13], 0, v[0:1]
	v_add_u32_e32 v5, v6, v8
	s_mov_b64 s[6:7], 0
	s_mov_b64 s[18:19], 0x4000
.LBB54_4:                               ; =>This Inner Loop Header: Depth=1
	global_load_dwordx4 v[6:9], v[0:1], off
	v_add_u32_e32 v4, 0x2000, v4
	v_cmp_le_u32_e32 vcc, s20, v4
	v_lshl_add_u64 v[0:1], v[0:1], 0, s[18:19]
	s_or_b64 s[6:7], vcc, s[6:7]
	s_waitcnt vmcnt(0)
	ds_write_b128 v5, v[6:9]
	v_add_u32_e32 v5, 0x4000, v5
	s_andn2_b64 exec, exec, s[6:7]
	s_cbranch_execnz .LBB54_4
.LBB54_5:
	s_or_b64 exec, exec, s[2:3]
	v_cmp_gt_u32_e32 vcc, s4, v3
	v_cmp_gt_u32_e64 s[2:3], s11, v48
	s_and_b64 s[2:3], vcc, s[2:3]
	s_waitcnt lgkmcnt(0)
	s_barrier
	s_and_saveexec_b64 s[6:7], s[2:3]
	s_cbranch_execz .LBB54_56
; %bb.6:
	v_cvt_f32_u32_e32 v0, s16
	s_cmp_lg_u32 s8, 0
	s_cselect_b64 s[2:3], -1, 0
	s_add_i32 s36, s8, -8
	v_rcp_iflag_f32_e32 v0, v0
	s_add_i32 s37, s11, -1
	s_cmp_lg_u64 s[14:15], 0
	s_cselect_b64 s[24:25], -1, 0
	v_mul_f32_e32 v0, 0x4f7ffffe, v0
	v_cvt_u32_f32_e32 v0, v0
	s_mul_i32 s38, s5, s4
	s_sub_i32 s4, 0, s16
	s_sub_i32 s39, s38, s11
	v_mul_lo_u32 v1, s4, v0
	s_abs_i32 s4, s17
	s_add_i32 s39, s39, 2
	s_sub_i32 s5, 1, s4
	s_cmp_lt_u32 s4, 2
	s_load_dwordx2 s[18:19], s[0:1], 0x18
	s_load_dwordx2 s[20:21], s[0:1], 0x30
	s_cselect_b32 s5, s5, 1
	s_sub_i32 s6, s5, s4
	v_mul_hi_u32 v1, v0, v1
	s_cmp_ge_u32 s5, s4
	v_add_u32_e32 v64, v0, v1
	s_cselect_b32 s17, s6, s5
	v_cndmask_b32_e64 v0, 0, 1, s[2:3]
	v_cmp_eq_u32_e64 s[0:1], 63, v2
	s_mov_b64 s[22:23], 0
	v_mov_b32_e32 v51, 0
	s_mul_i32 s17, s17, s16
	v_lshlrev_b32_e32 v65, 4, v2
	v_add_u32_e32 v66, s10, v63
	v_cmp_ne_u32_e64 s[2:3], 1, v0
	s_movk_i32 s10, 0x7fff
	s_mov_b32 s26, 0
	s_branch .LBB54_8
.LBB54_7:                               ;   in Loop: Header=BB54_8 Depth=1
	s_or_b64 exec, exec, s[4:5]
	v_add_u32_e32 v0, s38, v48
	v_add_u32_e32 v1, 1, v0
	v_cmp_le_u32_e32 vcc, s11, v0
	v_cmp_gt_u32_e64 s[4:5], s11, v1
	v_add_u32_e32 v1, s39, v48
	v_cmp_eq_u32_e64 s[6:7], 1, v1
	v_mov_b32_e32 v1, s37
	s_or_b64 vcc, vcc, s[4:5]
	v_cndmask_b32_e32 v48, v1, v0, vcc
	v_cmp_le_u32_e64 s[4:5], s11, v48
	s_or_b64 vcc, vcc, s[6:7]
	s_or_b64 s[22:23], s[4:5], s[22:23]
	v_cndmask_b32_e32 v62, 0, v62, vcc
	s_andn2_b64 exec, exec, s[22:23]
	s_cbranch_execz .LBB54_56
.LBB54_8:                               ; =>This Loop Header: Depth=1
                                        ;     Child Loop BB54_15 Depth 2
	s_and_b64 vcc, exec, s[2:3]
	v_mov_b32_e32 v67, v51
	v_mov_b32_e32 v49, v51
	s_cbranch_vccnz .LBB54_51
; %bb.9:                                ;   in Loop: Header=BB54_8 Depth=1
	v_min_u32_e32 v0, s37, v48
	v_mul_lo_u32 v50, v0, s9
	s_waitcnt lgkmcnt(0)
	v_lshl_add_u64 v[52:53], v[50:51], 1, s[18:19]
	v_mov_b32_e32 v49, 0
	v_mov_b32_e32 v68, v65
	;; [unrolled: 1-line block ×3, first 2 shown]
	s_mov_b32 s40, s26
	s_branch .LBB54_15
.LBB54_10:                              ;   in Loop: Header=BB54_15 Depth=2
	s_or_b64 exec, exec, s[34:35]
.LBB54_11:                              ;   in Loop: Header=BB54_15 Depth=2
	s_or_b64 exec, exec, s[30:31]
.LBB54_12:                              ;   in Loop: Header=BB54_15 Depth=2
	s_or_b64 exec, exec, s[28:29]
.LBB54_13:                              ;   in Loop: Header=BB54_15 Depth=2
	s_or_b64 exec, exec, s[6:7]
.LBB54_14:                              ;   in Loop: Header=BB54_15 Depth=2
	s_or_b64 exec, exec, s[4:5]
	s_waitcnt vmcnt(0) lgkmcnt(0)
	;;#ASMSTART
	v_dot2c_f32_f16 v49, v20, v12
	;;#ASMEND
	;;#ASMSTART
	v_dot2c_f32_f16 v67, v16, v12
	;;#ASMEND
	s_addk_i32 s40, 0x800
	;;#ASMSTART
	v_dot2c_f32_f16 v49, v21, v13
	;;#ASMEND
	;;#ASMSTART
	v_dot2c_f32_f16 v67, v17, v13
	;;#ASMEND
	s_cmp_ge_u32 s40, s8
	;;#ASMSTART
	v_dot2c_f32_f16 v49, v22, v14
	;;#ASMEND
	;;#ASMSTART
	v_dot2c_f32_f16 v67, v18, v14
	;;#ASMEND
	v_add_u32_e32 v68, 0x1000, v68
	;;#ASMSTART
	v_dot2c_f32_f16 v49, v23, v15
	;;#ASMEND
	;;#ASMSTART
	v_dot2c_f32_f16 v67, v19, v15
	;;#ASMEND
	s_nop 0
	;;#ASMSTART
	v_dot2c_f32_f16 v49, v28, v8
	;;#ASMEND
	;;#ASMSTART
	v_dot2c_f32_f16 v67, v24, v8
	;;#ASMEND
	s_nop 0
	;; [unrolled: 7-line block ×12, first 2 shown]
	;;#ASMSTART
	v_dot2c_f32_f16 v49, v47, v3
	;;#ASMEND
	;;#ASMSTART
	v_dot2c_f32_f16 v67, v43, v3
	;;#ASMEND
	s_cbranch_scc1 .LBB54_51
.LBB54_15:                              ;   Parent Loop BB54_8 Depth=1
                                        ; =>  This Inner Loop Header: Depth=2
	v_add_u32_e32 v60, s40, v63
	v_min_u32_e32 v50, s36, v60
	v_add_u32_e32 v58, 0x200, v60
	v_lshl_add_u64 v[0:1], v[50:51], 1, v[52:53]
	v_min_u32_e32 v50, s36, v58
	v_add_u32_e32 v56, 0x400, v60
	v_lshl_add_u64 v[2:3], v[50:51], 1, v[52:53]
	v_min_u32_e32 v50, s36, v56
	v_add_u32_e32 v54, 0x600, v60
	v_lshl_add_u64 v[16:17], v[50:51], 1, v[52:53]
	v_min_u32_e32 v50, s36, v54
	global_load_dwordx4 v[12:15], v[0:1], off nt
	global_load_dwordx4 v[8:11], v[2:3], off nt
	v_lshl_add_u64 v[18:19], v[50:51], 1, v[52:53]
	global_load_dwordx4 v[4:7], v[16:17], off nt
	global_load_dwordx4 v[0:3], v[18:19], off nt
	s_mov_b32 s27, s26
	v_cmp_gt_u32_e32 vcc, s8, v60
	v_mov_b64_e32 v[46:47], s[26:27]
	v_mov_b32_e32 v43, 0
	v_mov_b32_e32 v42, 0
	;; [unrolled: 1-line block ×4, first 2 shown]
	v_mov_b64_e32 v[44:45], s[26:27]
	v_mov_b64_e32 v[34:35], s[26:27]
	;; [unrolled: 1-line block ×13, first 2 shown]
	s_and_saveexec_b64 s[4:5], vcc
	s_cbranch_execz .LBB54_14
; %bb.16:                               ;   in Loop: Header=BB54_15 Depth=2
	v_cmp_lt_u32_e32 vcc, s10, v60
                                        ; implicit-def: $vgpr20_vgpr21
	s_and_saveexec_b64 s[6:7], vcc
	s_xor_b64 s[6:7], exec, s[6:7]
	s_cbranch_execz .LBB54_18
; %bb.17:                               ;   in Loop: Header=BB54_15 Depth=2
	v_mov_b32_e32 v61, v51
	v_lshl_add_u64 v[16:17], v[60:61], 1, s[12:13]
	global_load_dwordx4 v[20:23], v[16:17], off
.LBB54_18:                              ;   in Loop: Header=BB54_15 Depth=2
	s_andn2_saveexec_b64 s[6:7], s[6:7]
	s_cbranch_execz .LBB54_20
; %bb.19:                               ;   in Loop: Header=BB54_15 Depth=2
	s_waitcnt vmcnt(0)
	ds_read_b128 v[20:23], v68
.LBB54_20:                              ;   in Loop: Header=BB54_15 Depth=2
	s_or_b64 exec, exec, s[6:7]
	v_add_u32_e32 v50, s40, v66
	v_cmp_lt_u32_e32 vcc, s10, v50
                                        ; implicit-def: $vgpr18_vgpr19
	s_and_saveexec_b64 s[6:7], vcc
	s_xor_b64 s[6:7], exec, s[6:7]
	s_cbranch_execz .LBB54_22
; %bb.21:                               ;   in Loop: Header=BB54_15 Depth=2
	v_lshl_add_u64 v[16:17], v[50:51], 1, s[12:13]
	global_load_dwordx4 v[16:19], v[16:17], off
.LBB54_22:                              ;   in Loop: Header=BB54_15 Depth=2
	s_andn2_saveexec_b64 s[6:7], s[6:7]
	s_cbranch_execz .LBB54_24
; %bb.23:                               ;   in Loop: Header=BB54_15 Depth=2
	s_waitcnt vmcnt(0)
	v_add_u32_e32 v16, s33, v68
	ds_read_b128 v[16:19], v16
.LBB54_24:                              ;   in Loop: Header=BB54_15 Depth=2
	s_or_b64 exec, exec, s[6:7]
	s_mov_b32 s27, s26
	v_cmp_gt_u32_e32 vcc, s8, v58
	v_mov_b32_e32 v43, 0
	v_mov_b64_e32 v[46:47], s[26:27]
	v_mov_b32_e32 v42, 0
	v_mov_b32_e32 v41, 0
	;; [unrolled: 1-line block ×3, first 2 shown]
	v_mov_b64_e32 v[44:45], s[26:27]
	v_mov_b64_e32 v[34:35], s[26:27]
	;; [unrolled: 1-line block ×9, first 2 shown]
	s_and_saveexec_b64 s[6:7], vcc
	s_cbranch_execz .LBB54_13
; %bb.25:                               ;   in Loop: Header=BB54_15 Depth=2
	v_cmp_lt_u32_e32 vcc, s10, v58
                                        ; implicit-def: $vgpr30_vgpr31
	s_and_saveexec_b64 s[28:29], vcc
	s_xor_b64 s[28:29], exec, s[28:29]
	s_cbranch_execz .LBB54_27
; %bb.26:                               ;   in Loop: Header=BB54_15 Depth=2
	v_mov_b32_e32 v59, v51
	v_lshl_add_u64 v[24:25], v[58:59], 1, s[12:13]
	global_load_dwordx4 v[28:31], v[24:25], off
.LBB54_27:                              ;   in Loop: Header=BB54_15 Depth=2
	s_andn2_saveexec_b64 s[28:29], s[28:29]
	s_cbranch_execz .LBB54_29
; %bb.28:                               ;   in Loop: Header=BB54_15 Depth=2
	s_waitcnt vmcnt(0)
	ds_read_b128 v[28:31], v68 offset:1024
.LBB54_29:                              ;   in Loop: Header=BB54_15 Depth=2
	s_or_b64 exec, exec, s[28:29]
	v_add_u32_e32 v24, 0x200, v50
	v_cmp_lt_u32_e32 vcc, s10, v24
                                        ; implicit-def: $vgpr26_vgpr27
	s_and_saveexec_b64 s[28:29], vcc
	s_xor_b64 s[28:29], exec, s[28:29]
	s_cbranch_execz .LBB54_31
; %bb.30:                               ;   in Loop: Header=BB54_15 Depth=2
	v_mov_b32_e32 v25, v51
	v_lshl_add_u64 v[24:25], v[24:25], 1, s[12:13]
	global_load_dwordx4 v[24:27], v[24:25], off
.LBB54_31:                              ;   in Loop: Header=BB54_15 Depth=2
	s_andn2_saveexec_b64 s[28:29], s[28:29]
	s_cbranch_execz .LBB54_33
; %bb.32:                               ;   in Loop: Header=BB54_15 Depth=2
	s_waitcnt vmcnt(0)
	v_add_u32_e32 v24, s33, v68
	ds_read_b128 v[24:27], v24 offset:1024
.LBB54_33:                              ;   in Loop: Header=BB54_15 Depth=2
	s_or_b64 exec, exec, s[28:29]
	s_mov_b32 s27, s26
	v_cmp_gt_u32_e32 vcc, s8, v56
	v_mov_b32_e32 v43, 0
	v_mov_b64_e32 v[46:47], s[26:27]
	v_mov_b32_e32 v42, 0
	v_mov_b32_e32 v41, 0
	v_mov_b32_e32 v40, 0
	v_mov_b64_e32 v[44:45], s[26:27]
	v_mov_b64_e32 v[34:35], s[26:27]
	v_mov_b64_e32 v[32:33], s[26:27]
	v_mov_b64_e32 v[38:39], s[26:27]
	v_mov_b64_e32 v[36:37], s[26:27]
	s_and_saveexec_b64 s[28:29], vcc
	s_cbranch_execz .LBB54_12
; %bb.34:                               ;   in Loop: Header=BB54_15 Depth=2
	v_cmp_lt_u32_e32 vcc, s10, v56
                                        ; implicit-def: $vgpr38_vgpr39
	s_and_saveexec_b64 s[30:31], vcc
	s_xor_b64 s[30:31], exec, s[30:31]
	s_cbranch_execz .LBB54_36
; %bb.35:                               ;   in Loop: Header=BB54_15 Depth=2
	v_mov_b32_e32 v57, v51
	v_lshl_add_u64 v[32:33], v[56:57], 1, s[12:13]
	global_load_dwordx4 v[36:39], v[32:33], off
.LBB54_36:                              ;   in Loop: Header=BB54_15 Depth=2
	s_andn2_saveexec_b64 s[30:31], s[30:31]
	s_cbranch_execz .LBB54_38
; %bb.37:                               ;   in Loop: Header=BB54_15 Depth=2
	s_waitcnt vmcnt(0)
	ds_read_b128 v[36:39], v68 offset:2048
.LBB54_38:                              ;   in Loop: Header=BB54_15 Depth=2
	s_or_b64 exec, exec, s[30:31]
	v_add_u32_e32 v32, 0x400, v50
	v_cmp_lt_u32_e32 vcc, s10, v32
                                        ; implicit-def: $vgpr34_vgpr35
	s_and_saveexec_b64 s[30:31], vcc
	s_xor_b64 s[30:31], exec, s[30:31]
	s_cbranch_execz .LBB54_40
; %bb.39:                               ;   in Loop: Header=BB54_15 Depth=2
	v_mov_b32_e32 v33, v51
	v_lshl_add_u64 v[32:33], v[32:33], 1, s[12:13]
	global_load_dwordx4 v[32:35], v[32:33], off
.LBB54_40:                              ;   in Loop: Header=BB54_15 Depth=2
	s_andn2_saveexec_b64 s[30:31], s[30:31]
	s_cbranch_execz .LBB54_42
; %bb.41:                               ;   in Loop: Header=BB54_15 Depth=2
	s_waitcnt vmcnt(0)
	v_add_u32_e32 v32, s33, v68
	ds_read_b128 v[32:35], v32 offset:2048
.LBB54_42:                              ;   in Loop: Header=BB54_15 Depth=2
	s_or_b64 exec, exec, s[30:31]
	s_mov_b32 s27, s26
	v_cmp_gt_u32_e32 vcc, s8, v54
	v_mov_b32_e32 v43, 0
	v_mov_b64_e32 v[46:47], s[26:27]
	v_mov_b32_e32 v42, 0
	v_mov_b32_e32 v41, 0
	;; [unrolled: 1-line block ×3, first 2 shown]
	v_mov_b64_e32 v[44:45], s[26:27]
	s_and_saveexec_b64 s[30:31], vcc
	s_cbranch_execz .LBB54_11
; %bb.43:                               ;   in Loop: Header=BB54_15 Depth=2
	v_cmp_lt_u32_e32 vcc, s10, v54
                                        ; implicit-def: $vgpr46_vgpr47
	s_and_saveexec_b64 s[34:35], vcc
	s_xor_b64 s[34:35], exec, s[34:35]
	s_cbranch_execz .LBB54_45
; %bb.44:                               ;   in Loop: Header=BB54_15 Depth=2
	v_mov_b32_e32 v55, v51
	v_lshl_add_u64 v[40:41], v[54:55], 1, s[12:13]
	global_load_dwordx4 v[44:47], v[40:41], off
.LBB54_45:                              ;   in Loop: Header=BB54_15 Depth=2
	s_andn2_saveexec_b64 s[34:35], s[34:35]
	s_cbranch_execz .LBB54_47
; %bb.46:                               ;   in Loop: Header=BB54_15 Depth=2
	s_waitcnt vmcnt(0)
	ds_read_b128 v[44:47], v68 offset:3072
.LBB54_47:                              ;   in Loop: Header=BB54_15 Depth=2
	s_or_b64 exec, exec, s[34:35]
	v_add_u32_e32 v50, 0x600, v50
	v_cmp_lt_u32_e32 vcc, s10, v50
                                        ; implicit-def: $vgpr43
	s_and_saveexec_b64 s[34:35], vcc
	s_xor_b64 s[34:35], exec, s[34:35]
	s_cbranch_execz .LBB54_49
; %bb.48:                               ;   in Loop: Header=BB54_15 Depth=2
	v_lshl_add_u64 v[40:41], v[50:51], 1, s[12:13]
	global_load_dwordx4 v[40:43], v[40:41], off
.LBB54_49:                              ;   in Loop: Header=BB54_15 Depth=2
	s_andn2_saveexec_b64 s[34:35], s[34:35]
	s_cbranch_execz .LBB54_10
; %bb.50:                               ;   in Loop: Header=BB54_15 Depth=2
	s_waitcnt vmcnt(0)
	v_add_u32_e32 v40, s33, v68
	ds_read_b128 v[40:43], v40 offset:3072
	s_branch .LBB54_10
.LBB54_51:                              ;   in Loop: Header=BB54_8 Depth=1
	v_cvt_i32_f32_e32 v0, v49
	v_cvt_i32_f32_e32 v1, v67
	s_nop 0
	v_cvt_f32_i32_dpp v0, v0 row_shr:8 row_mask:0xf bank_mask:0xf bound_ctrl:1
	v_cvt_f32_i32_dpp v1, v1 row_shr:8 row_mask:0xf bank_mask:0xf bound_ctrl:1
	v_add_f32_e32 v0, v49, v0
	v_add_f32_e32 v1, v67, v1
	v_cvt_i32_f32_e32 v2, v0
	v_cvt_i32_f32_e32 v3, v1
	s_nop 0
	v_cvt_f32_i32_dpp v2, v2 row_shr:4 row_mask:0xf bank_mask:0xf bound_ctrl:1
	v_cvt_f32_i32_dpp v3, v3 row_shr:4 row_mask:0xf bank_mask:0xf bound_ctrl:1
	v_add_f32_e32 v0, v0, v2
	v_add_f32_e32 v1, v1, v3
	;; [unrolled: 7-line block ×4, first 2 shown]
	v_cvt_i32_f32_e32 v2, v0
	v_cvt_i32_f32_e32 v3, v1
	s_nop 0
	v_cvt_f32_i32_dpp v2, v2 row_bcast:15 row_mask:0xf bank_mask:0xf bound_ctrl:1
	v_cvt_f32_i32_dpp v3, v3 row_bcast:15 row_mask:0xf bank_mask:0xf bound_ctrl:1
	v_add_f32_e32 v0, v0, v2
	v_add_f32_e32 v1, v1, v3
	v_cvt_i32_f32_e32 v2, v0
	s_waitcnt vmcnt(0)
	v_cvt_i32_f32_e32 v4, v1
	v_mov_b32_dpp v3, v2 row_bcast:31 row_mask:0xf bank_mask:0xf bound_ctrl:1
	s_nop 0
	v_mov_b32_dpp v2, v4 row_bcast:31 row_mask:0xf bank_mask:0xf bound_ctrl:1
	s_and_saveexec_b64 s[4:5], s[0:1]
	s_cbranch_execz .LBB54_7
; %bb.52:                               ;   in Loop: Header=BB54_8 Depth=1
	s_andn2_b64 vcc, exec, s[24:25]
	v_mov_b32_e32 v4, 0
	v_mov_b32_e32 v5, 0
	s_cbranch_vccnz .LBB54_54
; %bb.53:                               ;   in Loop: Header=BB54_8 Depth=1
	v_mul_hi_u32 v4, v48, v64
	v_mul_lo_u32 v4, v4, s16
	v_sub_u32_e32 v4, v48, v4
	v_subrev_u32_e32 v5, s16, v4
	v_cmp_le_u32_e32 vcc, s16, v4
	s_nop 1
	v_cndmask_b32_e32 v4, v4, v5, vcc
	v_subrev_u32_e32 v5, s16, v4
	v_cmp_le_u32_e32 vcc, s16, v4
	s_nop 1
	v_cndmask_b32_e32 v50, v4, v5, vcc
	v_lshl_add_u64 v[6:7], v[50:51], 1, s[14:15]
	v_add_u32_e32 v50, s17, v50
	v_lshl_add_u64 v[8:9], v[50:51], 1, s[14:15]
	global_load_ushort v5, v[6:7], off
	global_load_ushort v4, v[8:9], off
.LBB54_54:                              ;   in Loop: Header=BB54_8 Depth=1
	v_cmp_ne_u32_e32 vcc, 0, v62
	s_and_b64 exec, exec, vcc
	s_cbranch_execz .LBB54_7
; %bb.55:                               ;   in Loop: Header=BB54_8 Depth=1
	v_cvt_f32_i32_e32 v3, v3
	v_cvt_f32_i32_e32 v2, v2
	s_waitcnt vmcnt(1)
	v_cvt_f32_f16_e32 v5, v5
	v_mov_b32_e32 v49, v51
	v_add_f32_e32 v0, v0, v3
	s_waitcnt vmcnt(0)
	v_cvt_f32_f16_e32 v3, v4
	v_add_f32_e32 v2, v1, v2
	v_add_f32_e32 v0, v0, v5
	v_cvt_f16_f32_e32 v4, v0
	v_add_f32_e32 v2, v2, v3
	v_cvt_f16_f32_e32 v2, v2
	s_waitcnt lgkmcnt(0)
	v_lshl_add_u64 v[0:1], v[48:49], 1, s[20:21]
	v_add_u32_e32 v50, s11, v48
	global_store_short v[0:1], v4, off
	v_lshl_add_u64 v[0:1], v[50:51], 1, s[20:21]
	global_store_short v[0:1], v2, off
	s_branch .LBB54_7
.LBB54_56:
	s_endpgm
	.section	.rodata,"a",@progbits
	.p2align	6, 0x0
	.amdhsa_kernel _Z12wvSplitK_hf_I6__halfLi64ELi1ELi16ELi8ELi4ELi2EEviiiiiiPKT_S3_S3_PS1_ii
		.amdhsa_group_segment_fixed_size 65536
		.amdhsa_private_segment_fixed_size 0
		.amdhsa_kernarg_size 64
		.amdhsa_user_sgpr_count 2
		.amdhsa_user_sgpr_dispatch_ptr 0
		.amdhsa_user_sgpr_queue_ptr 0
		.amdhsa_user_sgpr_kernarg_segment_ptr 1
		.amdhsa_user_sgpr_dispatch_id 0
		.amdhsa_user_sgpr_kernarg_preload_length 0
		.amdhsa_user_sgpr_kernarg_preload_offset 0
		.amdhsa_user_sgpr_private_segment_size 0
		.amdhsa_uses_dynamic_stack 0
		.amdhsa_enable_private_segment 0
		.amdhsa_system_sgpr_workgroup_id_x 1
		.amdhsa_system_sgpr_workgroup_id_y 0
		.amdhsa_system_sgpr_workgroup_id_z 0
		.amdhsa_system_sgpr_workgroup_info 0
		.amdhsa_system_vgpr_workitem_id 1
		.amdhsa_next_free_vgpr 69
		.amdhsa_next_free_sgpr 41
		.amdhsa_accum_offset 72
		.amdhsa_reserve_vcc 1
		.amdhsa_float_round_mode_32 0
		.amdhsa_float_round_mode_16_64 0
		.amdhsa_float_denorm_mode_32 3
		.amdhsa_float_denorm_mode_16_64 3
		.amdhsa_dx10_clamp 1
		.amdhsa_ieee_mode 1
		.amdhsa_fp16_overflow 0
		.amdhsa_tg_split 0
		.amdhsa_exception_fp_ieee_invalid_op 0
		.amdhsa_exception_fp_denorm_src 0
		.amdhsa_exception_fp_ieee_div_zero 0
		.amdhsa_exception_fp_ieee_overflow 0
		.amdhsa_exception_fp_ieee_underflow 0
		.amdhsa_exception_fp_ieee_inexact 0
		.amdhsa_exception_int_div_zero 0
	.end_amdhsa_kernel
	.section	.text._Z12wvSplitK_hf_I6__halfLi64ELi1ELi16ELi8ELi4ELi2EEviiiiiiPKT_S3_S3_PS1_ii,"axG",@progbits,_Z12wvSplitK_hf_I6__halfLi64ELi1ELi16ELi8ELi4ELi2EEviiiiiiPKT_S3_S3_PS1_ii,comdat
.Lfunc_end54:
	.size	_Z12wvSplitK_hf_I6__halfLi64ELi1ELi16ELi8ELi4ELi2EEviiiiiiPKT_S3_S3_PS1_ii, .Lfunc_end54-_Z12wvSplitK_hf_I6__halfLi64ELi1ELi16ELi8ELi4ELi2EEviiiiiiPKT_S3_S3_PS1_ii
                                        ; -- End function
	.section	.AMDGPU.csdata,"",@progbits
; Kernel info:
; codeLenInByte = 2280
; NumSgprs: 47
; NumVgprs: 69
; NumAgprs: 0
; TotalNumVgprs: 69
; ScratchSize: 0
; MemoryBound: 1
; FloatMode: 240
; IeeeMode: 1
; LDSByteSize: 65536 bytes/workgroup (compile time only)
; SGPRBlocks: 5
; VGPRBlocks: 8
; NumSGPRsForWavesPerEU: 47
; NumVGPRsForWavesPerEU: 69
; AccumOffset: 72
; Occupancy: 4
; WaveLimiterHint : 0
; COMPUTE_PGM_RSRC2:SCRATCH_EN: 0
; COMPUTE_PGM_RSRC2:USER_SGPR: 2
; COMPUTE_PGM_RSRC2:TRAP_HANDLER: 0
; COMPUTE_PGM_RSRC2:TGID_X_EN: 1
; COMPUTE_PGM_RSRC2:TGID_Y_EN: 0
; COMPUTE_PGM_RSRC2:TGID_Z_EN: 0
; COMPUTE_PGM_RSRC2:TIDIG_COMP_CNT: 1
; COMPUTE_PGM_RSRC3_GFX90A:ACCUM_OFFSET: 17
; COMPUTE_PGM_RSRC3_GFX90A:TG_SPLIT: 0
	.section	.text._Z16wvSplitK_hf_big_I6__halfLi64ELi1ELi16ELi8ELi4ELi2EEviiiiiiPKT_S3_S3_PS1_ii,"axG",@progbits,_Z16wvSplitK_hf_big_I6__halfLi64ELi1ELi16ELi8ELi4ELi2EEviiiiiiPKT_S3_S3_PS1_ii,comdat
	.protected	_Z16wvSplitK_hf_big_I6__halfLi64ELi1ELi16ELi8ELi4ELi2EEviiiiiiPKT_S3_S3_PS1_ii ; -- Begin function _Z16wvSplitK_hf_big_I6__halfLi64ELi1ELi16ELi8ELi4ELi2EEviiiiiiPKT_S3_S3_PS1_ii
	.globl	_Z16wvSplitK_hf_big_I6__halfLi64ELi1ELi16ELi8ELi4ELi2EEviiiiiiPKT_S3_S3_PS1_ii
	.p2align	8
	.type	_Z16wvSplitK_hf_big_I6__halfLi64ELi1ELi16ELi8ELi4ELi2EEviiiiiiPKT_S3_S3_PS1_ii,@function
_Z16wvSplitK_hf_big_I6__halfLi64ELi1ELi16ELi8ELi4ELi2EEviiiiiiPKT_S3_S3_PS1_ii: ; @_Z16wvSplitK_hf_big_I6__halfLi64ELi1ELi16ELi8ELi4ELi2EEviiiiiiPKT_S3_S3_PS1_ii
; %bb.0:
	s_load_dwordx2 s[4:5], s[0:1], 0x38
	v_bfe_u32 v1, v0, 10, 10
	s_waitcnt lgkmcnt(0)
	v_cmp_gt_u32_e32 vcc, s4, v1
	s_and_saveexec_b64 s[6:7], vcc
	s_cbranch_execz .LBB55_38
; %bb.1:
	s_load_dwordx4 s[20:23], s[0:1], 0x0
	s_mul_i32 s2, s2, s4
	v_add_u32_e32 v48, s2, v1
	v_add_u32_e32 v2, 1, v48
	v_mov_b32_e32 v54, 1
	s_waitcnt lgkmcnt(0)
	v_cmp_gt_u32_e32 vcc, s23, v48
	v_cmp_le_u32_e64 s[2:3], s23, v2
	s_and_b64 s[6:7], vcc, s[2:3]
	s_and_saveexec_b64 s[2:3], s[6:7]
; %bb.2:
	v_subrev_u32_e32 v2, s23, v48
	v_cmp_eq_u32_e32 vcc, -1, v2
	s_add_i32 s6, s23, -1
	v_mov_b32_e32 v48, s6
	v_cndmask_b32_e64 v54, 0, 1, vcc
; %bb.3:
	s_or_b64 exec, exec, s[2:3]
	s_abs_i32 s2, s4
	v_cvt_f32_u32_e32 v2, s2
	s_sub_i32 s7, 0, s2
	s_abs_i32 s6, s23
	s_ashr_i32 s3, s23, 31
	v_rcp_iflag_f32_e32 v2, v2
	s_nop 0
	v_mul_f32_e32 v2, 0x4f7ffffe, v2
	v_cvt_u32_f32_e32 v2, v2
	s_nop 0
	v_readfirstlane_b32 s8, v2
	s_mul_i32 s7, s7, s8
	s_mul_hi_u32 s7, s8, s7
	s_add_i32 s8, s8, s7
	s_mul_hi_u32 s7, s6, s8
	s_mul_i32 s7, s7, s2
	s_sub_i32 s6, s6, s7
	s_sub_i32 s7, s6, s2
	s_cmp_ge_u32 s6, s2
	s_cselect_b32 s6, s7, s6
	s_sub_i32 s7, s6, s2
	s_cmp_ge_u32 s6, s2
	s_cselect_b32 s2, s7, s6
	s_xor_b32 s2, s2, s3
	s_sub_i32 s2, s2, s3
	s_add_i32 s3, s4, s23
	s_sub_i32 s3, s3, s2
	s_cmp_eq_u32 s2, 0
	s_cselect_b32 s33, s23, s3
	v_cmp_gt_u32_e32 vcc, s33, v48
	s_and_b64 exec, exec, vcc
	s_cbranch_execz .LBB55_38
; %bb.4:
	s_load_dwordx8 s[12:19], s[0:1], 0x10
	s_min_u32 s38, s22, 0x4000
	s_cmp_lg_u32 s20, 0
	s_cselect_b64 s[2:3], -1, 0
	s_cmp_lg_u32 s22, 0
	s_waitcnt lgkmcnt(0)
	v_cvt_f32_u32_e32 v2, s12
	s_cselect_b64 s[6:7], -1, 0
	s_lshl_b32 s39, s4, 9
	s_add_i32 s40, s20, -8
	v_rcp_iflag_f32_e32 v2, v2
	s_add_i32 s41, s23, -1
	s_cmp_lg_u64 s[18:19], 0
	s_mul_i32 s42, s5, s4
	v_mul_f32_e32 v2, 0x4f7ffffe, v2
	v_cvt_u32_f32_e32 v2, v2
	s_cselect_b64 s[26:27], -1, 0
	s_sub_i32 s5, 0, s12
	s_sub_i32 s43, s42, s23
	v_mul_lo_u32 v3, s5, v2
	s_abs_i32 s5, s13
	s_add_i32 s43, s43, 2
	s_sub_i32 s8, 1, s5
	s_cmp_lt_u32 s5, 2
	s_load_dwordx2 s[10:11], s[0:1], 0x30
	v_and_b32_e32 v0, 0x3ff, v0
	s_cselect_b32 s8, s8, 1
	v_lshlrev_b32_e32 v55, 3, v0
	v_cmp_eq_u32_e64 s[0:1], 63, v0
	s_sub_i32 s9, s8, s5
	v_lshlrev_b32_e32 v0, 4, v0
	s_cmp_ge_u32 s8, s5
	v_lshl_add_u32 v57, v1, 10, v0
	v_cndmask_b32_e64 v0, 0, 1, s[2:3]
	v_mul_hi_u32 v3, v2, v3
	s_cselect_b32 s13, s9, s8
	v_lshl_add_u32 v58, v1, 9, v55
	v_cmp_ne_u32_e64 s[2:3], 1, v0
	v_cndmask_b32_e64 v0, 0, 1, s[6:7]
	s_mov_b64 s[24:25], 0
	v_add_u32_e32 v56, v2, v3
	v_mov_b32_e32 v51, 0
	s_mul_i32 s13, s13, s12
	s_lshl_b32 s44, s38, 1
	s_lshl_b32 s45, s4, 10
	v_add_u32_e32 v59, s22, v58
	v_cmp_ne_u32_e64 s[4:5], 1, v0
	s_branch .LBB55_7
.LBB55_5:                               ;   in Loop: Header=BB55_7 Depth=1
	s_or_b64 exec, exec, s[6:7]
.LBB55_6:                               ;   in Loop: Header=BB55_7 Depth=1
	s_or_b64 exec, exec, s[8:9]
	v_cmp_le_u32_e32 vcc, s33, v0
	s_or_b64 s[24:25], vcc, s[24:25]
	v_mov_b32_e32 v48, v0
	s_andn2_b64 exec, exec, s[24:25]
	s_cbranch_execz .LBB55_38
.LBB55_7:                               ; =>This Loop Header: Depth=1
                                        ;     Child Loop BB55_14 Depth 2
                                        ;       Child Loop BB55_19 Depth 3
	s_mov_b32 s46, 0
	s_and_b64 vcc, exec, s[2:3]
	v_mov_b32_e32 v60, v51
	v_mov_b32_e32 v49, v51
	s_cbranch_vccnz .LBB55_28
; %bb.8:                                ;   in Loop: Header=BB55_7 Depth=1
	v_min_u32_e32 v0, s41, v48
	v_mul_lo_u32 v50, v0, s21
	v_cmp_gt_u32_e64 s[6:7], s23, v48
	v_lshl_add_u64 v[52:53], v[50:51], 1, s[14:15]
	v_mov_b32_e32 v49, 0
	v_mov_b32_e32 v60, 0
	s_mov_b32 s47, 0
	s_branch .LBB55_14
.LBB55_9:                               ;   in Loop: Header=BB55_14 Depth=2
	s_or_b64 exec, exec, s[36:37]
.LBB55_10:                              ;   in Loop: Header=BB55_14 Depth=2
	s_or_b64 exec, exec, s[34:35]
.LBB55_11:                              ;   in Loop: Header=BB55_14 Depth=2
	s_or_b64 exec, exec, s[30:31]
.LBB55_12:                              ;   in Loop: Header=BB55_14 Depth=2
	s_or_b64 exec, exec, s[28:29]
	s_waitcnt vmcnt(3) lgkmcnt(0)
	;;#ASMSTART
	v_dot2c_f32_f16 v49, v44, v24
	;;#ASMEND
	;;#ASMSTART
	v_dot2c_f32_f16 v60, v36, v24
	;;#ASMEND
	s_nop 0
	;;#ASMSTART
	v_dot2c_f32_f16 v49, v45, v25
	;;#ASMEND
	;;#ASMSTART
	v_dot2c_f32_f16 v60, v37, v25
	;;#ASMEND
	s_nop 0
	;;#ASMSTART
	v_dot2c_f32_f16 v49, v46, v26
	;;#ASMEND
	;;#ASMSTART
	v_dot2c_f32_f16 v60, v38, v26
	;;#ASMEND
	s_nop 0
	;;#ASMSTART
	v_dot2c_f32_f16 v49, v47, v27
	;;#ASMEND
	;;#ASMSTART
	v_dot2c_f32_f16 v60, v39, v27
	;;#ASMEND
	s_waitcnt vmcnt(2)
	;;#ASMSTART
	v_dot2c_f32_f16 v49, v40, v12
	;;#ASMEND
	;;#ASMSTART
	v_dot2c_f32_f16 v60, v32, v12
	;;#ASMEND
	s_nop 0
	;;#ASMSTART
	v_dot2c_f32_f16 v49, v41, v13
	;;#ASMEND
	;;#ASMSTART
	v_dot2c_f32_f16 v60, v33, v13
	;;#ASMEND
	s_nop 0
	;;#ASMSTART
	v_dot2c_f32_f16 v49, v42, v14
	;;#ASMEND
	;;#ASMSTART
	v_dot2c_f32_f16 v60, v34, v14
	;;#ASMEND
	s_nop 0
	;;#ASMSTART
	v_dot2c_f32_f16 v49, v43, v15
	;;#ASMEND
	;;#ASMSTART
	v_dot2c_f32_f16 v60, v35, v15
	;;#ASMEND
	s_waitcnt vmcnt(1)
	;;#ASMSTART
	v_dot2c_f32_f16 v49, v28, v4
	;;#ASMEND
	;;#ASMSTART
	v_dot2c_f32_f16 v60, v20, v4
	;;#ASMEND
	s_nop 0
	;;#ASMSTART
	v_dot2c_f32_f16 v49, v29, v5
	;;#ASMEND
	;;#ASMSTART
	v_dot2c_f32_f16 v60, v21, v5
	;;#ASMEND
	s_nop 0
	;;#ASMSTART
	v_dot2c_f32_f16 v49, v30, v6
	;;#ASMEND
	;;#ASMSTART
	v_dot2c_f32_f16 v60, v22, v6
	;;#ASMEND
	s_nop 0
	;;#ASMSTART
	v_dot2c_f32_f16 v49, v31, v7
	;;#ASMEND
	;;#ASMSTART
	v_dot2c_f32_f16 v60, v23, v7
	;;#ASMEND
	s_waitcnt vmcnt(0)
	;;#ASMSTART
	v_dot2c_f32_f16 v49, v16, v0
	;;#ASMEND
	;;#ASMSTART
	v_dot2c_f32_f16 v60, v8, v0
	;;#ASMEND
	s_nop 0
	;;#ASMSTART
	v_dot2c_f32_f16 v49, v17, v1
	;;#ASMEND
	;;#ASMSTART
	v_dot2c_f32_f16 v60, v9, v1
	;;#ASMEND
	s_nop 0
	;; [unrolled: 7-line block ×3, first 2 shown]
	;;#ASMSTART
	v_dot2c_f32_f16 v49, v19, v3
	;;#ASMEND
	;;#ASMSTART
	v_dot2c_f32_f16 v60, v11, v3
	;;#ASMEND
.LBB55_13:                              ;   in Loop: Header=BB55_14 Depth=2
	s_or_b64 exec, exec, s[8:9]
	s_addk_i32 s47, 0x800
	s_cmp_ge_u32 s47, s20
	s_cbranch_scc1 .LBB55_28
.LBB55_14:                              ;   Parent Loop BB55_7 Depth=1
                                        ; =>  This Loop Header: Depth=2
                                        ;       Child Loop BB55_19 Depth 3
	s_cmp_eq_u32 s47, 0
	s_cselect_b64 s[8:9], -1, 0
	s_add_i32 s28, s46, s38
	s_cmp_eq_u32 s47, s28
	s_cselect_b64 s[30:31], -1, 0
	s_or_b64 s[30:31], s[8:9], s[30:31]
	s_andn2_b64 vcc, exec, s[30:31]
	s_cbranch_vccz .LBB55_16
; %bb.15:                               ;   in Loop: Header=BB55_14 Depth=2
	s_and_saveexec_b64 s[8:9], s[6:7]
	s_cbranch_execz .LBB55_13
	s_branch .LBB55_23
.LBB55_16:                              ;   in Loop: Header=BB55_14 Depth=2
	s_and_b64 s[8:9], s[8:9], exec
	s_cselect_b32 s46, s46, s28
	s_and_b64 vcc, exec, s[4:5]
	s_waitcnt lgkmcnt(0)
	s_barrier
	s_cbranch_vccnz .LBB55_22
; %bb.17:                               ;   in Loop: Header=BB55_14 Depth=2
	v_add_u32_e32 v0, s46, v59
	v_add_u32_e32 v1, s46, v58
	s_mov_b32 s34, 0
	s_mov_b64 s[28:29], 0
	v_mov_b32_e32 v2, v57
                                        ; implicit-def: $sgpr30_sgpr31
	s_branch .LBB55_19
.LBB55_18:                              ;   in Loop: Header=BB55_19 Depth=3
	s_or_b64 exec, exec, s[8:9]
	s_and_b64 s[8:9], exec, s[30:31]
	s_or_b64 s[28:29], s[8:9], s[28:29]
	s_andn2_b64 exec, exec, s[28:29]
	s_cbranch_execz .LBB55_21
.LBB55_19:                              ;   Parent Loop BB55_7 Depth=1
                                        ;     Parent Loop BB55_14 Depth=2
                                        ; =>    This Inner Loop Header: Depth=3
	v_add_u32_e32 v3, s34, v58
	v_add_u32_e32 v50, s34, v1
	v_cmp_gt_u32_e32 vcc, s22, v50
	v_cmp_gt_u32_e64 s[8:9], s38, v3
	s_and_b64 s[36:37], s[8:9], vcc
	s_or_b64 s[30:31], s[30:31], exec
	s_and_saveexec_b64 s[8:9], s[36:37]
	s_cbranch_execz .LBB55_18
; %bb.20:                               ;   in Loop: Header=BB55_19 Depth=3
	s_waitcnt vmcnt(0)
	v_lshl_add_u64 v[4:5], v[50:51], 1, s[16:17]
	v_add_u32_e32 v50, s34, v0
	global_load_dwordx4 v[4:7], v[4:5], off
	v_lshl_add_u64 v[8:9], v[50:51], 1, s[16:17]
	global_load_dwordx4 v[8:11], v[8:9], off
	s_add_i32 s34, s34, s39
	s_cmp_ge_u32 s34, s38
	s_cselect_b64 s[36:37], -1, 0
	s_andn2_b64 s[30:31], s[30:31], exec
	s_and_b64 s[36:37], s[36:37], exec
	v_add_u32_e32 v3, s44, v2
	s_or_b64 s[30:31], s[30:31], s[36:37]
	s_waitcnt vmcnt(1)
	ds_write_b128 v2, v[4:7]
	v_add_u32_e32 v2, s45, v2
	s_waitcnt vmcnt(0)
	ds_write2_b64 v3, v[8:9], v[10:11] offset1:1
	s_branch .LBB55_18
.LBB55_21:                              ;   in Loop: Header=BB55_14 Depth=2
	s_or_b64 exec, exec, s[28:29]
.LBB55_22:                              ;   in Loop: Header=BB55_14 Depth=2
	s_waitcnt lgkmcnt(0)
	s_barrier
	s_and_saveexec_b64 s[8:9], s[6:7]
	s_cbranch_execz .LBB55_13
.LBB55_23:                              ;   in Loop: Header=BB55_14 Depth=2
	v_add_u32_e32 v63, s47, v55
	v_min_u32_e32 v50, s40, v63
	v_add_u32_e32 v64, 0x200, v63
	v_lshl_add_u64 v[0:1], v[50:51], 1, v[52:53]
	v_min_u32_e32 v50, s40, v64
	v_add_u32_e32 v62, 0x400, v63
	v_lshl_add_u64 v[2:3], v[50:51], 1, v[52:53]
	;; [unrolled: 3-line block ×3, first 2 shown]
	v_min_u32_e32 v50, s40, v61
	global_load_dwordx4 v[24:27], v[0:1], off nt
	global_load_dwordx4 v[12:15], v[2:3], off nt
	v_lshl_add_u64 v[10:11], v[50:51], 1, v[52:53]
	global_load_dwordx4 v[4:7], v[8:9], off nt
	global_load_dwordx4 v[0:3], v[10:11], off nt
	v_cmp_gt_u32_e32 vcc, s20, v63
	v_mov_b32_e32 v46, 0
	v_mov_b32_e32 v47, 0
	;; [unrolled: 1-line block ×32, first 2 shown]
	s_and_saveexec_b64 s[28:29], vcc
	s_cbranch_execz .LBB55_12
; %bb.24:                               ;   in Loop: Header=BB55_14 Depth=2
	v_subrev_u32_e32 v8, s46, v63
	v_lshlrev_b32_e32 v63, 1, v8
	v_lshl_add_u32 v50, s38, 1, v63
	ds_read_b128 v[44:47], v63
	ds_read_b128 v[36:39], v50
	v_cmp_gt_u32_e32 vcc, s20, v64
	v_mov_b32_e32 v11, 0
	v_mov_b32_e32 v10, 0
	;; [unrolled: 1-line block ×24, first 2 shown]
	s_and_saveexec_b64 s[30:31], vcc
	s_cbranch_execz .LBB55_11
; %bb.25:                               ;   in Loop: Header=BB55_14 Depth=2
	ds_read_b128 v[40:43], v63 offset:1024
	ds_read_b128 v[32:35], v50 offset:1024
	v_cmp_gt_u32_e32 vcc, s20, v62
	v_mov_b32_e32 v11, 0
	v_mov_b32_e32 v10, 0
	;; [unrolled: 1-line block ×16, first 2 shown]
	s_and_saveexec_b64 s[34:35], vcc
	s_cbranch_execz .LBB55_10
; %bb.26:                               ;   in Loop: Header=BB55_14 Depth=2
	ds_read_b128 v[28:31], v63 offset:2048
	ds_read_b128 v[20:23], v50 offset:2048
	v_cmp_gt_u32_e32 vcc, s20, v61
	v_mov_b32_e32 v11, 0
	v_mov_b32_e32 v10, 0
	;; [unrolled: 1-line block ×8, first 2 shown]
	s_and_saveexec_b64 s[36:37], vcc
	s_cbranch_execz .LBB55_9
; %bb.27:                               ;   in Loop: Header=BB55_14 Depth=2
	ds_read_b128 v[16:19], v63 offset:3072
	ds_read_b128 v[8:11], v50 offset:3072
	s_branch .LBB55_9
.LBB55_28:                              ;   in Loop: Header=BB55_7 Depth=1
	v_cmp_le_u32_e32 vcc, s23, v48
                                        ; implicit-def: $vgpr0
	s_and_saveexec_b64 s[6:7], vcc
	s_xor_b64 s[6:7], exec, s[6:7]
; %bb.29:                               ;   in Loop: Header=BB55_7 Depth=1
	v_add_u32_e32 v0, s42, v48
                                        ; implicit-def: $vgpr48
                                        ; implicit-def: $vgpr49
                                        ; implicit-def: $vgpr60
; %bb.30:                               ;   in Loop: Header=BB55_7 Depth=1
	s_andn2_saveexec_b64 s[8:9], s[6:7]
	s_cbranch_execz .LBB55_6
; %bb.31:                               ;   in Loop: Header=BB55_7 Depth=1
	v_cvt_i32_f32_e32 v0, v49
	v_cvt_i32_f32_e32 v1, v60
	s_nop 0
	v_cvt_f32_i32_dpp v0, v0 row_shr:8 row_mask:0xf bank_mask:0xf bound_ctrl:1
	v_cvt_f32_i32_dpp v1, v1 row_shr:8 row_mask:0xf bank_mask:0xf bound_ctrl:1
	v_add_f32_e32 v0, v49, v0
	v_add_f32_e32 v1, v60, v1
	v_cvt_i32_f32_e32 v2, v0
	v_cvt_i32_f32_e32 v3, v1
	s_nop 0
	v_cvt_f32_i32_dpp v2, v2 row_shr:4 row_mask:0xf bank_mask:0xf bound_ctrl:1
	v_cvt_f32_i32_dpp v3, v3 row_shr:4 row_mask:0xf bank_mask:0xf bound_ctrl:1
	v_add_f32_e32 v0, v0, v2
	v_add_f32_e32 v1, v1, v3
	;; [unrolled: 7-line block ×4, first 2 shown]
	v_cvt_i32_f32_e32 v2, v0
	v_cvt_i32_f32_e32 v3, v1
	s_nop 0
	v_cvt_f32_i32_dpp v2, v2 row_bcast:15 row_mask:0xf bank_mask:0xf bound_ctrl:1
	v_cvt_f32_i32_dpp v3, v3 row_bcast:15 row_mask:0xf bank_mask:0xf bound_ctrl:1
	v_add_f32_e32 v0, v0, v2
	v_add_f32_e32 v1, v1, v3
	v_cvt_i32_f32_e32 v2, v0
	s_waitcnt vmcnt(0)
	v_cvt_i32_f32_e32 v4, v1
	v_mov_b32_dpp v3, v2 row_bcast:31 row_mask:0xf bank_mask:0xf bound_ctrl:1
	s_nop 0
	v_mov_b32_dpp v2, v4 row_bcast:31 row_mask:0xf bank_mask:0xf bound_ctrl:1
	s_and_saveexec_b64 s[6:7], s[0:1]
	s_cbranch_execz .LBB55_36
; %bb.32:                               ;   in Loop: Header=BB55_7 Depth=1
	s_andn2_b64 vcc, exec, s[26:27]
	v_mov_b32_e32 v4, 0
	v_mov_b32_e32 v5, 0
	s_cbranch_vccnz .LBB55_34
; %bb.33:                               ;   in Loop: Header=BB55_7 Depth=1
	v_mul_hi_u32 v4, v48, v56
	v_mul_lo_u32 v4, v4, s12
	v_sub_u32_e32 v4, v48, v4
	v_subrev_u32_e32 v5, s12, v4
	v_cmp_le_u32_e32 vcc, s12, v4
	s_nop 1
	v_cndmask_b32_e32 v4, v4, v5, vcc
	v_subrev_u32_e32 v5, s12, v4
	v_cmp_le_u32_e32 vcc, s12, v4
	s_nop 1
	v_cndmask_b32_e32 v50, v4, v5, vcc
	v_lshl_add_u64 v[6:7], v[50:51], 1, s[18:19]
	v_add_u32_e32 v50, s13, v50
	v_lshl_add_u64 v[8:9], v[50:51], 1, s[18:19]
	global_load_ushort v5, v[6:7], off
	global_load_ushort v4, v[8:9], off
.LBB55_34:                              ;   in Loop: Header=BB55_7 Depth=1
	v_cmp_ne_u32_e32 vcc, 0, v54
	s_and_b64 exec, exec, vcc
	s_cbranch_execz .LBB55_36
; %bb.35:                               ;   in Loop: Header=BB55_7 Depth=1
	v_cvt_f32_i32_e32 v3, v3
	v_cvt_f32_i32_e32 v2, v2
	s_waitcnt vmcnt(1)
	v_cvt_f32_f16_e32 v5, v5
	v_mov_b32_e32 v49, v51
	v_add_f32_e32 v0, v0, v3
	s_waitcnt vmcnt(0)
	v_cvt_f32_f16_e32 v3, v4
	v_add_f32_e32 v2, v1, v2
	v_add_f32_e32 v0, v0, v5
	v_cvt_f16_f32_e32 v4, v0
	v_add_f32_e32 v2, v2, v3
	v_cvt_f16_f32_e32 v2, v2
	s_waitcnt lgkmcnt(0)
	v_lshl_add_u64 v[0:1], v[48:49], 1, s[10:11]
	v_add_u32_e32 v50, s23, v48
	global_store_short v[0:1], v4, off
	v_lshl_add_u64 v[0:1], v[50:51], 1, s[10:11]
	global_store_short v[0:1], v2, off
.LBB55_36:                              ;   in Loop: Header=BB55_7 Depth=1
	s_or_b64 exec, exec, s[6:7]
	v_add_u32_e32 v0, s42, v48
	v_add_u32_e32 v1, 1, v0
	v_cmp_gt_u32_e32 vcc, s23, v0
	v_cmp_le_u32_e64 s[6:7], s23, v1
	s_and_b64 s[28:29], vcc, s[6:7]
	s_and_saveexec_b64 s[6:7], s[28:29]
	s_cbranch_execz .LBB55_5
; %bb.37:                               ;   in Loop: Header=BB55_7 Depth=1
	v_add_u32_e32 v0, s43, v48
	v_cmp_eq_u32_e32 vcc, 1, v0
	v_mov_b32_e32 v0, s41
	s_nop 0
	v_cndmask_b32_e32 v54, 0, v54, vcc
	s_branch .LBB55_5
.LBB55_38:
	s_endpgm
	.section	.rodata,"a",@progbits
	.p2align	6, 0x0
	.amdhsa_kernel _Z16wvSplitK_hf_big_I6__halfLi64ELi1ELi16ELi8ELi4ELi2EEviiiiiiPKT_S3_S3_PS1_ii
		.amdhsa_group_segment_fixed_size 65536
		.amdhsa_private_segment_fixed_size 0
		.amdhsa_kernarg_size 64
		.amdhsa_user_sgpr_count 2
		.amdhsa_user_sgpr_dispatch_ptr 0
		.amdhsa_user_sgpr_queue_ptr 0
		.amdhsa_user_sgpr_kernarg_segment_ptr 1
		.amdhsa_user_sgpr_dispatch_id 0
		.amdhsa_user_sgpr_kernarg_preload_length 0
		.amdhsa_user_sgpr_kernarg_preload_offset 0
		.amdhsa_user_sgpr_private_segment_size 0
		.amdhsa_uses_dynamic_stack 0
		.amdhsa_enable_private_segment 0
		.amdhsa_system_sgpr_workgroup_id_x 1
		.amdhsa_system_sgpr_workgroup_id_y 0
		.amdhsa_system_sgpr_workgroup_id_z 0
		.amdhsa_system_sgpr_workgroup_info 0
		.amdhsa_system_vgpr_workitem_id 1
		.amdhsa_next_free_vgpr 65
		.amdhsa_next_free_sgpr 48
		.amdhsa_accum_offset 68
		.amdhsa_reserve_vcc 1
		.amdhsa_float_round_mode_32 0
		.amdhsa_float_round_mode_16_64 0
		.amdhsa_float_denorm_mode_32 3
		.amdhsa_float_denorm_mode_16_64 3
		.amdhsa_dx10_clamp 1
		.amdhsa_ieee_mode 1
		.amdhsa_fp16_overflow 0
		.amdhsa_tg_split 0
		.amdhsa_exception_fp_ieee_invalid_op 0
		.amdhsa_exception_fp_denorm_src 0
		.amdhsa_exception_fp_ieee_div_zero 0
		.amdhsa_exception_fp_ieee_overflow 0
		.amdhsa_exception_fp_ieee_underflow 0
		.amdhsa_exception_fp_ieee_inexact 0
		.amdhsa_exception_int_div_zero 0
	.end_amdhsa_kernel
	.section	.text._Z16wvSplitK_hf_big_I6__halfLi64ELi1ELi16ELi8ELi4ELi2EEviiiiiiPKT_S3_S3_PS1_ii,"axG",@progbits,_Z16wvSplitK_hf_big_I6__halfLi64ELi1ELi16ELi8ELi4ELi2EEviiiiiiPKT_S3_S3_PS1_ii,comdat
.Lfunc_end55:
	.size	_Z16wvSplitK_hf_big_I6__halfLi64ELi1ELi16ELi8ELi4ELi2EEviiiiiiPKT_S3_S3_PS1_ii, .Lfunc_end55-_Z16wvSplitK_hf_big_I6__halfLi64ELi1ELi16ELi8ELi4ELi2EEviiiiiiPKT_S3_S3_PS1_ii
                                        ; -- End function
	.section	.AMDGPU.csdata,"",@progbits
; Kernel info:
; codeLenInByte = 2276
; NumSgprs: 54
; NumVgprs: 65
; NumAgprs: 0
; TotalNumVgprs: 65
; ScratchSize: 0
; MemoryBound: 0
; FloatMode: 240
; IeeeMode: 1
; LDSByteSize: 65536 bytes/workgroup (compile time only)
; SGPRBlocks: 6
; VGPRBlocks: 8
; NumSGPRsForWavesPerEU: 54
; NumVGPRsForWavesPerEU: 65
; AccumOffset: 68
; Occupancy: 4
; WaveLimiterHint : 0
; COMPUTE_PGM_RSRC2:SCRATCH_EN: 0
; COMPUTE_PGM_RSRC2:USER_SGPR: 2
; COMPUTE_PGM_RSRC2:TRAP_HANDLER: 0
; COMPUTE_PGM_RSRC2:TGID_X_EN: 1
; COMPUTE_PGM_RSRC2:TGID_Y_EN: 0
; COMPUTE_PGM_RSRC2:TGID_Z_EN: 0
; COMPUTE_PGM_RSRC2:TIDIG_COMP_CNT: 1
; COMPUTE_PGM_RSRC3_GFX90A:ACCUM_OFFSET: 16
; COMPUTE_PGM_RSRC3_GFX90A:TG_SPLIT: 0
	.section	.text._Z16wvSplitK_hf_sml_I6__halfLi64ELi2ELi16ELi8ELi2ELi2EEviiiiiiPKT_S3_S3_PS1_ii,"axG",@progbits,_Z16wvSplitK_hf_sml_I6__halfLi64ELi2ELi16ELi8ELi2ELi2EEviiiiiiPKT_S3_S3_PS1_ii,comdat
	.protected	_Z16wvSplitK_hf_sml_I6__halfLi64ELi2ELi16ELi8ELi2ELi2EEviiiiiiPKT_S3_S3_PS1_ii ; -- Begin function _Z16wvSplitK_hf_sml_I6__halfLi64ELi2ELi16ELi8ELi2ELi2EEviiiiiiPKT_S3_S3_PS1_ii
	.globl	_Z16wvSplitK_hf_sml_I6__halfLi64ELi2ELi16ELi8ELi2ELi2EEviiiiiiPKT_S3_S3_PS1_ii
	.p2align	8
	.type	_Z16wvSplitK_hf_sml_I6__halfLi64ELi2ELi16ELi8ELi2ELi2EEviiiiiiPKT_S3_S3_PS1_ii,@function
_Z16wvSplitK_hf_sml_I6__halfLi64ELi2ELi16ELi8ELi2ELi2EEviiiiiiPKT_S3_S3_PS1_ii: ; @_Z16wvSplitK_hf_sml_I6__halfLi64ELi2ELi16ELi8ELi2ELi2EEviiiiiiPKT_S3_S3_PS1_ii
; %bb.0:
	s_load_dwordx4 s[4:7], s[0:1], 0x0
	s_load_dwordx2 s[8:9], s[0:1], 0x10
	s_load_dwordx2 s[10:11], s[0:1], 0x28
	v_and_b32_e32 v2, 0x3ff, v0
	v_bfe_u32 v3, v0, 10, 10
	v_lshlrev_b32_e32 v40, 3, v2
	s_waitcnt lgkmcnt(0)
	s_lshl_b32 s6, s6, 1
	v_lshl_add_u32 v4, v3, 9, v40
	s_min_u32 s3, s6, 0x8000
	v_cmp_gt_u32_e32 vcc, s3, v4
	s_and_saveexec_b64 s[12:13], vcc
	s_cbranch_execz .LBB56_3
; %bb.1:
	s_load_dwordx2 s[14:15], s[0:1], 0x20
	v_mov_b32_e32 v7, 0
	v_lshlrev_b32_e32 v6, 10, v3
	v_lshlrev_b32_e32 v8, 4, v2
	v_mov_b32_e32 v9, v7
	v_lshl_add_u64 v[0:1], v[6:7], 0, v[8:9]
	s_waitcnt lgkmcnt(0)
	v_lshl_add_u64 v[0:1], s[14:15], 0, v[0:1]
	v_add_u32_e32 v5, v6, v8
	s_mov_b64 s[14:15], 0
	s_mov_b64 s[16:17], 0x4000
.LBB56_2:                               ; =>This Inner Loop Header: Depth=1
	global_load_dwordx4 v[6:9], v[0:1], off
	v_add_u32_e32 v4, 0x2000, v4
	v_cmp_le_u32_e32 vcc, s3, v4
	v_lshl_add_u64 v[0:1], v[0:1], 0, s[16:17]
	s_or_b64 s[14:15], vcc, s[14:15]
	s_waitcnt vmcnt(0)
	ds_write_b128 v5, v[6:9]
	v_add_u32_e32 v5, 0x4000, v5
	s_andn2_b64 exec, exec, s[14:15]
	s_cbranch_execnz .LBB56_2
.LBB56_3:
	s_or_b64 exec, exec, s[12:13]
	s_load_dwordx2 s[16:17], s[0:1], 0x38
	s_waitcnt lgkmcnt(0)
	s_barrier
	v_cmp_gt_u32_e32 vcc, s16, v3
	s_and_saveexec_b64 s[12:13], vcc
	s_cbranch_execz .LBB56_20
; %bb.4:
	s_mul_i32 s2, s2, s16
	v_add_lshl_u32 v32, s2, v3, 1
	v_cmp_gt_u32_e32 vcc, s7, v32
	s_and_b64 exec, exec, vcc
	s_cbranch_execz .LBB56_20
; %bb.5:
	v_cvt_f32_u32_e32 v0, s8
	s_cmp_lg_u32 s4, 0
	s_cselect_b64 s[2:3], -1, 0
	s_add_i32 s24, s4, -8
	v_rcp_iflag_f32_e32 v0, v0
	s_add_i32 s25, s7, -1
	s_mul_i32 s20, s16, s17
	s_cmp_lg_u64 s[10:11], 0
	v_mul_f32_e32 v0, 0x4f7ffffe, v0
	v_cvt_u32_f32_e32 v0, v0
	s_cselect_b64 s[18:19], -1, 0
	s_lshl_b32 s26, s20, 1
	s_sub_i32 s20, 0, s8
	s_abs_i32 s9, s9
	v_mul_lo_u32 v1, s20, v0
	s_sub_i32 s20, 1, s9
	s_cmp_lt_u32 s9, 2
	s_load_dwordx2 s[12:13], s[0:1], 0x18
	s_load_dwordx2 s[14:15], s[0:1], 0x30
	s_cselect_b32 s20, s20, 1
	s_sub_i32 s21, s20, s9
	v_mul_hi_u32 v1, v0, v1
	s_cmp_ge_u32 s20, s9
	v_add_u32_e32 v41, v0, v1
	s_cselect_b32 s9, s21, s20
	v_cndmask_b32_e64 v0, 0, 1, s[2:3]
	v_cmp_eq_u32_e64 s[0:1], 63, v2
	s_mov_b64 s[16:17], 0
	v_mov_b32_e32 v35, 0
	s_mul_i32 s9, s9, s8
	v_lshlrev_b32_e32 v42, 4, v2
	v_cmp_ne_u32_e64 s[2:3], 1, v0
	s_branch .LBB56_8
.LBB56_6:                               ;   in Loop: Header=BB56_8 Depth=1
	v_cvt_f32_i32_e32 v6, v6
	v_cvt_f32_i32_e32 v7, v7
	s_waitcnt vmcnt(3)
	v_cvt_f32_f16_e32 v11, v11
	v_cvt_f32_i32_e32 v5, v5
	v_add_f32_e32 v3, v3, v6
	s_waitcnt vmcnt(2)
	v_cvt_f32_f16_e32 v6, v10
	v_add_f32_e32 v0, v0, v7
	v_add_f32_e32 v0, v0, v11
	v_cvt_f16_f32_e32 v7, v0
	v_add_f32_e32 v0, v3, v6
	v_cvt_f32_i32_e32 v4, v4
	v_cvt_f16_f32_e32 v3, v0
	v_add_f32_e32 v5, v1, v5
	s_waitcnt lgkmcnt(0)
	v_lshl_add_u64 v[0:1], v[32:33], 1, s[14:15]
	v_add_f32_e32 v2, v2, v4
	v_pack_b32_f16 v3, v7, v3
	s_waitcnt vmcnt(1)
	v_cvt_f32_f16_e32 v4, v9
	global_store_dword v[0:1], v3, off
	s_waitcnt vmcnt(1)
	v_cvt_f32_f16_e32 v3, v8
	v_add_u32_e32 v34, s7, v32
	v_add_f32_e32 v0, v5, v4
	v_cvt_f16_f32_e32 v4, v0
	v_add_f32_e32 v2, v2, v3
	v_cvt_f16_f32_e32 v2, v2
	v_lshl_add_u64 v[0:1], v[34:35], 1, s[14:15]
	v_add_u32_e32 v34, 1, v34
	global_store_short v[0:1], v4, off
	v_lshl_add_u64 v[0:1], v[34:35], 1, s[14:15]
	global_store_short v[0:1], v2, off
.LBB56_7:                               ;   in Loop: Header=BB56_8 Depth=1
	s_or_b64 exec, exec, s[20:21]
	v_add_u32_e32 v32, s26, v32
	v_cmp_le_u32_e32 vcc, s7, v32
	s_or_b64 s[16:17], vcc, s[16:17]
	s_andn2_b64 exec, exec, s[16:17]
	s_cbranch_execz .LBB56_20
.LBB56_8:                               ; =>This Loop Header: Depth=1
                                        ;     Child Loop BB56_12 Depth 2
	s_mov_b32 s27, 0
	s_and_b64 vcc, exec, s[2:3]
	v_mov_b32_e32 v45, v35
	v_mov_b32_e32 v44, v35
	;; [unrolled: 1-line block ×4, first 2 shown]
	s_cbranch_vccnz .LBB56_15
; %bb.9:                                ;   in Loop: Header=BB56_8 Depth=1
	v_min_u32_e32 v0, s25, v32
	v_mul_lo_u32 v34, v0, s5
	v_or_b32_e32 v0, 1, v32
	v_min_u32_e32 v0, s25, v0
	v_mul_lo_u32 v0, v0, s5
	v_mov_b32_e32 v1, v35
	v_mov_b32_e32 v33, 0
	v_lshlrev_b64 v[36:37], 1, v[34:35]
	v_lshlrev_b64 v[38:39], 1, v[0:1]
	v_mov_b32_e32 v46, v42
	v_mov_b32_e32 v43, 0
	;; [unrolled: 1-line block ×4, first 2 shown]
	s_branch .LBB56_12
.LBB56_10:                              ;   in Loop: Header=BB56_12 Depth=2
	s_or_b64 exec, exec, s[22:23]
.LBB56_11:                              ;   in Loop: Header=BB56_12 Depth=2
	s_or_b64 exec, exec, s[20:21]
	s_waitcnt vmcnt(3) lgkmcnt(1)
	;;#ASMSTART
	v_dot2c_f32_f16 v45, v28, v20
	;;#ASMEND
	s_waitcnt vmcnt(2)
	;;#ASMSTART
	v_dot2c_f32_f16 v44, v28, v12
	;;#ASMEND
	s_waitcnt lgkmcnt(0)
	;;#ASMSTART
	v_dot2c_f32_f16 v43, v24, v20
	;;#ASMEND
	;;#ASMSTART
	v_dot2c_f32_f16 v33, v24, v12
	;;#ASMEND
	s_addk_i32 s27, 0x400
	;;#ASMSTART
	v_dot2c_f32_f16 v45, v29, v21
	;;#ASMEND
	;;#ASMSTART
	v_dot2c_f32_f16 v44, v29, v13
	;;#ASMEND
	;; [unrolled: 3-line block ×4, first 2 shown]
	s_cmp_ge_u32 s27, s4
	;;#ASMSTART
	v_dot2c_f32_f16 v45, v30, v22
	;;#ASMEND
	;;#ASMSTART
	v_dot2c_f32_f16 v44, v30, v14
	;;#ASMEND
	;; [unrolled: 3-line block ×4, first 2 shown]
	v_add_u32_e32 v46, 0x800, v46
	;;#ASMSTART
	v_dot2c_f32_f16 v45, v31, v23
	;;#ASMEND
	;;#ASMSTART
	v_dot2c_f32_f16 v44, v31, v15
	;;#ASMEND
	;; [unrolled: 3-line block ×4, first 2 shown]
	s_waitcnt vmcnt(1)
	;;#ASMSTART
	v_dot2c_f32_f16 v45, v16, v4
	;;#ASMEND
	s_waitcnt vmcnt(0)
	;;#ASMSTART
	v_dot2c_f32_f16 v44, v16, v0
	;;#ASMEND
	;;#ASMSTART
	v_dot2c_f32_f16 v43, v8, v4
	;;#ASMEND
	;;#ASMSTART
	v_dot2c_f32_f16 v33, v8, v0
	;;#ASMEND
	;;#ASMSTART
	v_dot2c_f32_f16 v45, v17, v5
	;;#ASMEND
	s_nop 0
	;;#ASMSTART
	v_dot2c_f32_f16 v44, v17, v1
	;;#ASMEND
	;;#ASMSTART
	v_dot2c_f32_f16 v43, v9, v5
	;;#ASMEND
	;;#ASMSTART
	v_dot2c_f32_f16 v33, v9, v1
	;;#ASMEND
	;;#ASMSTART
	v_dot2c_f32_f16 v45, v18, v6
	;;#ASMEND
	s_nop 0
	;; [unrolled: 13-line block ×3, first 2 shown]
	;;#ASMSTART
	v_dot2c_f32_f16 v44, v19, v3
	;;#ASMEND
	;;#ASMSTART
	v_dot2c_f32_f16 v43, v11, v7
	;;#ASMEND
	;;#ASMSTART
	v_dot2c_f32_f16 v33, v11, v3
	;;#ASMEND
	s_cbranch_scc1 .LBB56_15
.LBB56_12:                              ;   Parent Loop BB56_8 Depth=1
                                        ; =>  This Inner Loop Header: Depth=2
	v_add_u32_e32 v16, s27, v40
	v_min_u32_e32 v34, s24, v16
	s_waitcnt lgkmcnt(0)
	v_lshl_add_u64 v[0:1], v[34:35], 1, s[12:13]
	v_add_u32_e32 v47, 0x200, v16
	v_lshl_add_u64 v[2:3], v[0:1], 0, v[36:37]
	v_lshl_add_u64 v[0:1], v[0:1], 0, v[38:39]
	v_min_u32_e32 v34, s24, v47
	global_load_dwordx4 v[20:23], v[2:3], off nt
	global_load_dwordx4 v[12:15], v[0:1], off nt
	v_lshl_add_u64 v[0:1], v[34:35], 1, s[12:13]
	v_lshl_add_u64 v[8:9], v[0:1], 0, v[36:37]
	;; [unrolled: 1-line block ×3, first 2 shown]
	global_load_dwordx4 v[4:7], v[8:9], off nt
	global_load_dwordx4 v[0:3], v[10:11], off nt
	v_cmp_gt_u32_e32 vcc, s4, v16
	v_mov_b32_e32 v28, 0
	v_mov_b32_e32 v29, 0
	;; [unrolled: 1-line block ×16, first 2 shown]
	s_and_saveexec_b64 s[20:21], vcc
	s_cbranch_execz .LBB56_11
; %bb.13:                               ;   in Loop: Header=BB56_12 Depth=2
	v_add_u32_e32 v34, s6, v46
	ds_read_b128 v[28:31], v46
	ds_read_b128 v[24:27], v34
	v_cmp_gt_u32_e32 vcc, s4, v47
	v_mov_b32_e32 v11, 0
	v_mov_b32_e32 v10, 0
	;; [unrolled: 1-line block ×8, first 2 shown]
	s_and_saveexec_b64 s[22:23], vcc
	s_cbranch_execz .LBB56_10
; %bb.14:                               ;   in Loop: Header=BB56_12 Depth=2
	ds_read_b128 v[16:19], v46 offset:1024
	ds_read_b128 v[8:11], v34 offset:1024
	s_branch .LBB56_10
.LBB56_15:                              ;   in Loop: Header=BB56_8 Depth=1
	; sched_barrier mask(0x00000000)
	v_cvt_i32_f32_e32 v0, v45
	v_cvt_i32_f32_e32 v1, v44
	;; [unrolled: 1-line block ×4, first 2 shown]
	v_cvt_f32_i32_dpp v0, v0 row_shr:8 row_mask:0xf bank_mask:0xf bound_ctrl:1
	v_cvt_f32_i32_dpp v1, v1 row_shr:8 row_mask:0xf bank_mask:0xf bound_ctrl:1
	;; [unrolled: 1-line block ×4, first 2 shown]
	v_add_f32_e32 v0, v45, v0
	v_cvt_i32_f32_e32 v4, v0
	v_add_f32_e32 v1, v44, v1
	v_cvt_i32_f32_e32 v5, v1
	v_add_f32_e32 v2, v43, v2
	v_cvt_f32_i32_dpp v4, v4 row_shr:4 row_mask:0xf bank_mask:0xf bound_ctrl:1
	v_add_f32_e32 v3, v33, v3
	v_cvt_f32_i32_dpp v5, v5 row_shr:4 row_mask:0xf bank_mask:0xf bound_ctrl:1
	v_cvt_i32_f32_e32 v6, v2
	v_add_f32_e32 v0, v0, v4
	v_cvt_i32_f32_e32 v4, v0
	v_cvt_i32_f32_e32 v7, v3
	v_add_f32_e32 v1, v1, v5
	v_cvt_i32_f32_e32 v5, v1
	v_cvt_f32_i32_dpp v4, v4 row_shr:2 row_mask:0xf bank_mask:0xf bound_ctrl:1
	v_cvt_f32_i32_dpp v6, v6 row_shr:4 row_mask:0xf bank_mask:0xf bound_ctrl:1
	;; [unrolled: 1-line block ×4, first 2 shown]
	v_add_f32_e32 v0, v0, v4
	v_cvt_i32_f32_e32 v4, v0
	v_add_f32_e32 v2, v2, v6
	v_add_f32_e32 v3, v3, v7
	v_cvt_i32_f32_e32 v6, v2
	v_cvt_f32_i32_dpp v4, v4 row_shr:1 row_mask:0xf bank_mask:0xf bound_ctrl:1
	v_add_f32_e32 v1, v1, v5
	v_cvt_i32_f32_e32 v7, v3
	v_cvt_i32_f32_e32 v5, v1
	v_add_f32_e32 v0, v0, v4
	v_cvt_f32_i32_dpp v6, v6 row_shr:2 row_mask:0xf bank_mask:0xf bound_ctrl:1
	v_cvt_f32_i32_dpp v7, v7 row_shr:2 row_mask:0xf bank_mask:0xf bound_ctrl:1
	v_cvt_i32_f32_e32 v4, v0
	v_cvt_f32_i32_dpp v5, v5 row_shr:1 row_mask:0xf bank_mask:0xf bound_ctrl:1
	v_add_f32_e32 v2, v2, v6
	v_add_f32_e32 v3, v3, v7
	v_cvt_f32_i32_dpp v4, v4 row_bcast:15 row_mask:0xf bank_mask:0xf bound_ctrl:1
	v_add_f32_e32 v1, v1, v5
	v_cvt_i32_f32_e32 v5, v2
	v_cvt_i32_f32_e32 v6, v3
	v_add_f32_e32 v0, v0, v4
	v_cvt_i32_f32_e32 v7, v1
	v_cvt_f32_i32_dpp v5, v5 row_shr:1 row_mask:0xf bank_mask:0xf bound_ctrl:1
	v_cvt_f32_i32_dpp v4, v6 row_shr:1 row_mask:0xf bank_mask:0xf bound_ctrl:1
	v_cvt_i32_f32_e32 v8, v0
	v_cvt_f32_i32_dpp v6, v7 row_bcast:15 row_mask:0xf bank_mask:0xf bound_ctrl:1
	v_add_f32_e32 v2, v2, v5
	v_add_f32_e32 v4, v3, v4
	v_cvt_i32_f32_e32 v5, v2
	v_cvt_i32_f32_e32 v7, v4
	v_add_f32_e32 v3, v1, v6
	v_cvt_i32_f32_e32 v9, v3
	v_cvt_f32_i32_dpp v5, v5 row_bcast:15 row_mask:0xf bank_mask:0xf bound_ctrl:1
	v_cvt_f32_i32_dpp v6, v7 row_bcast:15 row_mask:0xf bank_mask:0xf bound_ctrl:1
	v_mov_b32_dpp v7, v8 row_bcast:31 row_mask:0xf bank_mask:0xf bound_ctrl:1
	v_add_f32_e32 v1, v2, v5
	v_add_f32_e32 v2, v4, v6
	v_cvt_i32_f32_e32 v5, v1
	v_cvt_i32_f32_e32 v4, v2
	v_mov_b32_dpp v6, v9 row_bcast:31 row_mask:0xf bank_mask:0xf bound_ctrl:1
	v_mov_b32_dpp v5, v5 row_bcast:31 row_mask:0xf bank_mask:0xf bound_ctrl:1
	;; [unrolled: 1-line block ×3, first 2 shown]
	s_and_saveexec_b64 s[20:21], s[0:1]
	s_cbranch_execz .LBB56_7
; %bb.16:                               ;   in Loop: Header=BB56_8 Depth=1
	s_and_b64 vcc, exec, s[18:19]
	s_cbranch_vccz .LBB56_18
; %bb.17:                               ;   in Loop: Header=BB56_8 Depth=1
	v_mul_hi_u32 v8, v32, v41
	v_mul_lo_u32 v8, v8, s8
	v_sub_u32_e32 v8, v32, v8
	v_subrev_u32_e32 v9, s8, v8
	v_cmp_le_u32_e32 vcc, s8, v8
	v_mov_b32_e32 v33, v35
	s_nop 0
	v_cndmask_b32_e32 v8, v8, v9, vcc
	v_subrev_u32_e32 v9, s8, v8
	v_cmp_le_u32_e32 vcc, s8, v8
	s_nop 1
	v_cndmask_b32_e32 v34, v8, v9, vcc
	v_or_b32_e32 v8, 1, v32
	v_mul_hi_u32 v9, v8, v41
	v_mul_lo_u32 v9, v9, s8
	v_sub_u32_e32 v8, v8, v9
	v_subrev_u32_e32 v9, s8, v8
	v_cmp_le_u32_e32 vcc, s8, v8
	v_lshl_add_u64 v[12:13], v[34:35], 1, s[10:11]
	v_add_u32_e32 v34, s9, v34
	v_cndmask_b32_e32 v8, v8, v9, vcc
	v_subrev_u32_e32 v9, s8, v8
	v_cmp_le_u32_e32 vcc, s8, v8
	v_lshl_add_u64 v[16:17], v[34:35], 1, s[10:11]
	s_nop 0
	v_cndmask_b32_e32 v8, v8, v9, vcc
	v_mov_b32_e32 v9, v35
	v_add_u32_e32 v34, s9, v8
	v_lshl_add_u64 v[14:15], v[8:9], 1, s[10:11]
	v_lshl_add_u64 v[18:19], v[34:35], 1, s[10:11]
	global_load_ushort v11, v[12:13], off
	global_load_ushort v10, v[14:15], off
	;; [unrolled: 1-line block ×4, first 2 shown]
	s_cbranch_execnz .LBB56_6
	s_branch .LBB56_19
.LBB56_18:                              ;   in Loop: Header=BB56_8 Depth=1
                                        ; implicit-def: $vgpr11
                                        ; implicit-def: $vgpr10
                                        ; implicit-def: $vgpr9
                                        ; implicit-def: $vgpr8
.LBB56_19:                              ;   in Loop: Header=BB56_8 Depth=1
	v_mov_b32_e32 v33, v35
	s_waitcnt vmcnt(0)
	v_mov_b32_e32 v8, 0
	v_mov_b32_e32 v9, 0
	;; [unrolled: 1-line block ×4, first 2 shown]
	s_branch .LBB56_6
.LBB56_20:
	s_endpgm
	.section	.rodata,"a",@progbits
	.p2align	6, 0x0
	.amdhsa_kernel _Z16wvSplitK_hf_sml_I6__halfLi64ELi2ELi16ELi8ELi2ELi2EEviiiiiiPKT_S3_S3_PS1_ii
		.amdhsa_group_segment_fixed_size 65536
		.amdhsa_private_segment_fixed_size 0
		.amdhsa_kernarg_size 64
		.amdhsa_user_sgpr_count 2
		.amdhsa_user_sgpr_dispatch_ptr 0
		.amdhsa_user_sgpr_queue_ptr 0
		.amdhsa_user_sgpr_kernarg_segment_ptr 1
		.amdhsa_user_sgpr_dispatch_id 0
		.amdhsa_user_sgpr_kernarg_preload_length 0
		.amdhsa_user_sgpr_kernarg_preload_offset 0
		.amdhsa_user_sgpr_private_segment_size 0
		.amdhsa_uses_dynamic_stack 0
		.amdhsa_enable_private_segment 0
		.amdhsa_system_sgpr_workgroup_id_x 1
		.amdhsa_system_sgpr_workgroup_id_y 0
		.amdhsa_system_sgpr_workgroup_id_z 0
		.amdhsa_system_sgpr_workgroup_info 0
		.amdhsa_system_vgpr_workitem_id 1
		.amdhsa_next_free_vgpr 48
		.amdhsa_next_free_sgpr 28
		.amdhsa_accum_offset 48
		.amdhsa_reserve_vcc 1
		.amdhsa_float_round_mode_32 0
		.amdhsa_float_round_mode_16_64 0
		.amdhsa_float_denorm_mode_32 3
		.amdhsa_float_denorm_mode_16_64 3
		.amdhsa_dx10_clamp 1
		.amdhsa_ieee_mode 1
		.amdhsa_fp16_overflow 0
		.amdhsa_tg_split 0
		.amdhsa_exception_fp_ieee_invalid_op 0
		.amdhsa_exception_fp_denorm_src 0
		.amdhsa_exception_fp_ieee_div_zero 0
		.amdhsa_exception_fp_ieee_overflow 0
		.amdhsa_exception_fp_ieee_underflow 0
		.amdhsa_exception_fp_ieee_inexact 0
		.amdhsa_exception_int_div_zero 0
	.end_amdhsa_kernel
	.section	.text._Z16wvSplitK_hf_sml_I6__halfLi64ELi2ELi16ELi8ELi2ELi2EEviiiiiiPKT_S3_S3_PS1_ii,"axG",@progbits,_Z16wvSplitK_hf_sml_I6__halfLi64ELi2ELi16ELi8ELi2ELi2EEviiiiiiPKT_S3_S3_PS1_ii,comdat
.Lfunc_end56:
	.size	_Z16wvSplitK_hf_sml_I6__halfLi64ELi2ELi16ELi8ELi2ELi2EEviiiiiiPKT_S3_S3_PS1_ii, .Lfunc_end56-_Z16wvSplitK_hf_sml_I6__halfLi64ELi2ELi16ELi8ELi2ELi2EEviiiiiiPKT_S3_S3_PS1_ii
                                        ; -- End function
	.section	.AMDGPU.csdata,"",@progbits
; Kernel info:
; codeLenInByte = 1896
; NumSgprs: 34
; NumVgprs: 48
; NumAgprs: 0
; TotalNumVgprs: 48
; ScratchSize: 0
; MemoryBound: 0
; FloatMode: 240
; IeeeMode: 1
; LDSByteSize: 65536 bytes/workgroup (compile time only)
; SGPRBlocks: 4
; VGPRBlocks: 5
; NumSGPRsForWavesPerEU: 34
; NumVGPRsForWavesPerEU: 48
; AccumOffset: 48
; Occupancy: 4
; WaveLimiterHint : 0
; COMPUTE_PGM_RSRC2:SCRATCH_EN: 0
; COMPUTE_PGM_RSRC2:USER_SGPR: 2
; COMPUTE_PGM_RSRC2:TRAP_HANDLER: 0
; COMPUTE_PGM_RSRC2:TGID_X_EN: 1
; COMPUTE_PGM_RSRC2:TGID_Y_EN: 0
; COMPUTE_PGM_RSRC2:TGID_Z_EN: 0
; COMPUTE_PGM_RSRC2:TIDIG_COMP_CNT: 1
; COMPUTE_PGM_RSRC3_GFX90A:ACCUM_OFFSET: 11
; COMPUTE_PGM_RSRC3_GFX90A:TG_SPLIT: 0
	.section	.text._Z12wvSplitK_hf_I6__halfLi64ELi2ELi16ELi8ELi2ELi2EEviiiiiiPKT_S3_S3_PS1_ii,"axG",@progbits,_Z12wvSplitK_hf_I6__halfLi64ELi2ELi16ELi8ELi2ELi2EEviiiiiiPKT_S3_S3_PS1_ii,comdat
	.protected	_Z12wvSplitK_hf_I6__halfLi64ELi2ELi16ELi8ELi2ELi2EEviiiiiiPKT_S3_S3_PS1_ii ; -- Begin function _Z12wvSplitK_hf_I6__halfLi64ELi2ELi16ELi8ELi2ELi2EEviiiiiiPKT_S3_S3_PS1_ii
	.globl	_Z12wvSplitK_hf_I6__halfLi64ELi2ELi16ELi8ELi2ELi2EEviiiiiiPKT_S3_S3_PS1_ii
	.p2align	8
	.type	_Z12wvSplitK_hf_I6__halfLi64ELi2ELi16ELi8ELi2ELi2EEviiiiiiPKT_S3_S3_PS1_ii,@function
_Z12wvSplitK_hf_I6__halfLi64ELi2ELi16ELi8ELi2ELi2EEviiiiiiPKT_S3_S3_PS1_ii: ; @_Z12wvSplitK_hf_I6__halfLi64ELi2ELi16ELi8ELi2ELi2EEviiiiiiPKT_S3_S3_PS1_ii
; %bb.0:
	s_load_dwordx2 s[4:5], s[0:1], 0x38
	s_load_dwordx4 s[8:11], s[0:1], 0x0
	s_load_dwordx2 s[6:7], s[0:1], 0x10
	v_bfe_u32 v3, v0, 10, 10
	s_mov_b32 s12, 1
	s_waitcnt lgkmcnt(0)
	s_mul_i32 s2, s2, s4
	v_add_lshl_u32 v34, s2, v3, 1
	v_add_u32_e32 v1, 2, v34
	v_cmp_gt_u32_e32 vcc, s11, v34
	v_cmp_le_u32_e64 s[2:3], s11, v1
	s_mov_b32 s13, s12
	s_and_b64 s[14:15], vcc, s[2:3]
	v_mov_b64_e32 v[32:33], s[12:13]
	s_and_saveexec_b64 s[2:3], s[14:15]
	s_cbranch_execz .LBB57_6
; %bb.1:
	s_add_i32 s20, s11, -2
	v_cmp_ne_u32_e32 vcc, s20, v34
	v_mov_b64_e32 v[32:33], s[12:13]
	s_and_saveexec_b64 s[12:13], vcc
	s_cbranch_execz .LBB57_5
; %bb.2:
	v_subrev_u32_e32 v1, s20, v34
	s_mov_b32 s14, 1
	v_cmp_lt_u32_e32 vcc, 1, v1
	s_mov_b64 s[16:17], 0
	s_mov_b64 s[18:19], 0
	v_cndmask_b32_e32 v2, 1, v1, vcc
	s_mov_b32 s15, s14
.LBB57_3:                               ; =>This Inner Loop Header: Depth=1
	s_cmp_lg_u32 s18, 1
	s_cselect_b32 s15, s15, 0
	s_cmp_lg_u32 s18, 0
	s_cselect_b32 s14, s14, 0
	s_add_u32 s18, s18, 1
	s_addc_u32 s19, s19, 0
	v_cmp_eq_u32_e32 vcc, s18, v2
	s_or_b64 s[16:17], vcc, s[16:17]
	v_mov_b64_e32 v[32:33], s[14:15]
	s_andn2_b64 exec, exec, s[16:17]
	s_cbranch_execnz .LBB57_3
; %bb.4:
	s_or_b64 exec, exec, s[16:17]
	v_mov_b32_e32 v34, s20
.LBB57_5:
	s_or_b64 exec, exec, s[12:13]
.LBB57_6:
	s_or_b64 exec, exec, s[2:3]
	s_load_dwordx4 s[12:15], s[0:1], 0x20
	v_and_b32_e32 v2, 0x3ff, v0
	v_lshlrev_b32_e32 v48, 3, v2
	s_lshl_b32 s2, s10, 1
	v_lshl_add_u32 v4, v3, 9, v48
	s_min_u32 s20, s2, 0x8000
	v_cmp_gt_u32_e32 vcc, s20, v4
	s_and_saveexec_b64 s[2:3], vcc
	s_cbranch_execz .LBB57_9
; %bb.7:
	v_mov_b32_e32 v7, 0
	v_lshlrev_b32_e32 v6, 10, v3
	v_lshlrev_b32_e32 v8, 4, v2
	v_mov_b32_e32 v9, v7
	v_lshl_add_u64 v[0:1], v[6:7], 0, v[8:9]
	s_waitcnt lgkmcnt(0)
	v_lshl_add_u64 v[0:1], s[12:13], 0, v[0:1]
	v_add_u32_e32 v5, v6, v8
	s_mov_b64 s[16:17], 0
	s_mov_b64 s[18:19], 0x4000
.LBB57_8:                               ; =>This Inner Loop Header: Depth=1
	global_load_dwordx4 v[6:9], v[0:1], off
	v_add_u32_e32 v4, 0x2000, v4
	v_cmp_le_u32_e32 vcc, s20, v4
	v_lshl_add_u64 v[0:1], v[0:1], 0, s[18:19]
	s_or_b64 s[16:17], vcc, s[16:17]
	s_waitcnt vmcnt(0)
	ds_write_b128 v5, v[6:9]
	v_add_u32_e32 v5, 0x4000, v5
	s_andn2_b64 exec, exec, s[16:17]
	s_cbranch_execnz .LBB57_8
.LBB57_9:
	s_or_b64 exec, exec, s[2:3]
	v_cmp_gt_u32_e32 vcc, s4, v3
	v_cmp_gt_u32_e64 s[2:3], s11, v34
	s_and_b64 s[2:3], vcc, s[2:3]
	s_waitcnt lgkmcnt(0)
	s_barrier
	s_and_saveexec_b64 s[16:17], s[2:3]
	s_cbranch_execz .LBB57_52
; %bb.10:
	v_cvt_f32_u32_e32 v0, s6
	s_cmp_lg_u32 s8, 0
	s_cselect_b64 s[2:3], -1, 0
	s_add_i32 s33, s8, -8
	v_rcp_iflag_f32_e32 v0, v0
	s_add_i32 s36, s11, -1
	s_mul_i32 s4, s4, s5
	s_cmp_lg_u64 s[14:15], 0
	v_mul_f32_e32 v0, 0x4f7ffffe, v0
	v_cvt_u32_f32_e32 v0, v0
	s_cselect_b64 s[22:23], -1, 0
	s_lshl_b32 s37, s4, 1
	s_sub_i32 s4, 0, s6
	v_mul_lo_u32 v1, s4, v0
	s_abs_i32 s4, s7
	s_add_i32 s38, s11, -2
	s_sub_i32 s5, 1, s4
	s_cmp_lt_u32 s4, 2
	s_load_dwordx2 s[16:17], s[0:1], 0x18
	s_load_dwordx2 s[18:19], s[0:1], 0x30
	s_cselect_b32 s5, s5, 1
	s_sub_i32 s7, s5, s4
	v_mul_hi_u32 v1, v0, v1
	s_cmp_ge_u32 s5, s4
	v_add_u32_e32 v49, v0, v1
	s_cselect_b32 s7, s7, s5
	v_cndmask_b32_e64 v0, 0, 1, s[2:3]
	v_cmp_eq_u32_e64 s[0:1], 63, v2
	s_mov_b64 s[20:21], 0
	v_mov_b32_e32 v37, 0
	s_mul_i32 s7, s7, s6
	v_cmp_ne_u32_e64 s[2:3], 1, v0
	s_movk_i32 s39, 0x7fff
	s_mov_b32 s24, 0
	s_branch .LBB57_13
.LBB57_11:                              ;   in Loop: Header=BB57_13 Depth=1
	s_or_b64 exec, exec, s[28:29]
	v_mov_b32_e32 v34, s38
.LBB57_12:                              ;   in Loop: Header=BB57_13 Depth=1
	s_or_b64 exec, exec, s[26:27]
	v_cmp_le_u32_e32 vcc, s11, v34
	s_or_b64 s[20:21], vcc, s[20:21]
	s_andn2_b64 exec, exec, s[20:21]
	s_cbranch_execz .LBB57_52
.LBB57_13:                              ; =>This Loop Header: Depth=1
                                        ;     Child Loop BB57_18 Depth 2
                                        ;     Child Loop BB57_47 Depth 2
	s_and_b64 vcc, exec, s[2:3]
	v_add_u32_e32 v38, 1, v34
	v_mov_b32_e32 v51, v37
	v_mov_b32_e32 v50, v37
	;; [unrolled: 1-line block ×4, first 2 shown]
	s_cbranch_vccnz .LBB57_36
; %bb.14:                               ;   in Loop: Header=BB57_13 Depth=1
	v_min_u32_e32 v0, s36, v34
	v_mul_lo_u32 v36, v0, s9
	v_min_u32_e32 v0, s36, v38
	v_mul_lo_u32 v0, v0, s9
	v_mov_b32_e32 v1, v37
	v_mov_b32_e32 v35, 0
	v_lshlrev_b64 v[40:41], 1, v[36:37]
	v_lshlrev_b64 v[42:43], 1, v[0:1]
	v_mov_b32_e32 v39, 0
	v_mov_b32_e32 v50, 0
	v_mov_b32_e32 v51, 0
	s_mov_b32 s30, s24
	s_branch .LBB57_18
.LBB57_15:                              ;   in Loop: Header=BB57_18 Depth=2
	s_or_b64 exec, exec, s[28:29]
.LBB57_16:                              ;   in Loop: Header=BB57_18 Depth=2
	s_or_b64 exec, exec, s[26:27]
.LBB57_17:                              ;   in Loop: Header=BB57_18 Depth=2
	s_or_b64 exec, exec, s[4:5]
	s_waitcnt vmcnt(0) lgkmcnt(0)
	;;#ASMSTART
	v_dot2c_f32_f16 v51, v20, v12
	;;#ASMEND
	;;#ASMSTART
	v_dot2c_f32_f16 v50, v20, v8
	;;#ASMEND
	;; [unrolled: 3-line block ×4, first 2 shown]
	s_addk_i32 s30, 0x400
	;;#ASMSTART
	v_dot2c_f32_f16 v51, v21, v13
	;;#ASMEND
	;;#ASMSTART
	v_dot2c_f32_f16 v50, v21, v9
	;;#ASMEND
	;; [unrolled: 3-line block ×4, first 2 shown]
	s_cmp_ge_u32 s30, s8
	;;#ASMSTART
	v_dot2c_f32_f16 v51, v22, v14
	;;#ASMEND
	;;#ASMSTART
	v_dot2c_f32_f16 v50, v22, v10
	;;#ASMEND
	;;#ASMSTART
	v_dot2c_f32_f16 v39, v18, v14
	;;#ASMEND
	;;#ASMSTART
	v_dot2c_f32_f16 v35, v18, v10
	;;#ASMEND
	s_nop 0
	;;#ASMSTART
	v_dot2c_f32_f16 v51, v23, v15
	;;#ASMEND
	;;#ASMSTART
	v_dot2c_f32_f16 v50, v23, v11
	;;#ASMEND
	;;#ASMSTART
	v_dot2c_f32_f16 v39, v19, v15
	;;#ASMEND
	;;#ASMSTART
	v_dot2c_f32_f16 v35, v19, v11
	;;#ASMEND
	s_nop 0
	;; [unrolled: 13-line block ×5, first 2 shown]
	;;#ASMSTART
	v_dot2c_f32_f16 v51, v31, v7
	;;#ASMEND
	;;#ASMSTART
	v_dot2c_f32_f16 v50, v31, v3
	;;#ASMEND
	;; [unrolled: 3-line block ×4, first 2 shown]
	s_cbranch_scc1 .LBB57_36
.LBB57_18:                              ;   Parent Loop BB57_13 Depth=1
                                        ; =>  This Inner Loop Header: Depth=2
	v_add_u32_e32 v46, s30, v48
	v_min_u32_e32 v36, s33, v46
	s_waitcnt lgkmcnt(0)
	v_lshl_add_u64 v[0:1], v[36:37], 1, s[16:17]
	v_add_u32_e32 v44, 0x200, v46
	v_lshl_add_u64 v[2:3], v[0:1], 0, v[40:41]
	v_lshl_add_u64 v[0:1], v[0:1], 0, v[42:43]
	v_min_u32_e32 v36, s33, v44
	global_load_dwordx4 v[12:15], v[2:3], off nt
	global_load_dwordx4 v[8:11], v[0:1], off nt
	v_lshl_add_u64 v[0:1], v[36:37], 1, s[16:17]
	v_lshl_add_u64 v[16:17], v[0:1], 0, v[40:41]
	;; [unrolled: 1-line block ×3, first 2 shown]
	global_load_dwordx4 v[4:7], v[16:17], off nt
	global_load_dwordx4 v[0:3], v[18:19], off nt
	s_mov_b32 s25, s24
	v_cmp_gt_u32_e32 vcc, s8, v46
	v_mov_b64_e32 v[30:31], s[24:25]
	v_mov_b32_e32 v27, 0
	v_mov_b32_e32 v26, 0
	;; [unrolled: 1-line block ×4, first 2 shown]
	v_mov_b64_e32 v[28:29], s[24:25]
	v_mov_b64_e32 v[18:19], s[24:25]
	;; [unrolled: 1-line block ×5, first 2 shown]
	s_and_saveexec_b64 s[4:5], vcc
	s_cbranch_execz .LBB57_17
; %bb.19:                               ;   in Loop: Header=BB57_18 Depth=2
	v_cmp_lt_u32_e32 vcc, s39, v46
                                        ; implicit-def: $vgpr22_vgpr23
	s_and_saveexec_b64 s[26:27], vcc
	s_xor_b64 s[26:27], exec, s[26:27]
	s_cbranch_execz .LBB57_21
; %bb.20:                               ;   in Loop: Header=BB57_18 Depth=2
	v_mov_b32_e32 v47, v37
	v_lshl_add_u64 v[16:17], v[46:47], 1, s[12:13]
	global_load_dwordx4 v[20:23], v[16:17], off
.LBB57_21:                              ;   in Loop: Header=BB57_18 Depth=2
	s_andn2_saveexec_b64 s[26:27], s[26:27]
	s_cbranch_execz .LBB57_23
; %bb.22:                               ;   in Loop: Header=BB57_18 Depth=2
	v_lshlrev_b32_e32 v16, 1, v46
	s_waitcnt vmcnt(0)
	ds_read_b128 v[20:23], v16
.LBB57_23:                              ;   in Loop: Header=BB57_18 Depth=2
	s_or_b64 exec, exec, s[26:27]
	v_add_u32_e32 v36, s10, v46
	v_cmp_lt_u32_e32 vcc, s39, v36
                                        ; implicit-def: $vgpr18_vgpr19
	s_and_saveexec_b64 s[26:27], vcc
	s_xor_b64 s[26:27], exec, s[26:27]
	s_cbranch_execz .LBB57_25
; %bb.24:                               ;   in Loop: Header=BB57_18 Depth=2
	v_lshl_add_u64 v[16:17], v[36:37], 1, s[12:13]
	global_load_dwordx4 v[16:19], v[16:17], off
.LBB57_25:                              ;   in Loop: Header=BB57_18 Depth=2
	s_andn2_saveexec_b64 s[26:27], s[26:27]
	s_cbranch_execz .LBB57_27
; %bb.26:                               ;   in Loop: Header=BB57_18 Depth=2
	s_waitcnt vmcnt(0)
	v_lshlrev_b32_e32 v16, 1, v36
	ds_read_b128 v[16:19], v16
.LBB57_27:                              ;   in Loop: Header=BB57_18 Depth=2
	s_or_b64 exec, exec, s[26:27]
	s_mov_b32 s25, s24
	v_cmp_gt_u32_e32 vcc, s8, v44
	v_mov_b32_e32 v27, 0
	v_mov_b64_e32 v[30:31], s[24:25]
	v_mov_b32_e32 v26, 0
	v_mov_b32_e32 v25, 0
	;; [unrolled: 1-line block ×3, first 2 shown]
	v_mov_b64_e32 v[28:29], s[24:25]
	s_and_saveexec_b64 s[26:27], vcc
	s_cbranch_execz .LBB57_16
; %bb.28:                               ;   in Loop: Header=BB57_18 Depth=2
	v_cmp_lt_u32_e32 vcc, s39, v44
                                        ; implicit-def: $vgpr30_vgpr31
	s_and_saveexec_b64 s[28:29], vcc
	s_xor_b64 s[28:29], exec, s[28:29]
	s_cbranch_execz .LBB57_30
; %bb.29:                               ;   in Loop: Header=BB57_18 Depth=2
	v_mov_b32_e32 v45, v37
	v_lshl_add_u64 v[24:25], v[44:45], 1, s[12:13]
	global_load_dwordx4 v[28:31], v[24:25], off
                                        ; implicit-def: $vgpr46
.LBB57_30:                              ;   in Loop: Header=BB57_18 Depth=2
	s_andn2_saveexec_b64 s[28:29], s[28:29]
	s_cbranch_execz .LBB57_32
; %bb.31:                               ;   in Loop: Header=BB57_18 Depth=2
	v_lshlrev_b32_e32 v24, 1, v46
	s_waitcnt vmcnt(0)
	ds_read_b128 v[28:31], v24 offset:1024
.LBB57_32:                              ;   in Loop: Header=BB57_18 Depth=2
	s_or_b64 exec, exec, s[28:29]
	v_add_u32_e32 v24, s10, v44
	v_cmp_lt_u32_e32 vcc, s39, v24
                                        ; implicit-def: $vgpr27
	s_and_saveexec_b64 s[28:29], vcc
	s_xor_b64 s[28:29], exec, s[28:29]
	s_cbranch_execz .LBB57_34
; %bb.33:                               ;   in Loop: Header=BB57_18 Depth=2
	v_mov_b32_e32 v25, v37
	v_lshl_add_u64 v[24:25], v[24:25], 1, s[12:13]
	global_load_dwordx4 v[24:27], v[24:25], off
.LBB57_34:                              ;   in Loop: Header=BB57_18 Depth=2
	s_andn2_saveexec_b64 s[28:29], s[28:29]
	s_cbranch_execz .LBB57_15
; %bb.35:                               ;   in Loop: Header=BB57_18 Depth=2
	s_waitcnt vmcnt(0)
	v_lshlrev_b32_e32 v24, 1, v36
	ds_read_b128 v[24:27], v24 offset:1024
	s_branch .LBB57_15
.LBB57_36:                              ;   in Loop: Header=BB57_13 Depth=1
	v_cvt_i32_f32_e32 v0, v51
	v_cvt_i32_f32_e32 v1, v50
	;; [unrolled: 1-line block ×4, first 2 shown]
	v_cvt_f32_i32_dpp v0, v0 row_shr:8 row_mask:0xf bank_mask:0xf bound_ctrl:1
	v_cvt_f32_i32_dpp v1, v1 row_shr:8 row_mask:0xf bank_mask:0xf bound_ctrl:1
	;; [unrolled: 1-line block ×4, first 2 shown]
	v_add_f32_e32 v0, v51, v0
	v_cvt_i32_f32_e32 v4, v0
	v_add_f32_e32 v1, v50, v1
	v_cvt_i32_f32_e32 v5, v1
	v_add_f32_e32 v2, v39, v2
	v_cvt_f32_i32_dpp v4, v4 row_shr:4 row_mask:0xf bank_mask:0xf bound_ctrl:1
	v_add_f32_e32 v3, v35, v3
	v_cvt_f32_i32_dpp v5, v5 row_shr:4 row_mask:0xf bank_mask:0xf bound_ctrl:1
	v_cvt_i32_f32_e32 v6, v2
	v_add_f32_e32 v0, v0, v4
	v_cvt_i32_f32_e32 v4, v0
	s_waitcnt vmcnt(0)
	v_cvt_i32_f32_e32 v7, v3
	v_add_f32_e32 v1, v1, v5
	v_cvt_i32_f32_e32 v5, v1
	v_cvt_f32_i32_dpp v4, v4 row_shr:2 row_mask:0xf bank_mask:0xf bound_ctrl:1
	v_cvt_f32_i32_dpp v6, v6 row_shr:4 row_mask:0xf bank_mask:0xf bound_ctrl:1
	;; [unrolled: 1-line block ×4, first 2 shown]
	v_add_f32_e32 v0, v0, v4
	v_cvt_i32_f32_e32 v4, v0
	v_add_f32_e32 v2, v2, v6
	v_add_f32_e32 v3, v3, v7
	v_cvt_i32_f32_e32 v6, v2
	v_cvt_f32_i32_dpp v4, v4 row_shr:1 row_mask:0xf bank_mask:0xf bound_ctrl:1
	v_add_f32_e32 v1, v1, v5
	v_cvt_i32_f32_e32 v7, v3
	v_cvt_i32_f32_e32 v5, v1
	v_add_f32_e32 v0, v0, v4
	v_cvt_f32_i32_dpp v6, v6 row_shr:2 row_mask:0xf bank_mask:0xf bound_ctrl:1
	v_cvt_f32_i32_dpp v7, v7 row_shr:2 row_mask:0xf bank_mask:0xf bound_ctrl:1
	v_cvt_i32_f32_e32 v4, v0
	v_cvt_f32_i32_dpp v5, v5 row_shr:1 row_mask:0xf bank_mask:0xf bound_ctrl:1
	v_add_f32_e32 v2, v2, v6
	v_add_f32_e32 v3, v3, v7
	v_cvt_f32_i32_dpp v4, v4 row_bcast:15 row_mask:0xf bank_mask:0xf bound_ctrl:1
	v_add_f32_e32 v1, v1, v5
	v_cvt_i32_f32_e32 v5, v2
	v_cvt_i32_f32_e32 v6, v3
	;; [unrolled: 1-line block ×3, first 2 shown]
	v_cvt_f32_i32_dpp v8, v5 row_shr:1 row_mask:0xf bank_mask:0xf bound_ctrl:1
	v_add_f32_e32 v5, v0, v4
	v_cvt_f32_i32_dpp v0, v6 row_shr:1 row_mask:0xf bank_mask:0xf bound_ctrl:1
	v_cvt_f32_i32_dpp v4, v7 row_bcast:15 row_mask:0xf bank_mask:0xf bound_ctrl:1
	v_add_f32_e32 v2, v2, v8
	v_cvt_i32_f32_e32 v6, v2
	v_add_f32_e32 v0, v3, v0
	v_cvt_i32_f32_e32 v3, v0
	v_add_f32_e32 v4, v1, v4
	v_cvt_f32_i32_dpp v6, v6 row_bcast:15 row_mask:0xf bank_mask:0xf bound_ctrl:1
	v_cvt_i32_f32_e32 v7, v5
	v_cvt_f32_i32_dpp v1, v3 row_bcast:15 row_mask:0xf bank_mask:0xf bound_ctrl:1
	v_cvt_i32_f32_e32 v3, v4
	v_add_f32_e32 v2, v2, v6
	v_cvt_i32_f32_e32 v9, v2
	v_add_f32_e32 v0, v0, v1
	v_cvt_i32_f32_e32 v1, v0
	v_mov_b32_dpp v8, v7 row_bcast:31 row_mask:0xf bank_mask:0xf bound_ctrl:1
	v_mov_b32_dpp v6, v3 row_bcast:31 row_mask:0xf bank_mask:0xf bound_ctrl:1
	;; [unrolled: 1-line block ×4, first 2 shown]
	s_and_saveexec_b64 s[26:27], s[0:1]
	s_cbranch_execz .LBB57_44
; %bb.37:                               ;   in Loop: Header=BB57_13 Depth=1
	s_andn2_b64 vcc, exec, s[22:23]
	v_mov_b32_e32 v7, 0
	v_mov_b32_e32 v9, 0
	;; [unrolled: 1-line block ×4, first 2 shown]
	s_cbranch_vccnz .LBB57_39
; %bb.38:                               ;   in Loop: Header=BB57_13 Depth=1
	v_mul_hi_u32 v7, v34, v49
	v_mul_lo_u32 v7, v7, s6
	v_sub_u32_e32 v7, v34, v7
	v_subrev_u32_e32 v9, s6, v7
	v_cmp_le_u32_e32 vcc, s6, v7
	v_mov_b32_e32 v11, v37
	s_nop 0
	v_cndmask_b32_e32 v7, v7, v9, vcc
	v_subrev_u32_e32 v9, s6, v7
	v_cmp_le_u32_e32 vcc, s6, v7
	s_nop 1
	v_cndmask_b32_e32 v36, v7, v9, vcc
	v_mul_hi_u32 v7, v38, v49
	v_mul_lo_u32 v7, v7, s6
	v_sub_u32_e32 v7, v38, v7
	v_subrev_u32_e32 v9, s6, v7
	v_cmp_le_u32_e32 vcc, s6, v7
	v_lshl_add_u64 v[12:13], v[36:37], 1, s[14:15]
	v_add_u32_e32 v36, s7, v36
	v_cndmask_b32_e32 v7, v7, v9, vcc
	v_subrev_u32_e32 v9, s6, v7
	v_cmp_le_u32_e32 vcc, s6, v7
	v_lshl_add_u64 v[16:17], v[36:37], 1, s[14:15]
	s_nop 0
	v_cndmask_b32_e32 v10, v7, v9, vcc
	v_add_u32_e32 v36, s7, v10
	v_lshl_add_u64 v[14:15], v[10:11], 1, s[14:15]
	v_lshl_add_u64 v[18:19], v[36:37], 1, s[14:15]
	global_load_ushort v11, v[12:13], off
	global_load_ushort v10, v[14:15], off
	global_load_ushort v9, v[16:17], off
	global_load_ushort v7, v[18:19], off
.LBB57_39:                              ;   in Loop: Header=BB57_13 Depth=1
	v_cmp_ne_u32_e32 vcc, 0, v32
	s_and_saveexec_b64 s[4:5], vcc
	s_cbranch_execnz .LBB57_49
; %bb.40:                               ;   in Loop: Header=BB57_13 Depth=1
	s_or_b64 exec, exec, s[4:5]
	v_cmp_ne_u32_e64 s[4:5], 0, v33
	s_and_saveexec_b64 s[28:29], s[4:5]
	s_cbranch_execnz .LBB57_50
.LBB57_41:                              ;   in Loop: Header=BB57_13 Depth=1
	s_or_b64 exec, exec, s[28:29]
	v_add_u32_e32 v36, s11, v34
	s_and_saveexec_b64 s[28:29], vcc
	s_cbranch_execnz .LBB57_51
.LBB57_42:                              ;   in Loop: Header=BB57_13 Depth=1
	s_or_b64 exec, exec, s[28:29]
	s_and_b64 exec, exec, s[4:5]
	s_cbranch_execz .LBB57_44
.LBB57_43:                              ;   in Loop: Header=BB57_13 Depth=1
	v_cvt_f32_i32_e32 v1, v1
	s_waitcnt vmcnt(0)
	v_cvt_f32_f16_e32 v2, v7
	v_add_u32_e32 v36, 1, v36
	v_add_f32_e32 v0, v0, v1
	v_add_f32_e32 v0, v0, v2
	v_cvt_f16_f32_e32 v2, v0
	s_waitcnt lgkmcnt(0)
	v_lshl_add_u64 v[0:1], v[36:37], 1, s[18:19]
	global_store_short v[0:1], v2, off
.LBB57_44:                              ;   in Loop: Header=BB57_13 Depth=1
	s_or_b64 exec, exec, s[26:27]
	v_add_u32_e32 v34, s37, v34
	v_add_u32_e32 v0, 2, v34
	v_cmp_gt_u32_e32 vcc, s11, v34
	v_cmp_le_u32_e64 s[4:5], s11, v0
	s_and_b64 s[4:5], vcc, s[4:5]
	s_and_saveexec_b64 s[26:27], s[4:5]
	s_cbranch_execz .LBB57_12
; %bb.45:                               ;   in Loop: Header=BB57_13 Depth=1
	v_cmp_ne_u32_e32 vcc, s38, v34
	s_and_saveexec_b64 s[28:29], vcc
	s_cbranch_execz .LBB57_11
; %bb.46:                               ;   in Loop: Header=BB57_13 Depth=1
	v_subrev_u32_e32 v0, s38, v34
	v_cmp_lt_u32_e32 vcc, 1, v0
	s_mov_b64 s[30:31], 0
	s_mov_b64 s[34:35], 0
	v_cndmask_b32_e32 v0, 1, v0, vcc
.LBB57_47:                              ;   Parent Loop BB57_13 Depth=1
                                        ; =>  This Inner Loop Header: Depth=2
	s_cmp_lg_u32 s34, 1
	s_cselect_b64 vcc, -1, 0
	s_cmp_lg_u32 s34, 0
	v_cndmask_b32_e32 v33, 0, v33, vcc
	s_cselect_b64 vcc, -1, 0
	s_add_u32 s34, s34, 1
	s_addc_u32 s35, s35, 0
	v_cmp_eq_u32_e64 s[4:5], s34, v0
	s_or_b64 s[30:31], s[4:5], s[30:31]
	v_cndmask_b32_e32 v32, 0, v32, vcc
	s_andn2_b64 exec, exec, s[30:31]
	s_cbranch_execnz .LBB57_47
; %bb.48:                               ;   in Loop: Header=BB57_13 Depth=1
	s_or_b64 exec, exec, s[30:31]
	s_branch .LBB57_11
.LBB57_49:                              ;   in Loop: Header=BB57_13 Depth=1
	v_cvt_f32_i32_e32 v8, v8
	s_waitcnt vmcnt(3)
	v_cvt_f32_f16_e32 v11, v11
	v_mov_b32_e32 v35, v37
	s_waitcnt lgkmcnt(0)
	v_lshl_add_u64 v[12:13], v[34:35], 1, s[18:19]
	v_add_f32_e32 v5, v5, v8
	v_add_f32_e32 v5, v5, v11
	v_cvt_f16_f32_e32 v5, v5
	global_store_short v[12:13], v5, off
	s_or_b64 exec, exec, s[4:5]
	v_cmp_ne_u32_e64 s[4:5], 0, v33
	s_and_saveexec_b64 s[28:29], s[4:5]
	s_cbranch_execz .LBB57_41
.LBB57_50:                              ;   in Loop: Header=BB57_13 Depth=1
	v_cvt_f32_i32_e32 v5, v6
	s_waitcnt vmcnt(2)
	v_cvt_f32_f16_e32 v6, v10
	v_mov_b32_e32 v39, v37
	v_add_f32_e32 v4, v4, v5
	v_add_f32_e32 v4, v4, v6
	v_cvt_f16_f32_e32 v6, v4
	s_waitcnt lgkmcnt(0)
	v_lshl_add_u64 v[4:5], v[38:39], 1, s[18:19]
	global_store_short v[4:5], v6, off
	s_or_b64 exec, exec, s[28:29]
	v_add_u32_e32 v36, s11, v34
	s_and_saveexec_b64 s[28:29], vcc
	s_cbranch_execz .LBB57_42
.LBB57_51:                              ;   in Loop: Header=BB57_13 Depth=1
	v_cvt_f32_i32_e32 v3, v3
	s_waitcnt vmcnt(1)
	v_cvt_f32_f16_e32 v4, v9
	v_add_f32_e32 v2, v2, v3
	v_add_f32_e32 v2, v2, v4
	v_cvt_f16_f32_e32 v4, v2
	s_waitcnt lgkmcnt(0)
	v_lshl_add_u64 v[2:3], v[36:37], 1, s[18:19]
	global_store_short v[2:3], v4, off
	s_or_b64 exec, exec, s[28:29]
	s_and_b64 exec, exec, s[4:5]
	s_cbranch_execnz .LBB57_43
	s_branch .LBB57_44
.LBB57_52:
	s_endpgm
	.section	.rodata,"a",@progbits
	.p2align	6, 0x0
	.amdhsa_kernel _Z12wvSplitK_hf_I6__halfLi64ELi2ELi16ELi8ELi2ELi2EEviiiiiiPKT_S3_S3_PS1_ii
		.amdhsa_group_segment_fixed_size 65536
		.amdhsa_private_segment_fixed_size 0
		.amdhsa_kernarg_size 64
		.amdhsa_user_sgpr_count 2
		.amdhsa_user_sgpr_dispatch_ptr 0
		.amdhsa_user_sgpr_queue_ptr 0
		.amdhsa_user_sgpr_kernarg_segment_ptr 1
		.amdhsa_user_sgpr_dispatch_id 0
		.amdhsa_user_sgpr_kernarg_preload_length 0
		.amdhsa_user_sgpr_kernarg_preload_offset 0
		.amdhsa_user_sgpr_private_segment_size 0
		.amdhsa_uses_dynamic_stack 0
		.amdhsa_enable_private_segment 0
		.amdhsa_system_sgpr_workgroup_id_x 1
		.amdhsa_system_sgpr_workgroup_id_y 0
		.amdhsa_system_sgpr_workgroup_id_z 0
		.amdhsa_system_sgpr_workgroup_info 0
		.amdhsa_system_vgpr_workitem_id 1
		.amdhsa_next_free_vgpr 52
		.amdhsa_next_free_sgpr 40
		.amdhsa_accum_offset 52
		.amdhsa_reserve_vcc 1
		.amdhsa_float_round_mode_32 0
		.amdhsa_float_round_mode_16_64 0
		.amdhsa_float_denorm_mode_32 3
		.amdhsa_float_denorm_mode_16_64 3
		.amdhsa_dx10_clamp 1
		.amdhsa_ieee_mode 1
		.amdhsa_fp16_overflow 0
		.amdhsa_tg_split 0
		.amdhsa_exception_fp_ieee_invalid_op 0
		.amdhsa_exception_fp_denorm_src 0
		.amdhsa_exception_fp_ieee_div_zero 0
		.amdhsa_exception_fp_ieee_overflow 0
		.amdhsa_exception_fp_ieee_underflow 0
		.amdhsa_exception_fp_ieee_inexact 0
		.amdhsa_exception_int_div_zero 0
	.end_amdhsa_kernel
	.section	.text._Z12wvSplitK_hf_I6__halfLi64ELi2ELi16ELi8ELi2ELi2EEviiiiiiPKT_S3_S3_PS1_ii,"axG",@progbits,_Z12wvSplitK_hf_I6__halfLi64ELi2ELi16ELi8ELi2ELi2EEviiiiiiPKT_S3_S3_PS1_ii,comdat
.Lfunc_end57:
	.size	_Z12wvSplitK_hf_I6__halfLi64ELi2ELi16ELi8ELi2ELi2EEviiiiiiPKT_S3_S3_PS1_ii, .Lfunc_end57-_Z12wvSplitK_hf_I6__halfLi64ELi2ELi16ELi8ELi2ELi2EEviiiiiiPKT_S3_S3_PS1_ii
                                        ; -- End function
	.section	.AMDGPU.csdata,"",@progbits
; Kernel info:
; codeLenInByte = 2468
; NumSgprs: 46
; NumVgprs: 52
; NumAgprs: 0
; TotalNumVgprs: 52
; ScratchSize: 0
; MemoryBound: 1
; FloatMode: 240
; IeeeMode: 1
; LDSByteSize: 65536 bytes/workgroup (compile time only)
; SGPRBlocks: 5
; VGPRBlocks: 6
; NumSGPRsForWavesPerEU: 46
; NumVGPRsForWavesPerEU: 52
; AccumOffset: 52
; Occupancy: 4
; WaveLimiterHint : 0
; COMPUTE_PGM_RSRC2:SCRATCH_EN: 0
; COMPUTE_PGM_RSRC2:USER_SGPR: 2
; COMPUTE_PGM_RSRC2:TRAP_HANDLER: 0
; COMPUTE_PGM_RSRC2:TGID_X_EN: 1
; COMPUTE_PGM_RSRC2:TGID_Y_EN: 0
; COMPUTE_PGM_RSRC2:TGID_Z_EN: 0
; COMPUTE_PGM_RSRC2:TIDIG_COMP_CNT: 1
; COMPUTE_PGM_RSRC3_GFX90A:ACCUM_OFFSET: 12
; COMPUTE_PGM_RSRC3_GFX90A:TG_SPLIT: 0
	.section	.text._Z16wvSplitK_hf_big_I6__halfLi64ELi2ELi16ELi8ELi2ELi2EEviiiiiiPKT_S3_S3_PS1_ii,"axG",@progbits,_Z16wvSplitK_hf_big_I6__halfLi64ELi2ELi16ELi8ELi2ELi2EEviiiiiiPKT_S3_S3_PS1_ii,comdat
	.protected	_Z16wvSplitK_hf_big_I6__halfLi64ELi2ELi16ELi8ELi2ELi2EEviiiiiiPKT_S3_S3_PS1_ii ; -- Begin function _Z16wvSplitK_hf_big_I6__halfLi64ELi2ELi16ELi8ELi2ELi2EEviiiiiiPKT_S3_S3_PS1_ii
	.globl	_Z16wvSplitK_hf_big_I6__halfLi64ELi2ELi16ELi8ELi2ELi2EEviiiiiiPKT_S3_S3_PS1_ii
	.p2align	8
	.type	_Z16wvSplitK_hf_big_I6__halfLi64ELi2ELi16ELi8ELi2ELi2EEviiiiiiPKT_S3_S3_PS1_ii,@function
_Z16wvSplitK_hf_big_I6__halfLi64ELi2ELi16ELi8ELi2ELi2EEviiiiiiPKT_S3_S3_PS1_ii: ; @_Z16wvSplitK_hf_big_I6__halfLi64ELi2ELi16ELi8ELi2ELi2EEviiiiiiPKT_S3_S3_PS1_ii
; %bb.0:
	s_load_dwordx2 s[4:5], s[0:1], 0x38
	v_bfe_u32 v1, v0, 10, 10
	s_waitcnt lgkmcnt(0)
	v_cmp_gt_u32_e32 vcc, s4, v1
	s_and_saveexec_b64 s[6:7], vcc
	s_cbranch_execz .LBB58_48
; %bb.1:
	s_load_dwordx4 s[20:23], s[0:1], 0x0
	s_mul_i32 s2, s2, s4
	v_add_lshl_u32 v34, s2, v1, 1
	s_mov_b32 s6, 1
	v_add_u32_e32 v2, 2, v34
	s_waitcnt lgkmcnt(0)
	v_cmp_gt_u32_e32 vcc, s23, v34
	v_cmp_le_u32_e64 s[2:3], s23, v2
	s_mov_b32 s7, s6
	s_and_b64 s[8:9], vcc, s[2:3]
	v_mov_b64_e32 v[32:33], s[6:7]
	s_and_saveexec_b64 s[2:3], s[8:9]
	s_cbranch_execz .LBB58_7
; %bb.2:
	s_add_i32 s14, s23, -2
	v_cmp_ne_u32_e32 vcc, s14, v34
	v_mov_b64_e32 v[32:33], s[6:7]
	s_and_saveexec_b64 s[6:7], vcc
	s_cbranch_execz .LBB58_6
; %bb.3:
	v_subrev_u32_e32 v2, s14, v34
	s_mov_b32 s8, 1
	v_cmp_lt_u32_e32 vcc, 1, v2
	s_mov_b64 s[10:11], 0
	s_mov_b64 s[12:13], 0
	v_cndmask_b32_e32 v2, 1, v2, vcc
	s_mov_b32 s9, s8
.LBB58_4:                               ; =>This Inner Loop Header: Depth=1
	s_cmp_lg_u32 s12, 1
	s_cselect_b32 s9, s9, 0
	s_cmp_lg_u32 s12, 0
	s_cselect_b32 s8, s8, 0
	s_add_u32 s12, s12, 1
	s_addc_u32 s13, s13, 0
	v_cmp_eq_u32_e32 vcc, s12, v2
	s_or_b64 s[10:11], vcc, s[10:11]
	v_mov_b64_e32 v[32:33], s[8:9]
	s_andn2_b64 exec, exec, s[10:11]
	s_cbranch_execnz .LBB58_4
; %bb.5:
	s_or_b64 exec, exec, s[10:11]
	v_mov_b32_e32 v34, s14
.LBB58_6:
	s_or_b64 exec, exec, s[6:7]
.LBB58_7:
	s_or_b64 exec, exec, s[2:3]
	s_lshl_b32 s2, s4, 1
	s_abs_i32 s3, s2
	v_cvt_f32_u32_e32 v2, s3
	s_sub_i32 s8, 0, s3
	s_abs_i32 s7, s23
	s_ashr_i32 s6, s23, 31
	v_rcp_iflag_f32_e32 v2, v2
	s_nop 0
	v_mul_f32_e32 v2, 0x4f7ffffe, v2
	v_cvt_u32_f32_e32 v2, v2
	s_nop 0
	v_readfirstlane_b32 s9, v2
	s_mul_i32 s8, s8, s9
	s_mul_hi_u32 s8, s9, s8
	s_add_i32 s9, s9, s8
	s_mul_hi_u32 s8, s7, s9
	s_mul_i32 s8, s8, s3
	s_sub_i32 s7, s7, s8
	s_sub_i32 s8, s7, s3
	s_cmp_ge_u32 s7, s3
	s_cselect_b32 s7, s8, s7
	s_sub_i32 s8, s7, s3
	s_cmp_ge_u32 s7, s3
	s_cselect_b32 s3, s8, s7
	s_xor_b32 s3, s3, s6
	s_sub_i32 s3, s3, s6
	s_add_i32 s2, s2, s23
	s_sub_i32 s2, s2, s3
	s_cmp_eq_u32 s3, 0
	s_cselect_b32 s33, s23, s2
	v_cmp_gt_u32_e32 vcc, s33, v34
	s_and_b64 exec, exec, vcc
	s_cbranch_execz .LBB58_48
; %bb.8:
	s_load_dwordx8 s[12:19], s[0:1], 0x10
	s_min_u32 s40, s22, 0x4000
	s_cmp_lg_u32 s20, 0
	s_load_dwordx2 s[10:11], s[0:1], 0x30
	s_cselect_b64 s[2:3], -1, 0
	s_waitcnt lgkmcnt(0)
	v_cvt_f32_u32_e32 v2, s12
	s_cmp_lg_u32 s22, 0
	s_mul_i32 s0, s5, s4
	s_cselect_b64 s[6:7], -1, 0
	v_rcp_iflag_f32_e32 v2, v2
	s_lshl_b32 s41, s4, 9
	s_add_i32 s42, s20, -8
	s_add_i32 s43, s23, -1
	v_mul_f32_e32 v2, 0x4f7ffffe, v2
	v_cvt_u32_f32_e32 v2, v2
	s_lshl_b32 s44, s0, 1
	s_cmp_lg_u64 s[18:19], 0
	s_cselect_b64 s[26:27], -1, 0
	s_sub_i32 s5, 0, s12
	v_mul_lo_u32 v3, s5, v2
	s_abs_i32 s5, s13
	s_add_i32 s45, s23, -2
	s_sub_i32 s8, 1, s5
	s_cmp_lt_u32 s5, 2
	v_and_b32_e32 v0, 0x3ff, v0
	s_cselect_b32 s8, s8, 1
	v_lshlrev_b32_e32 v42, 3, v0
	v_cmp_eq_u32_e64 s[0:1], 63, v0
	s_sub_i32 s9, s8, s5
	v_lshlrev_b32_e32 v0, 4, v0
	s_cmp_ge_u32 s8, s5
	v_lshl_add_u32 v44, v1, 10, v0
	v_cndmask_b32_e64 v0, 0, 1, s[2:3]
	v_mul_hi_u32 v3, v2, v3
	s_cselect_b32 s13, s9, s8
	s_add_u32 s28, s10, 2
	v_lshl_add_u32 v45, v1, 9, v42
	v_cmp_ne_u32_e64 s[2:3], 1, v0
	v_cndmask_b32_e64 v0, 0, 1, s[6:7]
	s_mov_b64 s[24:25], 0
	v_add_u32_e32 v43, v2, v3
	v_mov_b32_e32 v37, 0
	s_mul_i32 s13, s13, s12
	s_addc_u32 s29, s11, 0
	s_lshl_b32 s46, s40, 1
	s_lshl_b32 s47, s4, 10
	v_add_u32_e32 v46, s22, v45
	v_cmp_ne_u32_e64 s[4:5], 1, v0
	s_branch .LBB58_12
.LBB58_9:                               ;   in Loop: Header=BB58_12 Depth=1
	s_or_b64 exec, exec, s[34:35]
	v_mov_b32_e32 v34, s45
.LBB58_10:                              ;   in Loop: Header=BB58_12 Depth=1
	s_or_b64 exec, exec, s[30:31]
.LBB58_11:                              ;   in Loop: Header=BB58_12 Depth=1
	s_or_b64 exec, exec, s[8:9]
	v_cmp_le_u32_e32 vcc, s33, v34
	s_or_b64 s[24:25], vcc, s[24:25]
	s_andn2_b64 exec, exec, s[24:25]
	s_cbranch_execz .LBB58_48
.LBB58_12:                              ; =>This Loop Header: Depth=1
                                        ;     Child Loop BB58_17 Depth 2
                                        ;       Child Loop BB58_22 Depth 3
                                        ;     Child Loop BB58_43 Depth 2
	s_mov_b32 s36, 0
	s_and_b64 vcc, exec, s[2:3]
	v_mov_b32_e32 v49, v37
	v_mov_b32_e32 v48, v37
	;; [unrolled: 1-line block ×4, first 2 shown]
	s_cbranch_vccnz .LBB58_29
; %bb.13:                               ;   in Loop: Header=BB58_12 Depth=1
	v_min_u32_e32 v0, s43, v34
	v_mul_lo_u32 v36, v0, s21
	v_add_u32_e32 v0, 1, v34
	v_min_u32_e32 v0, s43, v0
	v_mul_lo_u32 v0, v0, s21
	v_mov_b32_e32 v1, v37
	v_cmp_gt_u32_e64 s[6:7], s23, v34
	v_mov_b32_e32 v35, 0
	v_lshlrev_b64 v[38:39], 1, v[36:37]
	v_lshlrev_b64 v[40:41], 1, v[0:1]
	v_mov_b32_e32 v47, 0
	v_mov_b32_e32 v48, 0
	;; [unrolled: 1-line block ×3, first 2 shown]
	s_mov_b32 s37, 0
	s_branch .LBB58_17
.LBB58_14:                              ;   in Loop: Header=BB58_17 Depth=2
	s_or_b64 exec, exec, s[34:35]
.LBB58_15:                              ;   in Loop: Header=BB58_17 Depth=2
	s_or_b64 exec, exec, s[30:31]
	s_waitcnt vmcnt(3) lgkmcnt(1)
	;;#ASMSTART
	v_dot2c_f32_f16 v49, v28, v20
	;;#ASMEND
	s_waitcnt vmcnt(2)
	;;#ASMSTART
	v_dot2c_f32_f16 v48, v28, v12
	;;#ASMEND
	s_waitcnt lgkmcnt(0)
	;;#ASMSTART
	v_dot2c_f32_f16 v47, v24, v20
	;;#ASMEND
	;;#ASMSTART
	v_dot2c_f32_f16 v35, v24, v12
	;;#ASMEND
	;;#ASMSTART
	v_dot2c_f32_f16 v49, v29, v21
	;;#ASMEND
	;;#ASMSTART
	v_dot2c_f32_f16 v48, v29, v13
	;;#ASMEND
	s_nop 0
	;;#ASMSTART
	v_dot2c_f32_f16 v47, v25, v21
	;;#ASMEND
	;;#ASMSTART
	v_dot2c_f32_f16 v35, v25, v13
	;;#ASMEND
	;;#ASMSTART
	v_dot2c_f32_f16 v49, v30, v22
	;;#ASMEND
	;;#ASMSTART
	v_dot2c_f32_f16 v48, v30, v14
	;;#ASMEND
	s_nop 0
	;; [unrolled: 13-line block ×3, first 2 shown]
	;;#ASMSTART
	v_dot2c_f32_f16 v47, v27, v23
	;;#ASMEND
	;;#ASMSTART
	v_dot2c_f32_f16 v35, v27, v15
	;;#ASMEND
	s_waitcnt vmcnt(1)
	;;#ASMSTART
	v_dot2c_f32_f16 v49, v16, v4
	;;#ASMEND
	s_waitcnt vmcnt(0)
	;;#ASMSTART
	v_dot2c_f32_f16 v48, v16, v0
	;;#ASMEND
	;;#ASMSTART
	v_dot2c_f32_f16 v47, v8, v4
	;;#ASMEND
	;;#ASMSTART
	v_dot2c_f32_f16 v35, v8, v0
	;;#ASMEND
	;;#ASMSTART
	v_dot2c_f32_f16 v49, v17, v5
	;;#ASMEND
	s_nop 0
	;;#ASMSTART
	v_dot2c_f32_f16 v48, v17, v1
	;;#ASMEND
	;;#ASMSTART
	v_dot2c_f32_f16 v47, v9, v5
	;;#ASMEND
	;;#ASMSTART
	v_dot2c_f32_f16 v35, v9, v1
	;;#ASMEND
	;;#ASMSTART
	v_dot2c_f32_f16 v49, v18, v6
	;;#ASMEND
	s_nop 0
	;; [unrolled: 13-line block ×3, first 2 shown]
	;;#ASMSTART
	v_dot2c_f32_f16 v48, v19, v3
	;;#ASMEND
	;;#ASMSTART
	v_dot2c_f32_f16 v47, v11, v7
	;;#ASMEND
	;; [unrolled: 3-line block ×3, first 2 shown]
.LBB58_16:                              ;   in Loop: Header=BB58_17 Depth=2
	s_or_b64 exec, exec, s[8:9]
	s_addk_i32 s37, 0x400
	s_cmp_ge_u32 s37, s20
	s_cbranch_scc1 .LBB58_29
.LBB58_17:                              ;   Parent Loop BB58_12 Depth=1
                                        ; =>  This Loop Header: Depth=2
                                        ;       Child Loop BB58_22 Depth 3
	s_cmp_eq_u32 s37, 0
	s_cselect_b64 s[8:9], -1, 0
	s_add_i32 s30, s36, s40
	s_cmp_eq_u32 s37, s30
	s_cselect_b64 s[34:35], -1, 0
	s_or_b64 s[34:35], s[8:9], s[34:35]
	s_andn2_b64 vcc, exec, s[34:35]
	s_cbranch_vccz .LBB58_19
; %bb.18:                               ;   in Loop: Header=BB58_17 Depth=2
	s_and_saveexec_b64 s[8:9], s[6:7]
	s_cbranch_execz .LBB58_16
	s_branch .LBB58_26
.LBB58_19:                              ;   in Loop: Header=BB58_17 Depth=2
	s_and_b64 s[8:9], s[8:9], exec
	s_cselect_b32 s36, s36, s30
	s_and_b64 vcc, exec, s[4:5]
	s_barrier
	s_cbranch_vccnz .LBB58_25
; %bb.20:                               ;   in Loop: Header=BB58_17 Depth=2
	v_add_u32_e32 v0, s36, v46
	v_add_u32_e32 v1, s36, v45
	s_mov_b32 s38, 0
	s_mov_b64 s[30:31], 0
	v_mov_b32_e32 v2, v44
                                        ; implicit-def: $sgpr34_sgpr35
	s_branch .LBB58_22
.LBB58_21:                              ;   in Loop: Header=BB58_22 Depth=3
	s_or_b64 exec, exec, s[8:9]
	s_and_b64 s[8:9], exec, s[34:35]
	s_or_b64 s[30:31], s[8:9], s[30:31]
	s_andn2_b64 exec, exec, s[30:31]
	s_cbranch_execz .LBB58_24
.LBB58_22:                              ;   Parent Loop BB58_12 Depth=1
                                        ;     Parent Loop BB58_17 Depth=2
                                        ; =>    This Inner Loop Header: Depth=3
	v_add_u32_e32 v3, s38, v45
	v_add_u32_e32 v36, s38, v1
	v_cmp_gt_u32_e32 vcc, s22, v36
	v_cmp_gt_u32_e64 s[8:9], s40, v3
	s_and_b64 s[48:49], s[8:9], vcc
	s_or_b64 s[34:35], s[34:35], exec
	s_and_saveexec_b64 s[8:9], s[48:49]
	s_cbranch_execz .LBB58_21
; %bb.23:                               ;   in Loop: Header=BB58_22 Depth=3
	v_lshl_add_u64 v[4:5], v[36:37], 1, s[16:17]
	v_add_u32_e32 v36, s38, v0
	global_load_dwordx4 v[4:7], v[4:5], off
	s_waitcnt vmcnt(2)
	v_lshl_add_u64 v[8:9], v[36:37], 1, s[16:17]
	global_load_dwordx4 v[8:11], v[8:9], off
	s_add_i32 s38, s38, s41
	s_cmp_ge_u32 s38, s40
	s_cselect_b64 s[48:49], -1, 0
	s_andn2_b64 s[34:35], s[34:35], exec
	s_and_b64 s[48:49], s[48:49], exec
	v_add_u32_e32 v3, s46, v2
	s_or_b64 s[34:35], s[34:35], s[48:49]
	s_waitcnt vmcnt(1)
	ds_write_b128 v2, v[4:7]
	v_add_u32_e32 v2, s47, v2
	s_waitcnt vmcnt(0)
	ds_write2_b64 v3, v[8:9], v[10:11] offset1:1
	s_branch .LBB58_21
.LBB58_24:                              ;   in Loop: Header=BB58_17 Depth=2
	s_or_b64 exec, exec, s[30:31]
.LBB58_25:                              ;   in Loop: Header=BB58_17 Depth=2
	s_waitcnt lgkmcnt(0)
	s_barrier
	s_and_saveexec_b64 s[8:9], s[6:7]
	s_cbranch_execz .LBB58_16
.LBB58_26:                              ;   in Loop: Header=BB58_17 Depth=2
	v_add_u32_e32 v50, s37, v42
	v_min_u32_e32 v36, s42, v50
	v_lshl_add_u64 v[0:1], v[36:37], 1, s[14:15]
	v_add_u32_e32 v51, 0x200, v50
	v_lshl_add_u64 v[2:3], v[0:1], 0, v[38:39]
	v_lshl_add_u64 v[0:1], v[0:1], 0, v[40:41]
	v_min_u32_e32 v36, s42, v51
	global_load_dwordx4 v[20:23], v[2:3], off nt
	global_load_dwordx4 v[12:15], v[0:1], off nt
	v_lshl_add_u64 v[0:1], v[36:37], 1, s[14:15]
	s_waitcnt vmcnt(3)
	v_lshl_add_u64 v[8:9], v[0:1], 0, v[38:39]
	v_lshl_add_u64 v[10:11], v[0:1], 0, v[40:41]
	global_load_dwordx4 v[4:7], v[8:9], off nt
	global_load_dwordx4 v[0:3], v[10:11], off nt
	v_cmp_gt_u32_e32 vcc, s20, v50
	v_mov_b32_e32 v28, 0
	v_mov_b32_e32 v29, 0
	;; [unrolled: 1-line block ×16, first 2 shown]
	s_and_saveexec_b64 s[30:31], vcc
	s_cbranch_execz .LBB58_15
; %bb.27:                               ;   in Loop: Header=BB58_17 Depth=2
	v_subrev_u32_e32 v8, s36, v50
	v_lshlrev_b32_e32 v50, 1, v8
	v_lshl_add_u32 v36, s40, 1, v50
	ds_read_b128 v[28:31], v50
	ds_read_b128 v[24:27], v36
	v_cmp_gt_u32_e32 vcc, s20, v51
	v_mov_b32_e32 v11, 0
	v_mov_b32_e32 v10, 0
	;; [unrolled: 1-line block ×8, first 2 shown]
	s_and_saveexec_b64 s[34:35], vcc
	s_cbranch_execz .LBB58_14
; %bb.28:                               ;   in Loop: Header=BB58_17 Depth=2
	ds_read_b128 v[16:19], v50 offset:1024
	ds_read_b128 v[8:11], v36 offset:1024
	s_branch .LBB58_14
.LBB58_29:                              ;   in Loop: Header=BB58_12 Depth=1
	v_cmp_le_u32_e32 vcc, s23, v34
	s_and_saveexec_b64 s[6:7], vcc
	s_xor_b64 s[6:7], exec, s[6:7]
; %bb.30:                               ;   in Loop: Header=BB58_12 Depth=1
	v_add_u32_e32 v34, s44, v34
                                        ; implicit-def: $vgpr49
                                        ; implicit-def: $vgpr48
                                        ; implicit-def: $vgpr47
                                        ; implicit-def: $vgpr35
; %bb.31:                               ;   in Loop: Header=BB58_12 Depth=1
	s_andn2_saveexec_b64 s[8:9], s[6:7]
	s_cbranch_execz .LBB58_11
; %bb.32:                               ;   in Loop: Header=BB58_12 Depth=1
	v_cvt_i32_f32_e32 v0, v49
	v_cvt_i32_f32_e32 v1, v48
	;; [unrolled: 1-line block ×4, first 2 shown]
	v_cvt_f32_i32_dpp v0, v0 row_shr:8 row_mask:0xf bank_mask:0xf bound_ctrl:1
	v_cvt_f32_i32_dpp v1, v1 row_shr:8 row_mask:0xf bank_mask:0xf bound_ctrl:1
	;; [unrolled: 1-line block ×4, first 2 shown]
	v_add_f32_e32 v0, v49, v0
	v_cvt_i32_f32_e32 v4, v0
	v_add_f32_e32 v1, v48, v1
	v_cvt_i32_f32_e32 v5, v1
	v_add_f32_e32 v2, v47, v2
	v_cvt_f32_i32_dpp v4, v4 row_shr:4 row_mask:0xf bank_mask:0xf bound_ctrl:1
	v_add_f32_e32 v3, v35, v3
	v_cvt_f32_i32_dpp v5, v5 row_shr:4 row_mask:0xf bank_mask:0xf bound_ctrl:1
	v_cvt_i32_f32_e32 v6, v2
	v_add_f32_e32 v0, v0, v4
	v_cvt_i32_f32_e32 v4, v0
	s_waitcnt vmcnt(0)
	v_cvt_i32_f32_e32 v7, v3
	v_add_f32_e32 v1, v1, v5
	v_cvt_i32_f32_e32 v5, v1
	v_cvt_f32_i32_dpp v4, v4 row_shr:2 row_mask:0xf bank_mask:0xf bound_ctrl:1
	v_cvt_f32_i32_dpp v6, v6 row_shr:4 row_mask:0xf bank_mask:0xf bound_ctrl:1
	;; [unrolled: 1-line block ×4, first 2 shown]
	v_add_f32_e32 v0, v0, v4
	v_cvt_i32_f32_e32 v4, v0
	v_add_f32_e32 v2, v2, v6
	v_add_f32_e32 v3, v3, v7
	v_cvt_i32_f32_e32 v6, v2
	v_cvt_f32_i32_dpp v4, v4 row_shr:1 row_mask:0xf bank_mask:0xf bound_ctrl:1
	v_add_f32_e32 v1, v1, v5
	v_cvt_i32_f32_e32 v7, v3
	v_cvt_i32_f32_e32 v5, v1
	v_add_f32_e32 v0, v0, v4
	v_cvt_f32_i32_dpp v6, v6 row_shr:2 row_mask:0xf bank_mask:0xf bound_ctrl:1
	v_cvt_f32_i32_dpp v7, v7 row_shr:2 row_mask:0xf bank_mask:0xf bound_ctrl:1
	v_cvt_i32_f32_e32 v4, v0
	v_cvt_f32_i32_dpp v5, v5 row_shr:1 row_mask:0xf bank_mask:0xf bound_ctrl:1
	v_add_f32_e32 v2, v2, v6
	v_add_f32_e32 v3, v3, v7
	v_cvt_f32_i32_dpp v4, v4 row_bcast:15 row_mask:0xf bank_mask:0xf bound_ctrl:1
	v_add_f32_e32 v1, v1, v5
	v_cvt_i32_f32_e32 v5, v2
	v_cvt_i32_f32_e32 v6, v3
	;; [unrolled: 1-line block ×3, first 2 shown]
	v_cvt_f32_i32_dpp v8, v5 row_shr:1 row_mask:0xf bank_mask:0xf bound_ctrl:1
	v_add_f32_e32 v5, v0, v4
	v_cvt_f32_i32_dpp v0, v6 row_shr:1 row_mask:0xf bank_mask:0xf bound_ctrl:1
	v_cvt_f32_i32_dpp v4, v7 row_bcast:15 row_mask:0xf bank_mask:0xf bound_ctrl:1
	v_add_f32_e32 v2, v2, v8
	v_cvt_i32_f32_e32 v6, v2
	v_add_f32_e32 v0, v3, v0
	v_cvt_i32_f32_e32 v3, v0
	v_add_f32_e32 v4, v1, v4
	v_cvt_f32_i32_dpp v6, v6 row_bcast:15 row_mask:0xf bank_mask:0xf bound_ctrl:1
	v_cvt_i32_f32_e32 v7, v5
	v_cvt_f32_i32_dpp v1, v3 row_bcast:15 row_mask:0xf bank_mask:0xf bound_ctrl:1
	v_cvt_i32_f32_e32 v3, v4
	v_add_f32_e32 v2, v2, v6
	v_cvt_i32_f32_e32 v9, v2
	v_add_f32_e32 v0, v0, v1
	v_cvt_i32_f32_e32 v1, v0
	v_mov_b32_dpp v8, v7 row_bcast:31 row_mask:0xf bank_mask:0xf bound_ctrl:1
	v_mov_b32_dpp v6, v3 row_bcast:31 row_mask:0xf bank_mask:0xf bound_ctrl:1
	;; [unrolled: 1-line block ×4, first 2 shown]
	s_and_saveexec_b64 s[30:31], s[0:1]
	s_cbranch_execz .LBB58_40
; %bb.33:                               ;   in Loop: Header=BB58_12 Depth=1
	s_andn2_b64 vcc, exec, s[26:27]
	v_mov_b32_e32 v7, 0
	v_mov_b32_e32 v9, 0
	;; [unrolled: 1-line block ×4, first 2 shown]
	s_cbranch_vccnz .LBB58_35
; %bb.34:                               ;   in Loop: Header=BB58_12 Depth=1
	v_mul_hi_u32 v7, v34, v43
	v_mul_lo_u32 v7, v7, s12
	v_sub_u32_e32 v7, v34, v7
	v_subrev_u32_e32 v9, s12, v7
	v_cmp_le_u32_e32 vcc, s12, v7
	v_mov_b32_e32 v11, v37
	s_nop 0
	v_cndmask_b32_e32 v7, v7, v9, vcc
	v_subrev_u32_e32 v9, s12, v7
	v_cmp_le_u32_e32 vcc, s12, v7
	s_nop 1
	v_cndmask_b32_e32 v36, v7, v9, vcc
	v_add_u32_e32 v7, 1, v34
	v_mul_hi_u32 v9, v7, v43
	v_mul_lo_u32 v9, v9, s12
	v_sub_u32_e32 v7, v7, v9
	v_subrev_u32_e32 v9, s12, v7
	v_cmp_le_u32_e32 vcc, s12, v7
	v_lshl_add_u64 v[12:13], v[36:37], 1, s[18:19]
	v_add_u32_e32 v36, s13, v36
	v_cndmask_b32_e32 v7, v7, v9, vcc
	v_subrev_u32_e32 v9, s12, v7
	v_cmp_le_u32_e32 vcc, s12, v7
	v_lshl_add_u64 v[16:17], v[36:37], 1, s[18:19]
	s_nop 0
	v_cndmask_b32_e32 v10, v7, v9, vcc
	v_add_u32_e32 v36, s13, v10
	v_lshl_add_u64 v[14:15], v[10:11], 1, s[18:19]
	v_lshl_add_u64 v[18:19], v[36:37], 1, s[18:19]
	global_load_ushort v11, v[12:13], off
	global_load_ushort v10, v[14:15], off
	;; [unrolled: 1-line block ×4, first 2 shown]
.LBB58_35:                              ;   in Loop: Header=BB58_12 Depth=1
	v_cmp_ne_u32_e32 vcc, 0, v32
	s_and_saveexec_b64 s[6:7], vcc
	s_cbranch_execnz .LBB58_45
; %bb.36:                               ;   in Loop: Header=BB58_12 Depth=1
	s_or_b64 exec, exec, s[6:7]
	v_cmp_ne_u32_e64 s[6:7], 0, v33
	s_and_saveexec_b64 s[34:35], s[6:7]
	s_cbranch_execnz .LBB58_46
.LBB58_37:                              ;   in Loop: Header=BB58_12 Depth=1
	s_or_b64 exec, exec, s[34:35]
	v_add_u32_e32 v36, s23, v34
	s_and_saveexec_b64 s[34:35], vcc
	s_cbranch_execnz .LBB58_47
.LBB58_38:                              ;   in Loop: Header=BB58_12 Depth=1
	s_or_b64 exec, exec, s[34:35]
	s_and_b64 exec, exec, s[6:7]
	s_cbranch_execz .LBB58_40
.LBB58_39:                              ;   in Loop: Header=BB58_12 Depth=1
	v_cvt_f32_i32_e32 v1, v1
	s_waitcnt vmcnt(0)
	v_cvt_f32_f16_e32 v2, v7
	v_add_u32_e32 v36, 1, v36
	v_add_f32_e32 v0, v0, v1
	v_add_f32_e32 v0, v0, v2
	v_cvt_f16_f32_e32 v2, v0
	v_lshl_add_u64 v[0:1], v[36:37], 1, s[10:11]
	global_store_short v[0:1], v2, off
.LBB58_40:                              ;   in Loop: Header=BB58_12 Depth=1
	s_or_b64 exec, exec, s[30:31]
	v_add_u32_e32 v34, s44, v34
	v_add_u32_e32 v0, 2, v34
	v_cmp_gt_u32_e32 vcc, s23, v34
	v_cmp_le_u32_e64 s[6:7], s23, v0
	s_and_b64 s[6:7], vcc, s[6:7]
	s_and_saveexec_b64 s[30:31], s[6:7]
	s_cbranch_execz .LBB58_10
; %bb.41:                               ;   in Loop: Header=BB58_12 Depth=1
	v_cmp_ne_u32_e32 vcc, s45, v34
	s_and_saveexec_b64 s[34:35], vcc
	s_cbranch_execz .LBB58_9
; %bb.42:                               ;   in Loop: Header=BB58_12 Depth=1
	v_subrev_u32_e32 v0, s45, v34
	v_cmp_lt_u32_e32 vcc, 1, v0
	s_mov_b64 s[36:37], 0
	s_mov_b64 s[38:39], 0
	v_cndmask_b32_e32 v0, 1, v0, vcc
.LBB58_43:                              ;   Parent Loop BB58_12 Depth=1
                                        ; =>  This Inner Loop Header: Depth=2
	s_cmp_lg_u32 s38, 1
	s_cselect_b64 vcc, -1, 0
	s_cmp_lg_u32 s38, 0
	v_cndmask_b32_e32 v33, 0, v33, vcc
	s_cselect_b64 vcc, -1, 0
	s_add_u32 s38, s38, 1
	s_addc_u32 s39, s39, 0
	v_cmp_eq_u32_e64 s[6:7], s38, v0
	s_or_b64 s[36:37], s[6:7], s[36:37]
	v_cndmask_b32_e32 v32, 0, v32, vcc
	s_andn2_b64 exec, exec, s[36:37]
	s_cbranch_execnz .LBB58_43
; %bb.44:                               ;   in Loop: Header=BB58_12 Depth=1
	s_or_b64 exec, exec, s[36:37]
	s_branch .LBB58_9
.LBB58_45:                              ;   in Loop: Header=BB58_12 Depth=1
	v_cvt_f32_i32_e32 v8, v8
	s_waitcnt vmcnt(3)
	v_cvt_f32_f16_e32 v11, v11
	v_mov_b32_e32 v35, v37
	v_lshl_add_u64 v[12:13], v[34:35], 1, s[10:11]
	v_add_f32_e32 v5, v5, v8
	v_add_f32_e32 v5, v5, v11
	v_cvt_f16_f32_e32 v5, v5
	global_store_short v[12:13], v5, off
	s_or_b64 exec, exec, s[6:7]
	v_cmp_ne_u32_e64 s[6:7], 0, v33
	s_and_saveexec_b64 s[34:35], s[6:7]
	s_cbranch_execz .LBB58_37
.LBB58_46:                              ;   in Loop: Header=BB58_12 Depth=1
	v_cvt_f32_i32_e32 v5, v6
	s_waitcnt vmcnt(2)
	v_cvt_f32_f16_e32 v6, v10
	v_mov_b32_e32 v35, v37
	v_add_f32_e32 v4, v4, v5
	v_add_f32_e32 v4, v4, v6
	v_cvt_f16_f32_e32 v6, v4
	v_lshl_add_u64 v[4:5], v[34:35], 1, s[28:29]
	global_store_short v[4:5], v6, off
	s_or_b64 exec, exec, s[34:35]
	v_add_u32_e32 v36, s23, v34
	s_and_saveexec_b64 s[34:35], vcc
	s_cbranch_execz .LBB58_38
.LBB58_47:                              ;   in Loop: Header=BB58_12 Depth=1
	v_cvt_f32_i32_e32 v3, v3
	s_waitcnt vmcnt(1)
	v_cvt_f32_f16_e32 v4, v9
	v_add_f32_e32 v2, v2, v3
	v_add_f32_e32 v2, v2, v4
	v_cvt_f16_f32_e32 v4, v2
	v_lshl_add_u64 v[2:3], v[36:37], 1, s[10:11]
	global_store_short v[2:3], v4, off
	s_or_b64 exec, exec, s[34:35]
	s_and_b64 exec, exec, s[6:7]
	s_cbranch_execnz .LBB58_39
	s_branch .LBB58_40
.LBB58_48:
	s_endpgm
	.section	.rodata,"a",@progbits
	.p2align	6, 0x0
	.amdhsa_kernel _Z16wvSplitK_hf_big_I6__halfLi64ELi2ELi16ELi8ELi2ELi2EEviiiiiiPKT_S3_S3_PS1_ii
		.amdhsa_group_segment_fixed_size 65536
		.amdhsa_private_segment_fixed_size 0
		.amdhsa_kernarg_size 64
		.amdhsa_user_sgpr_count 2
		.amdhsa_user_sgpr_dispatch_ptr 0
		.amdhsa_user_sgpr_queue_ptr 0
		.amdhsa_user_sgpr_kernarg_segment_ptr 1
		.amdhsa_user_sgpr_dispatch_id 0
		.amdhsa_user_sgpr_kernarg_preload_length 0
		.amdhsa_user_sgpr_kernarg_preload_offset 0
		.amdhsa_user_sgpr_private_segment_size 0
		.amdhsa_uses_dynamic_stack 0
		.amdhsa_enable_private_segment 0
		.amdhsa_system_sgpr_workgroup_id_x 1
		.amdhsa_system_sgpr_workgroup_id_y 0
		.amdhsa_system_sgpr_workgroup_id_z 0
		.amdhsa_system_sgpr_workgroup_info 0
		.amdhsa_system_vgpr_workitem_id 1
		.amdhsa_next_free_vgpr 52
		.amdhsa_next_free_sgpr 50
		.amdhsa_accum_offset 52
		.amdhsa_reserve_vcc 1
		.amdhsa_float_round_mode_32 0
		.amdhsa_float_round_mode_16_64 0
		.amdhsa_float_denorm_mode_32 3
		.amdhsa_float_denorm_mode_16_64 3
		.amdhsa_dx10_clamp 1
		.amdhsa_ieee_mode 1
		.amdhsa_fp16_overflow 0
		.amdhsa_tg_split 0
		.amdhsa_exception_fp_ieee_invalid_op 0
		.amdhsa_exception_fp_denorm_src 0
		.amdhsa_exception_fp_ieee_div_zero 0
		.amdhsa_exception_fp_ieee_overflow 0
		.amdhsa_exception_fp_ieee_underflow 0
		.amdhsa_exception_fp_ieee_inexact 0
		.amdhsa_exception_int_div_zero 0
	.end_amdhsa_kernel
	.section	.text._Z16wvSplitK_hf_big_I6__halfLi64ELi2ELi16ELi8ELi2ELi2EEviiiiiiPKT_S3_S3_PS1_ii,"axG",@progbits,_Z16wvSplitK_hf_big_I6__halfLi64ELi2ELi16ELi8ELi2ELi2EEviiiiiiPKT_S3_S3_PS1_ii,comdat
.Lfunc_end58:
	.size	_Z16wvSplitK_hf_big_I6__halfLi64ELi2ELi16ELi8ELi2ELi2EEviiiiiiPKT_S3_S3_PS1_ii, .Lfunc_end58-_Z16wvSplitK_hf_big_I6__halfLi64ELi2ELi16ELi8ELi2ELi2EEviiiiiiPKT_S3_S3_PS1_ii
                                        ; -- End function
	.section	.AMDGPU.csdata,"",@progbits
; Kernel info:
; codeLenInByte = 2624
; NumSgprs: 56
; NumVgprs: 52
; NumAgprs: 0
; TotalNumVgprs: 52
; ScratchSize: 0
; MemoryBound: 0
; FloatMode: 240
; IeeeMode: 1
; LDSByteSize: 65536 bytes/workgroup (compile time only)
; SGPRBlocks: 6
; VGPRBlocks: 6
; NumSGPRsForWavesPerEU: 56
; NumVGPRsForWavesPerEU: 52
; AccumOffset: 52
; Occupancy: 4
; WaveLimiterHint : 0
; COMPUTE_PGM_RSRC2:SCRATCH_EN: 0
; COMPUTE_PGM_RSRC2:USER_SGPR: 2
; COMPUTE_PGM_RSRC2:TRAP_HANDLER: 0
; COMPUTE_PGM_RSRC2:TGID_X_EN: 1
; COMPUTE_PGM_RSRC2:TGID_Y_EN: 0
; COMPUTE_PGM_RSRC2:TGID_Z_EN: 0
; COMPUTE_PGM_RSRC2:TIDIG_COMP_CNT: 1
; COMPUTE_PGM_RSRC3_GFX90A:ACCUM_OFFSET: 12
; COMPUTE_PGM_RSRC3_GFX90A:TG_SPLIT: 0
	.section	.text._Z16wvSplitK_hf_sml_I6__halfLi64ELi3ELi16ELi8ELi2ELi2EEviiiiiiPKT_S3_S3_PS1_ii,"axG",@progbits,_Z16wvSplitK_hf_sml_I6__halfLi64ELi3ELi16ELi8ELi2ELi2EEviiiiiiPKT_S3_S3_PS1_ii,comdat
	.protected	_Z16wvSplitK_hf_sml_I6__halfLi64ELi3ELi16ELi8ELi2ELi2EEviiiiiiPKT_S3_S3_PS1_ii ; -- Begin function _Z16wvSplitK_hf_sml_I6__halfLi64ELi3ELi16ELi8ELi2ELi2EEviiiiiiPKT_S3_S3_PS1_ii
	.globl	_Z16wvSplitK_hf_sml_I6__halfLi64ELi3ELi16ELi8ELi2ELi2EEviiiiiiPKT_S3_S3_PS1_ii
	.p2align	8
	.type	_Z16wvSplitK_hf_sml_I6__halfLi64ELi3ELi16ELi8ELi2ELi2EEviiiiiiPKT_S3_S3_PS1_ii,@function
_Z16wvSplitK_hf_sml_I6__halfLi64ELi3ELi16ELi8ELi2ELi2EEviiiiiiPKT_S3_S3_PS1_ii: ; @_Z16wvSplitK_hf_sml_I6__halfLi64ELi3ELi16ELi8ELi2ELi2EEviiiiiiPKT_S3_S3_PS1_ii
; %bb.0:
	s_load_dwordx4 s[4:7], s[0:1], 0x0
	s_load_dwordx2 s[8:9], s[0:1], 0x10
	s_load_dwordx2 s[10:11], s[0:1], 0x28
	v_and_b32_e32 v2, 0x3ff, v0
	v_bfe_u32 v3, v0, 10, 10
	v_lshlrev_b32_e32 v54, 3, v2
	s_waitcnt lgkmcnt(0)
	s_lshl_b32 s6, s6, 1
	v_lshl_add_u32 v4, v3, 9, v54
	s_min_u32 s3, s6, 0x8000
	v_cmp_gt_u32_e32 vcc, s3, v4
	s_and_saveexec_b64 s[12:13], vcc
	s_cbranch_execz .LBB59_3
; %bb.1:
	s_load_dwordx2 s[14:15], s[0:1], 0x20
	v_mov_b32_e32 v7, 0
	v_lshlrev_b32_e32 v6, 10, v3
	v_lshlrev_b32_e32 v8, 4, v2
	v_mov_b32_e32 v9, v7
	v_lshl_add_u64 v[0:1], v[6:7], 0, v[8:9]
	s_waitcnt lgkmcnt(0)
	v_lshl_add_u64 v[0:1], s[14:15], 0, v[0:1]
	v_add_u32_e32 v5, v6, v8
	s_mov_b64 s[14:15], 0
	s_mov_b64 s[16:17], 0x4000
.LBB59_2:                               ; =>This Inner Loop Header: Depth=1
	global_load_dwordx4 v[6:9], v[0:1], off
	v_add_u32_e32 v4, 0x2000, v4
	v_cmp_le_u32_e32 vcc, s3, v4
	v_lshl_add_u64 v[0:1], v[0:1], 0, s[16:17]
	s_or_b64 s[14:15], vcc, s[14:15]
	s_waitcnt vmcnt(0)
	ds_write_b128 v5, v[6:9]
	v_add_u32_e32 v5, 0x4000, v5
	s_andn2_b64 exec, exec, s[14:15]
	s_cbranch_execnz .LBB59_2
.LBB59_3:
	s_or_b64 exec, exec, s[12:13]
	s_load_dwordx2 s[16:17], s[0:1], 0x38
	s_waitcnt lgkmcnt(0)
	s_barrier
	v_cmp_gt_u32_e32 vcc, s16, v3
	s_and_saveexec_b64 s[12:13], vcc
	s_cbranch_execz .LBB59_20
; %bb.4:
	s_mul_i32 s2, s2, s16
	v_add_u32_e32 v0, s2, v3
	v_lshl_add_u32 v40, v0, 1, v0
	v_cmp_gt_u32_e32 vcc, s7, v40
	s_and_b64 exec, exec, vcc
	s_cbranch_execz .LBB59_20
; %bb.5:
	v_cvt_f32_u32_e32 v0, s8
	s_cmp_lg_u32 s4, 0
	s_cselect_b64 s[2:3], -1, 0
	s_add_i32 s24, s4, -8
	v_rcp_iflag_f32_e32 v0, v0
	s_add_i32 s25, s7, -1
	s_cmp_lg_u64 s[10:11], 0
	s_cselect_b64 s[18:19], -1, 0
	v_mul_f32_e32 v0, 0x4f7ffffe, v0
	v_cvt_u32_f32_e32 v0, v0
	s_sub_i32 s20, 0, s8
	s_abs_i32 s9, s9
	s_load_dwordx2 s[12:13], s[0:1], 0x18
	s_load_dwordx2 s[14:15], s[0:1], 0x30
	v_mul_lo_u32 v1, s20, v0
	s_sub_i32 s20, 1, s9
	s_cmp_lt_u32 s9, 2
	s_cselect_b32 s20, s20, 1
	s_sub_i32 s21, s20, s9
	v_mul_hi_u32 v1, v0, v1
	s_cmp_ge_u32 s20, s9
	s_mul_i32 s26, s16, s17
	v_add_u32_e32 v55, v0, v1
	s_cselect_b32 s9, s21, s20
	v_cndmask_b32_e64 v0, 0, 1, s[2:3]
	v_cmp_eq_u32_e64 s[0:1], 63, v2
	s_mov_b64 s[16:17], 0
	s_mul_i32 s26, s26, 3
	s_mul_i32 s9, s9, s8
	v_lshlrev_b32_e32 v56, 4, v2
	v_cmp_ne_u32_e64 s[2:3], 1, v0
	v_mov_b32_e32 v43, 0
	s_branch .LBB59_8
.LBB59_6:                               ;   in Loop: Header=BB59_8 Depth=1
	v_cvt_f32_i32_e32 v3, v3
	v_cvt_f32_i32_e32 v2, v2
	;; [unrolled: 1-line block ×3, first 2 shown]
	v_add_u32_e32 v42, s7, v40
	v_add_f32_e32 v0, v0, v3
	v_add_f32_e32 v2, v1, v2
	v_cvt_f32_i32_e32 v1, v10
	v_add_f32_e32 v3, v4, v11
	v_cvt_f32_i32_e32 v4, v9
	s_waitcnt vmcnt(5)
	v_cvt_f32_f16_e32 v9, v17
	v_add_f32_e32 v5, v5, v1
	v_cvt_f32_i32_e32 v1, v8
	v_add_f32_e32 v4, v7, v4
	v_add_f32_e32 v0, v0, v9
	v_cvt_f16_f32_e32 v7, v0
	v_add_f32_e32 v6, v6, v1
	s_waitcnt vmcnt(4)
	v_cvt_f32_f16_e32 v8, v16
	s_waitcnt lgkmcnt(0)
	v_lshl_add_u64 v[0:1], v[40:41], 1, s[14:15]
	global_store_short v[0:1], v7, off
	s_waitcnt vmcnt(4)
	v_cvt_f32_f16_e32 v7, v15
	v_add_f32_e32 v0, v2, v8
	v_cvt_f16_f32_e32 v2, v0
	v_lshl_add_u64 v[0:1], v[46:47], 1, s[14:15]
	v_add_f32_e32 v3, v3, v7
	v_cvt_f16_f32_e32 v3, v3
	s_waitcnt vmcnt(3)
	v_cvt_f32_f16_e32 v7, v14
	global_store_short v[0:1], v2, off
	v_lshl_add_u64 v[0:1], v[44:45], 1, s[14:15]
	global_store_short v[0:1], v3, off
	v_add_f32_e32 v0, v5, v7
	v_cvt_f16_f32_e32 v2, v0
	s_waitcnt vmcnt(4)
	v_cvt_f32_f16_e32 v3, v13
	v_lshl_add_u64 v[0:1], v[42:43], 1, s[14:15]
	global_store_short v[0:1], v2, off
	v_add_f32_e32 v0, v4, v3
	s_waitcnt vmcnt(4)
	v_cvt_f32_f16_e32 v3, v12
	v_cvt_f16_f32_e32 v2, v0
	v_add_u32_e32 v0, 1, v42
	v_mov_b32_e32 v1, v43
	v_add_f32_e32 v3, v6, v3
	v_cvt_f16_f32_e32 v3, v3
	v_lshl_add_u64 v[0:1], v[0:1], 1, s[14:15]
	v_add_u32_e32 v42, 2, v42
	global_store_short v[0:1], v2, off
	v_lshl_add_u64 v[0:1], v[42:43], 1, s[14:15]
	global_store_short v[0:1], v3, off
.LBB59_7:                               ;   in Loop: Header=BB59_8 Depth=1
	s_or_b64 exec, exec, s[20:21]
	v_add_u32_e32 v40, s26, v40
	v_cmp_le_u32_e32 vcc, s7, v40
	s_or_b64 s[16:17], vcc, s[16:17]
	s_andn2_b64 exec, exec, s[16:17]
	s_cbranch_execz .LBB59_20
.LBB59_8:                               ; =>This Loop Header: Depth=1
                                        ;     Child Loop BB59_12 Depth 2
	s_mov_b32 s27, 0
	s_and_b64 vcc, exec, s[2:3]
	v_add_u32_e32 v46, 1, v40
	v_add_u32_e32 v44, 2, v40
	v_mov_b32_e32 v59, v43
	v_mov_b32_e32 v58, v43
	;; [unrolled: 1-line block ×6, first 2 shown]
	s_cbranch_vccnz .LBB59_15
; %bb.9:                                ;   in Loop: Header=BB59_8 Depth=1
	v_min_u32_e32 v0, s25, v40
	v_mul_lo_u32 v42, v0, s5
	v_min_u32_e32 v0, s25, v46
	v_min_u32_e32 v2, s25, v44
	v_mul_lo_u32 v0, v0, s5
	v_mov_b32_e32 v1, v43
	v_mul_lo_u32 v2, v2, s5
	v_mov_b32_e32 v3, v43
	v_mov_b32_e32 v41, 0
	v_lshlrev_b64 v[48:49], 1, v[42:43]
	v_lshlrev_b64 v[50:51], 1, v[0:1]
	;; [unrolled: 1-line block ×3, first 2 shown]
	v_mov_b32_e32 v60, v56
	v_mov_b32_e32 v45, 0
	;; [unrolled: 1-line block ×6, first 2 shown]
	s_branch .LBB59_12
.LBB59_10:                              ;   in Loop: Header=BB59_12 Depth=2
	s_or_b64 exec, exec, s[22:23]
.LBB59_11:                              ;   in Loop: Header=BB59_12 Depth=2
	s_or_b64 exec, exec, s[20:21]
	s_waitcnt vmcnt(5) lgkmcnt(1)
	;;#ASMSTART
	v_dot2c_f32_f16 v59, v36, v28
	;;#ASMEND
	s_waitcnt vmcnt(4)
	;;#ASMSTART
	v_dot2c_f32_f16 v58, v36, v24
	;;#ASMEND
	s_waitcnt vmcnt(3)
	;;#ASMSTART
	v_dot2c_f32_f16 v57, v36, v20
	;;#ASMEND
	s_waitcnt lgkmcnt(0)
	;;#ASMSTART
	v_dot2c_f32_f16 v47, v32, v28
	;;#ASMEND
	;;#ASMSTART
	v_dot2c_f32_f16 v45, v32, v24
	;;#ASMEND
	;;#ASMSTART
	v_dot2c_f32_f16 v41, v32, v20
	;;#ASMEND
	;;#ASMSTART
	v_dot2c_f32_f16 v59, v37, v29
	;;#ASMEND
	;;#ASMSTART
	v_dot2c_f32_f16 v58, v37, v25
	;;#ASMEND
	;;#ASMSTART
	v_dot2c_f32_f16 v57, v37, v21
	;;#ASMEND
	s_nop 0
	;;#ASMSTART
	v_dot2c_f32_f16 v47, v33, v29
	;;#ASMEND
	;;#ASMSTART
	v_dot2c_f32_f16 v45, v33, v25
	;;#ASMEND
	;;#ASMSTART
	v_dot2c_f32_f16 v41, v33, v21
	;;#ASMEND
	;;#ASMSTART
	v_dot2c_f32_f16 v59, v38, v30
	;;#ASMEND
	;;#ASMSTART
	v_dot2c_f32_f16 v58, v38, v26
	;;#ASMEND
	;;#ASMSTART
	v_dot2c_f32_f16 v57, v38, v22
	;;#ASMEND
	s_nop 0
	;; [unrolled: 19-line block ×3, first 2 shown]
	;;#ASMSTART
	v_dot2c_f32_f16 v47, v35, v31
	;;#ASMEND
	;;#ASMSTART
	v_dot2c_f32_f16 v45, v35, v27
	;;#ASMEND
	;; [unrolled: 3-line block ×3, first 2 shown]
	s_waitcnt vmcnt(2)
	;;#ASMSTART
	v_dot2c_f32_f16 v59, v16, v8
	;;#ASMEND
	s_waitcnt vmcnt(1)
	;;#ASMSTART
	v_dot2c_f32_f16 v58, v16, v4
	;;#ASMEND
	;; [unrolled: 4-line block ×3, first 2 shown]
	;;#ASMSTART
	v_dot2c_f32_f16 v47, v12, v8
	;;#ASMEND
	;;#ASMSTART
	v_dot2c_f32_f16 v45, v12, v4
	;;#ASMEND
	;; [unrolled: 3-line block ×5, first 2 shown]
	s_nop 0
	;;#ASMSTART
	v_dot2c_f32_f16 v57, v17, v1
	;;#ASMEND
	;;#ASMSTART
	v_dot2c_f32_f16 v47, v13, v9
	;;#ASMEND
	;; [unrolled: 3-line block ×4, first 2 shown]
	s_addk_i32 s27, 0x400
	;;#ASMSTART
	v_dot2c_f32_f16 v59, v18, v10
	;;#ASMEND
	;;#ASMSTART
	v_dot2c_f32_f16 v58, v18, v6
	;;#ASMEND
	;;#ASMSTART
	v_dot2c_f32_f16 v57, v18, v2
	;;#ASMEND
	;;#ASMSTART
	v_dot2c_f32_f16 v47, v14, v10
	;;#ASMEND
	;;#ASMSTART
	v_dot2c_f32_f16 v45, v14, v6
	;;#ASMEND
	;;#ASMSTART
	v_dot2c_f32_f16 v41, v14, v2
	;;#ASMEND
	s_cmp_ge_u32 s27, s4
	v_add_u32_e32 v60, 0x800, v60
	;;#ASMSTART
	v_dot2c_f32_f16 v59, v19, v11
	;;#ASMEND
	;;#ASMSTART
	v_dot2c_f32_f16 v58, v19, v7
	;;#ASMEND
	;; [unrolled: 3-line block ×6, first 2 shown]
	s_cbranch_scc1 .LBB59_15
.LBB59_12:                              ;   Parent Loop BB59_8 Depth=1
                                        ; =>  This Inner Loop Header: Depth=2
	v_add_u32_e32 v16, s27, v54
	v_min_u32_e32 v42, s24, v16
	s_waitcnt lgkmcnt(0)
	v_lshl_add_u64 v[0:1], v[42:43], 1, s[12:13]
	v_add_u32_e32 v61, 0x200, v16
	v_lshl_add_u64 v[2:3], v[0:1], 0, v[48:49]
	v_min_u32_e32 v42, s24, v61
	v_lshl_add_u64 v[4:5], v[0:1], 0, v[50:51]
	global_load_dwordx4 v[28:31], v[2:3], off nt
	global_load_dwordx4 v[24:27], v[4:5], off nt
	v_lshl_add_u64 v[2:3], v[42:43], 1, s[12:13]
	v_lshl_add_u64 v[0:1], v[0:1], 0, v[52:53]
	;; [unrolled: 1-line block ×4, first 2 shown]
	global_load_dwordx4 v[20:23], v[0:1], off nt
	global_load_dwordx4 v[8:11], v[4:5], off nt
	v_lshl_add_u64 v[14:15], v[2:3], 0, v[52:53]
	global_load_dwordx4 v[4:7], v[12:13], off nt
	global_load_dwordx4 v[0:3], v[14:15], off nt
	v_cmp_gt_u32_e32 vcc, s4, v16
	v_mov_b32_e32 v36, 0
	v_mov_b32_e32 v37, 0
	;; [unrolled: 1-line block ×16, first 2 shown]
	s_and_saveexec_b64 s[20:21], vcc
	s_cbranch_execz .LBB59_11
; %bb.13:                               ;   in Loop: Header=BB59_12 Depth=2
	v_add_u32_e32 v42, s6, v60
	ds_read_b128 v[36:39], v60
	ds_read_b128 v[32:35], v42
	v_cmp_gt_u32_e32 vcc, s4, v61
	v_mov_b32_e32 v15, 0
	v_mov_b32_e32 v14, 0
	;; [unrolled: 1-line block ×8, first 2 shown]
	s_and_saveexec_b64 s[22:23], vcc
	s_cbranch_execz .LBB59_10
; %bb.14:                               ;   in Loop: Header=BB59_12 Depth=2
	ds_read_b128 v[16:19], v60 offset:1024
	ds_read_b128 v[12:15], v42 offset:1024
	s_branch .LBB59_10
.LBB59_15:                              ;   in Loop: Header=BB59_8 Depth=1
	; sched_barrier mask(0x00000000)
	v_cvt_i32_f32_e32 v0, v59
	v_cvt_i32_f32_e32 v1, v58
	;; [unrolled: 1-line block ×4, first 2 shown]
	v_cvt_f32_i32_dpp v0, v0 row_shr:8 row_mask:0xf bank_mask:0xf bound_ctrl:1
	v_cvt_f32_i32_dpp v1, v1 row_shr:8 row_mask:0xf bank_mask:0xf bound_ctrl:1
	v_cvt_f32_i32_dpp v4, v4 row_shr:8 row_mask:0xf bank_mask:0xf bound_ctrl:1
	v_cvt_f32_i32_dpp v5, v5 row_shr:8 row_mask:0xf bank_mask:0xf bound_ctrl:1
	v_add_f32_e32 v0, v59, v0
	v_add_f32_e32 v1, v58, v1
	v_cvt_i32_f32_e32 v2, v0
	v_cvt_i32_f32_e32 v3, v1
	v_add_f32_e32 v4, v57, v4
	v_cvt_i32_f32_e32 v6, v4
	v_cvt_f32_i32_dpp v2, v2 row_shr:4 row_mask:0xf bank_mask:0xf bound_ctrl:1
	v_cvt_f32_i32_dpp v3, v3 row_shr:4 row_mask:0xf bank_mask:0xf bound_ctrl:1
	v_add_f32_e32 v5, v47, v5
	v_cvt_f32_i32_dpp v6, v6 row_shr:4 row_mask:0xf bank_mask:0xf bound_ctrl:1
	v_add_f32_e32 v0, v0, v2
	v_add_f32_e32 v1, v1, v3
	v_cvt_i32_f32_e32 v2, v0
	v_cvt_i32_f32_e32 v3, v1
	v_add_f32_e32 v4, v4, v6
	v_cvt_i32_f32_e32 v6, v4
	v_cvt_f32_i32_dpp v2, v2 row_shr:2 row_mask:0xf bank_mask:0xf bound_ctrl:1
	v_cvt_f32_i32_dpp v3, v3 row_shr:2 row_mask:0xf bank_mask:0xf bound_ctrl:1
	v_cvt_i32_f32_e32 v7, v5
	v_cvt_f32_i32_dpp v6, v6 row_shr:2 row_mask:0xf bank_mask:0xf bound_ctrl:1
	v_add_f32_e32 v0, v0, v2
	v_add_f32_e32 v1, v1, v3
	v_cvt_i32_f32_e32 v2, v0
	v_cvt_i32_f32_e32 v3, v1
	v_add_f32_e32 v4, v4, v6
	v_cvt_i32_f32_e32 v6, v4
	v_cvt_f32_i32_dpp v2, v2 row_shr:1 row_mask:0xf bank_mask:0xf bound_ctrl:1
	v_cvt_f32_i32_dpp v3, v3 row_shr:1 row_mask:0xf bank_mask:0xf bound_ctrl:1
	;; [unrolled: 1-line block ×4, first 2 shown]
	v_add_f32_e32 v0, v0, v2
	v_add_f32_e32 v1, v1, v3
	v_cvt_i32_f32_e32 v2, v0
	v_cvt_i32_f32_e32 v3, v1
	v_add_f32_e32 v5, v5, v7
	v_cvt_i32_f32_e32 v7, v41
	v_cvt_f32_i32_dpp v2, v2 row_bcast:15 row_mask:0xf bank_mask:0xf bound_ctrl:1
	v_cvt_f32_i32_dpp v3, v3 row_bcast:15 row_mask:0xf bank_mask:0xf bound_ctrl:1
	v_add_f32_e32 v4, v4, v6
	v_cvt_f32_i32_dpp v6, v7 row_shr:8 row_mask:0xf bank_mask:0xf bound_ctrl:1
	v_add_f32_e32 v0, v0, v2
	v_add_f32_e32 v1, v1, v3
	v_cvt_i32_f32_e32 v2, v0
	v_cvt_i32_f32_e32 v8, v1
	;; [unrolled: 1-line block ×3, first 2 shown]
	v_add_f32_e32 v6, v41, v6
	v_mov_b32_dpp v3, v2 row_bcast:31 row_mask:0xf bank_mask:0xf bound_ctrl:1
	v_mov_b32_dpp v2, v8 row_bcast:31 row_mask:0xf bank_mask:0xf bound_ctrl:1
	v_cvt_i32_f32_e32 v8, v45
	v_cvt_f32_i32_dpp v7, v9 row_shr:2 row_mask:0xf bank_mask:0xf bound_ctrl:1
	v_cvt_i32_f32_e32 v10, v6
	v_cvt_i32_f32_e32 v11, v4
	v_cvt_f32_i32_dpp v8, v8 row_shr:8 row_mask:0xf bank_mask:0xf bound_ctrl:1
	v_add_f32_e32 v5, v5, v7
	v_cvt_f32_i32_dpp v7, v10 row_shr:4 row_mask:0xf bank_mask:0xf bound_ctrl:1
	v_cvt_i32_f32_e32 v10, v5
	v_add_f32_e32 v8, v45, v8
	v_cvt_i32_f32_e32 v9, v8
	v_add_f32_e32 v6, v6, v7
	v_cvt_i32_f32_e32 v7, v6
	v_cvt_f32_i32_dpp v10, v10 row_shr:1 row_mask:0xf bank_mask:0xf bound_ctrl:1
	v_cvt_f32_i32_dpp v9, v9 row_shr:4 row_mask:0xf bank_mask:0xf bound_ctrl:1
	v_cvt_f32_i32_dpp v11, v11 row_bcast:15 row_mask:0xf bank_mask:0xf bound_ctrl:1
	v_cvt_f32_i32_dpp v7, v7 row_shr:2 row_mask:0xf bank_mask:0xf bound_ctrl:1
	v_add_f32_e32 v5, v5, v10
	v_add_f32_e32 v8, v8, v9
	v_cvt_i32_f32_e32 v9, v8
	v_add_f32_e32 v6, v6, v7
	v_cvt_i32_f32_e32 v7, v6
	v_cvt_i32_f32_e32 v10, v5
	v_cvt_f32_i32_dpp v9, v9 row_shr:2 row_mask:0xf bank_mask:0xf bound_ctrl:1
	v_add_f32_e32 v4, v4, v11
	v_cvt_f32_i32_dpp v7, v7 row_shr:1 row_mask:0xf bank_mask:0xf bound_ctrl:1
	v_cvt_f32_i32_dpp v10, v10 row_bcast:15 row_mask:0xf bank_mask:0xf bound_ctrl:1
	v_add_f32_e32 v8, v8, v9
	v_cvt_i32_f32_e32 v9, v8
	v_add_f32_e32 v6, v6, v7
	v_cvt_i32_f32_e32 v7, v6
	v_add_f32_e32 v5, v5, v10
	v_cvt_f32_i32_dpp v9, v9 row_shr:1 row_mask:0xf bank_mask:0xf bound_ctrl:1
	v_cvt_i32_f32_e32 v11, v4
	v_cvt_f32_i32_dpp v10, v7 row_bcast:15 row_mask:0xf bank_mask:0xf bound_ctrl:1
	v_cvt_i32_f32_e32 v12, v5
	v_add_f32_e32 v8, v8, v9
	v_cvt_i32_f32_e32 v9, v8
	v_add_f32_e32 v6, v6, v10
	v_cvt_i32_f32_e32 v13, v6
	v_mov_b32_dpp v11, v11 row_bcast:31 row_mask:0xf bank_mask:0xf bound_ctrl:1
	v_cvt_f32_i32_dpp v9, v9 row_bcast:15 row_mask:0xf bank_mask:0xf bound_ctrl:1
	v_mov_b32_dpp v10, v12 row_bcast:31 row_mask:0xf bank_mask:0xf bound_ctrl:1
	v_add_f32_e32 v7, v8, v9
	v_cvt_i32_f32_e32 v8, v7
	s_nop 1
	v_mov_b32_dpp v9, v8 row_bcast:31 row_mask:0xf bank_mask:0xf bound_ctrl:1
	v_mov_b32_dpp v8, v13 row_bcast:31 row_mask:0xf bank_mask:0xf bound_ctrl:1
	s_and_saveexec_b64 s[20:21], s[0:1]
	s_cbranch_execz .LBB59_7
; %bb.16:                               ;   in Loop: Header=BB59_8 Depth=1
	s_and_b64 vcc, exec, s[18:19]
	s_cbranch_vccz .LBB59_18
; %bb.17:                               ;   in Loop: Header=BB59_8 Depth=1
	v_mul_hi_u32 v12, v40, v55
	v_mul_lo_u32 v12, v12, s8
	v_sub_u32_e32 v12, v40, v12
	v_subrev_u32_e32 v13, s8, v12
	v_cmp_le_u32_e32 vcc, s8, v12
	v_mov_b32_e32 v15, v43
	v_mov_b32_e32 v41, v43
	v_cndmask_b32_e32 v12, v12, v13, vcc
	v_subrev_u32_e32 v13, s8, v12
	v_cmp_le_u32_e32 vcc, s8, v12
	v_mov_b32_e32 v47, v43
	v_mov_b32_e32 v45, v43
	v_cndmask_b32_e32 v42, v12, v13, vcc
	v_mul_hi_u32 v12, v46, v55
	v_mul_lo_u32 v12, v12, s8
	v_sub_u32_e32 v12, v46, v12
	v_subrev_u32_e32 v13, s8, v12
	v_cmp_le_u32_e32 vcc, s8, v12
	v_lshl_add_u64 v[18:19], v[42:43], 1, s[10:11]
	v_add_u32_e32 v42, s9, v42
	v_cndmask_b32_e32 v12, v12, v13, vcc
	v_subrev_u32_e32 v13, s8, v12
	v_cmp_le_u32_e32 vcc, s8, v12
	v_lshl_add_u64 v[24:25], v[42:43], 1, s[10:11]
	s_nop 0
	v_cndmask_b32_e32 v12, v12, v13, vcc
	v_mov_b32_e32 v13, v43
	v_lshl_add_u64 v[20:21], v[12:13], 1, s[10:11]
	v_mul_hi_u32 v13, v44, v55
	v_mul_lo_u32 v13, v13, s8
	v_sub_u32_e32 v13, v44, v13
	v_subrev_u32_e32 v14, s8, v13
	v_cmp_le_u32_e32 vcc, s8, v13
	v_add_u32_e32 v42, s9, v12
	v_lshl_add_u64 v[26:27], v[42:43], 1, s[10:11]
	v_cndmask_b32_e32 v13, v13, v14, vcc
	v_subrev_u32_e32 v14, s8, v13
	v_cmp_le_u32_e32 vcc, s8, v13
	s_nop 1
	v_cndmask_b32_e32 v14, v13, v14, vcc
	v_add_u32_e32 v42, s9, v14
	v_lshl_add_u64 v[22:23], v[14:15], 1, s[10:11]
	v_lshl_add_u64 v[28:29], v[42:43], 1, s[10:11]
	global_load_ushort v17, v[18:19], off
	global_load_ushort v16, v[20:21], off
	;; [unrolled: 1-line block ×6, first 2 shown]
	s_cbranch_execnz .LBB59_6
	s_branch .LBB59_19
.LBB59_18:                              ;   in Loop: Header=BB59_8 Depth=1
                                        ; implicit-def: $vgpr12
                                        ; implicit-def: $vgpr13
                                        ; implicit-def: $vgpr14
                                        ; implicit-def: $vgpr15
                                        ; implicit-def: $vgpr16
                                        ; implicit-def: $vgpr17
.LBB59_19:                              ;   in Loop: Header=BB59_8 Depth=1
	v_mov_b32_e32 v41, v43
	v_mov_b32_e32 v47, v43
	;; [unrolled: 1-line block ×3, first 2 shown]
	s_waitcnt vmcnt(5)
	v_mov_b32_e32 v17, 0
	s_waitcnt vmcnt(4)
	v_mov_b32_e32 v16, 0
	;; [unrolled: 2-line block ×6, first 2 shown]
	s_branch .LBB59_6
.LBB59_20:
	s_endpgm
	.section	.rodata,"a",@progbits
	.p2align	6, 0x0
	.amdhsa_kernel _Z16wvSplitK_hf_sml_I6__halfLi64ELi3ELi16ELi8ELi2ELi2EEviiiiiiPKT_S3_S3_PS1_ii
		.amdhsa_group_segment_fixed_size 65536
		.amdhsa_private_segment_fixed_size 0
		.amdhsa_kernarg_size 64
		.amdhsa_user_sgpr_count 2
		.amdhsa_user_sgpr_dispatch_ptr 0
		.amdhsa_user_sgpr_queue_ptr 0
		.amdhsa_user_sgpr_kernarg_segment_ptr 1
		.amdhsa_user_sgpr_dispatch_id 0
		.amdhsa_user_sgpr_kernarg_preload_length 0
		.amdhsa_user_sgpr_kernarg_preload_offset 0
		.amdhsa_user_sgpr_private_segment_size 0
		.amdhsa_uses_dynamic_stack 0
		.amdhsa_enable_private_segment 0
		.amdhsa_system_sgpr_workgroup_id_x 1
		.amdhsa_system_sgpr_workgroup_id_y 0
		.amdhsa_system_sgpr_workgroup_id_z 0
		.amdhsa_system_sgpr_workgroup_info 0
		.amdhsa_system_vgpr_workitem_id 1
		.amdhsa_next_free_vgpr 62
		.amdhsa_next_free_sgpr 28
		.amdhsa_accum_offset 64
		.amdhsa_reserve_vcc 1
		.amdhsa_float_round_mode_32 0
		.amdhsa_float_round_mode_16_64 0
		.amdhsa_float_denorm_mode_32 3
		.amdhsa_float_denorm_mode_16_64 3
		.amdhsa_dx10_clamp 1
		.amdhsa_ieee_mode 1
		.amdhsa_fp16_overflow 0
		.amdhsa_tg_split 0
		.amdhsa_exception_fp_ieee_invalid_op 0
		.amdhsa_exception_fp_denorm_src 0
		.amdhsa_exception_fp_ieee_div_zero 0
		.amdhsa_exception_fp_ieee_overflow 0
		.amdhsa_exception_fp_ieee_underflow 0
		.amdhsa_exception_fp_ieee_inexact 0
		.amdhsa_exception_int_div_zero 0
	.end_amdhsa_kernel
	.section	.text._Z16wvSplitK_hf_sml_I6__halfLi64ELi3ELi16ELi8ELi2ELi2EEviiiiiiPKT_S3_S3_PS1_ii,"axG",@progbits,_Z16wvSplitK_hf_sml_I6__halfLi64ELi3ELi16ELi8ELi2ELi2EEviiiiiiPKT_S3_S3_PS1_ii,comdat
.Lfunc_end59:
	.size	_Z16wvSplitK_hf_sml_I6__halfLi64ELi3ELi16ELi8ELi2ELi2EEviiiiiiPKT_S3_S3_PS1_ii, .Lfunc_end59-_Z16wvSplitK_hf_sml_I6__halfLi64ELi3ELi16ELi8ELi2ELi2EEviiiiiiPKT_S3_S3_PS1_ii
                                        ; -- End function
	.section	.AMDGPU.csdata,"",@progbits
; Kernel info:
; codeLenInByte = 2520
; NumSgprs: 34
; NumVgprs: 62
; NumAgprs: 0
; TotalNumVgprs: 62
; ScratchSize: 0
; MemoryBound: 0
; FloatMode: 240
; IeeeMode: 1
; LDSByteSize: 65536 bytes/workgroup (compile time only)
; SGPRBlocks: 4
; VGPRBlocks: 7
; NumSGPRsForWavesPerEU: 34
; NumVGPRsForWavesPerEU: 62
; AccumOffset: 64
; Occupancy: 4
; WaveLimiterHint : 0
; COMPUTE_PGM_RSRC2:SCRATCH_EN: 0
; COMPUTE_PGM_RSRC2:USER_SGPR: 2
; COMPUTE_PGM_RSRC2:TRAP_HANDLER: 0
; COMPUTE_PGM_RSRC2:TGID_X_EN: 1
; COMPUTE_PGM_RSRC2:TGID_Y_EN: 0
; COMPUTE_PGM_RSRC2:TGID_Z_EN: 0
; COMPUTE_PGM_RSRC2:TIDIG_COMP_CNT: 1
; COMPUTE_PGM_RSRC3_GFX90A:ACCUM_OFFSET: 15
; COMPUTE_PGM_RSRC3_GFX90A:TG_SPLIT: 0
	.section	.text._Z12wvSplitK_hf_I6__halfLi64ELi3ELi16ELi8ELi2ELi2EEviiiiiiPKT_S3_S3_PS1_ii,"axG",@progbits,_Z12wvSplitK_hf_I6__halfLi64ELi3ELi16ELi8ELi2ELi2EEviiiiiiPKT_S3_S3_PS1_ii,comdat
	.protected	_Z12wvSplitK_hf_I6__halfLi64ELi3ELi16ELi8ELi2ELi2EEviiiiiiPKT_S3_S3_PS1_ii ; -- Begin function _Z12wvSplitK_hf_I6__halfLi64ELi3ELi16ELi8ELi2ELi2EEviiiiiiPKT_S3_S3_PS1_ii
	.globl	_Z12wvSplitK_hf_I6__halfLi64ELi3ELi16ELi8ELi2ELi2EEviiiiiiPKT_S3_S3_PS1_ii
	.p2align	8
	.type	_Z12wvSplitK_hf_I6__halfLi64ELi3ELi16ELi8ELi2ELi2EEviiiiiiPKT_S3_S3_PS1_ii,@function
_Z12wvSplitK_hf_I6__halfLi64ELi3ELi16ELi8ELi2ELi2EEviiiiiiPKT_S3_S3_PS1_ii: ; @_Z12wvSplitK_hf_I6__halfLi64ELi3ELi16ELi8ELi2ELi2EEviiiiiiPKT_S3_S3_PS1_ii
; %bb.0:
	s_load_dwordx2 s[22:23], s[0:1], 0x38
	s_load_dwordx4 s[8:11], s[0:1], 0x0
	s_load_dwordx2 s[16:17], s[0:1], 0x10
	v_bfe_u32 v3, v0, 10, 10
	s_mov_b32 s4, 1
	s_waitcnt lgkmcnt(0)
	s_mul_i32 s2, s2, s22
	v_add_u32_e32 v1, s2, v3
	v_lshl_add_u32 v44, v1, 1, v1
	v_add_u32_e32 v1, 3, v44
	s_mov_b32 s6, s4
	v_cmp_gt_u32_e32 vcc, s11, v44
	v_cmp_le_u32_e64 s[2:3], s11, v1
	s_mov_b32 s5, s4
	v_mov_b32_e32 v42, s6
	s_and_b64 s[12:13], vcc, s[2:3]
	v_mov_b32_e32 v41, s5
	v_mov_b32_e32 v40, s4
	s_and_saveexec_b64 s[2:3], s[12:13]
	s_cbranch_execz .LBB60_6
; %bb.1:
	s_add_i32 s7, s11, -3
	v_mov_b32_e32 v42, s6
	v_cmp_ne_u32_e32 vcc, s7, v44
	v_mov_b32_e32 v41, s5
	v_mov_b32_e32 v40, s4
	s_and_saveexec_b64 s[12:13], vcc
	s_cbranch_execz .LBB60_5
; %bb.2:
	v_subrev_u32_e32 v1, s7, v44
	v_cmp_lt_u32_e32 vcc, 1, v1
	s_mov_b64 s[14:15], 0
	s_mov_b64 s[18:19], 0
	v_cndmask_b32_e32 v2, 1, v1, vcc
	s_mov_b32 s5, s4
	s_mov_b32 s6, s4
.LBB60_3:                               ; =>This Inner Loop Header: Depth=1
	s_cmp_lg_u32 s18, 2
	s_cselect_b32 s6, s6, 0
	s_cmp_lg_u32 s18, 1
	s_cselect_b32 s5, s5, 0
	;; [unrolled: 2-line block ×3, first 2 shown]
	s_add_u32 s18, s18, 1
	s_addc_u32 s19, s19, 0
	v_cmp_eq_u32_e32 vcc, s18, v2
	v_mov_b32_e32 v42, s6
	s_or_b64 s[14:15], vcc, s[14:15]
	v_mov_b32_e32 v41, s5
	v_mov_b32_e32 v40, s4
	s_andn2_b64 exec, exec, s[14:15]
	s_cbranch_execnz .LBB60_3
; %bb.4:
	s_or_b64 exec, exec, s[14:15]
	v_mov_b32_e32 v44, s7
.LBB60_5:
	s_or_b64 exec, exec, s[12:13]
.LBB60_6:
	s_or_b64 exec, exec, s[2:3]
	s_load_dwordx4 s[12:15], s[0:1], 0x20
	v_and_b32_e32 v2, 0x3ff, v0
	v_lshlrev_b32_e32 v43, 3, v2
	s_lshl_b32 s2, s10, 1
	v_lshl_add_u32 v4, v3, 9, v43
	s_min_u32 s18, s2, 0x8000
	v_cmp_gt_u32_e32 vcc, s18, v4
	s_and_saveexec_b64 s[2:3], vcc
	s_cbranch_execz .LBB60_9
; %bb.7:
	v_mov_b32_e32 v7, 0
	v_lshlrev_b32_e32 v6, 10, v3
	v_lshlrev_b32_e32 v8, 4, v2
	v_mov_b32_e32 v9, v7
	v_lshl_add_u64 v[0:1], v[6:7], 0, v[8:9]
	s_waitcnt lgkmcnt(0)
	v_lshl_add_u64 v[0:1], s[12:13], 0, v[0:1]
	v_add_u32_e32 v5, v6, v8
	s_mov_b64 s[4:5], 0
	s_mov_b64 s[6:7], 0x4000
.LBB60_8:                               ; =>This Inner Loop Header: Depth=1
	global_load_dwordx4 v[6:9], v[0:1], off
	v_add_u32_e32 v4, 0x2000, v4
	v_cmp_le_u32_e32 vcc, s18, v4
	v_lshl_add_u64 v[0:1], v[0:1], 0, s[6:7]
	s_or_b64 s[4:5], vcc, s[4:5]
	s_waitcnt vmcnt(0)
	ds_write_b128 v5, v[6:9]
	v_add_u32_e32 v5, 0x4000, v5
	s_andn2_b64 exec, exec, s[4:5]
	s_cbranch_execnz .LBB60_8
.LBB60_9:
	s_or_b64 exec, exec, s[2:3]
	v_cmp_gt_u32_e32 vcc, s22, v3
	v_cmp_gt_u32_e64 s[2:3], s11, v44
	s_and_b64 s[2:3], vcc, s[2:3]
	s_waitcnt lgkmcnt(0)
	s_barrier
	s_and_saveexec_b64 s[4:5], s[2:3]
	s_cbranch_execz .LBB60_56
; %bb.10:
	v_cvt_f32_u32_e32 v0, s16
	s_cmp_lg_u32 s8, 0
	s_cselect_b64 s[2:3], -1, 0
	s_add_i32 s33, s8, -8
	v_rcp_iflag_f32_e32 v0, v0
	s_add_i32 s36, s11, -1
	s_cmp_lg_u64 s[14:15], 0
	s_cselect_b64 s[24:25], -1, 0
	v_mul_f32_e32 v0, 0x4f7ffffe, v0
	v_cvt_u32_f32_e32 v0, v0
	s_sub_i32 s4, 0, s16
	s_add_i32 s38, s11, -3
	s_load_dwordx2 s[18:19], s[0:1], 0x18
	s_load_dwordx2 s[20:21], s[0:1], 0x30
	v_mul_lo_u32 v1, s4, v0
	s_abs_i32 s4, s17
	s_sub_i32 s5, 1, s4
	s_cmp_lt_u32 s4, 2
	s_cselect_b32 s5, s5, 1
	s_sub_i32 s6, s5, s4
	v_mul_hi_u32 v1, v0, v1
	s_cmp_ge_u32 s5, s4
	s_mul_i32 s37, s22, s23
	v_add_u32_e32 v62, v0, v1
	s_cselect_b32 s17, s6, s5
	v_cndmask_b32_e64 v0, 0, 1, s[2:3]
	v_cmp_eq_u32_e64 s[0:1], 63, v2
	s_mov_b64 s[22:23], 0
	s_mul_i32 s37, s37, 3
	v_mov_b32_e32 v47, 0
	s_mul_i32 s17, s17, s16
	v_cmp_ne_u32_e64 s[2:3], 1, v0
	s_movk_i32 s39, 0x7fff
	s_mov_b32 s26, 0
	s_branch .LBB60_13
.LBB60_11:                              ;   in Loop: Header=BB60_13 Depth=1
	s_or_b64 exec, exec, s[28:29]
	v_mov_b32_e32 v44, s38
.LBB60_12:                              ;   in Loop: Header=BB60_13 Depth=1
	s_or_b64 exec, exec, s[6:7]
	v_cmp_le_u32_e32 vcc, s11, v44
	s_or_b64 s[22:23], vcc, s[22:23]
	s_andn2_b64 exec, exec, s[22:23]
	s_cbranch_execz .LBB60_56
.LBB60_13:                              ; =>This Loop Header: Depth=1
                                        ;     Child Loop BB60_18 Depth 2
                                        ;     Child Loop BB60_49 Depth 2
	s_and_b64 vcc, exec, s[2:3]
	v_add_u32_e32 v50, 1, v44
	v_add_u32_e32 v48, 2, v44
	v_mov_b32_e32 v65, v47
	v_mov_b32_e32 v64, v47
	v_mov_b32_e32 v63, v47
	v_mov_b32_e32 v51, v47
	v_mov_b32_e32 v49, v47
	v_mov_b32_e32 v45, v47
	s_cbranch_vccnz .LBB60_36
; %bb.14:                               ;   in Loop: Header=BB60_13 Depth=1
	v_min_u32_e32 v0, s36, v44
	v_mul_lo_u32 v46, v0, s9
	v_min_u32_e32 v0, s36, v50
	v_min_u32_e32 v2, s36, v48
	v_mul_lo_u32 v0, v0, s9
	v_mov_b32_e32 v1, v47
	v_mul_lo_u32 v2, v2, s9
	v_mov_b32_e32 v3, v47
	v_mov_b32_e32 v45, 0
	v_lshlrev_b64 v[52:53], 1, v[46:47]
	v_lshlrev_b64 v[54:55], 1, v[0:1]
	;; [unrolled: 1-line block ×3, first 2 shown]
	v_mov_b32_e32 v49, 0
	v_mov_b32_e32 v51, 0
	;; [unrolled: 1-line block ×5, first 2 shown]
	s_mov_b32 s30, s26
	s_branch .LBB60_18
.LBB60_15:                              ;   in Loop: Header=BB60_18 Depth=2
	s_or_b64 exec, exec, s[28:29]
.LBB60_16:                              ;   in Loop: Header=BB60_18 Depth=2
	s_or_b64 exec, exec, s[6:7]
.LBB60_17:                              ;   in Loop: Header=BB60_18 Depth=2
	s_or_b64 exec, exec, s[4:5]
	s_waitcnt vmcnt(0) lgkmcnt(0)
	;;#ASMSTART
	v_dot2c_f32_f16 v65, v28, v20
	;;#ASMEND
	;;#ASMSTART
	v_dot2c_f32_f16 v64, v28, v16
	;;#ASMEND
	;;#ASMSTART
	v_dot2c_f32_f16 v63, v28, v12
	;;#ASMEND
	;;#ASMSTART
	v_dot2c_f32_f16 v51, v24, v20
	;;#ASMEND
	;;#ASMSTART
	v_dot2c_f32_f16 v49, v24, v16
	;;#ASMEND
	;;#ASMSTART
	v_dot2c_f32_f16 v45, v24, v12
	;;#ASMEND
	s_nop 0
	;;#ASMSTART
	v_dot2c_f32_f16 v65, v29, v21
	;;#ASMEND
	;;#ASMSTART
	v_dot2c_f32_f16 v64, v29, v17
	;;#ASMEND
	;;#ASMSTART
	v_dot2c_f32_f16 v63, v29, v13
	;;#ASMEND
	;;#ASMSTART
	v_dot2c_f32_f16 v51, v25, v21
	;;#ASMEND
	;;#ASMSTART
	v_dot2c_f32_f16 v49, v25, v17
	;;#ASMEND
	;;#ASMSTART
	v_dot2c_f32_f16 v45, v25, v13
	;;#ASMEND
	s_nop 0
	;; [unrolled: 19-line block ×5, first 2 shown]
	;;#ASMSTART
	v_dot2c_f32_f16 v65, v37, v9
	;;#ASMEND
	;;#ASMSTART
	v_dot2c_f32_f16 v64, v37, v5
	;;#ASMEND
	;; [unrolled: 3-line block ×6, first 2 shown]
	s_addk_i32 s30, 0x400
	;;#ASMSTART
	v_dot2c_f32_f16 v65, v38, v10
	;;#ASMEND
	;;#ASMSTART
	v_dot2c_f32_f16 v64, v38, v6
	;;#ASMEND
	;; [unrolled: 3-line block ×6, first 2 shown]
	s_cmp_ge_u32 s30, s8
	;;#ASMSTART
	v_dot2c_f32_f16 v65, v39, v11
	;;#ASMEND
	;;#ASMSTART
	v_dot2c_f32_f16 v64, v39, v7
	;;#ASMEND
	;; [unrolled: 3-line block ×6, first 2 shown]
	s_cbranch_scc1 .LBB60_36
.LBB60_18:                              ;   Parent Loop BB60_13 Depth=1
                                        ; =>  This Inner Loop Header: Depth=2
	v_add_u32_e32 v60, s30, v43
	v_min_u32_e32 v46, s33, v60
	s_waitcnt lgkmcnt(0)
	v_lshl_add_u64 v[0:1], v[46:47], 1, s[18:19]
	v_add_u32_e32 v58, 0x200, v60
	v_lshl_add_u64 v[2:3], v[0:1], 0, v[52:53]
	v_min_u32_e32 v46, s33, v58
	v_lshl_add_u64 v[4:5], v[0:1], 0, v[54:55]
	global_load_dwordx4 v[20:23], v[2:3], off nt
	global_load_dwordx4 v[16:19], v[4:5], off nt
	v_lshl_add_u64 v[2:3], v[46:47], 1, s[18:19]
	v_lshl_add_u64 v[0:1], v[0:1], 0, v[56:57]
	;; [unrolled: 1-line block ×4, first 2 shown]
	global_load_dwordx4 v[12:15], v[0:1], off nt
	global_load_dwordx4 v[8:11], v[4:5], off nt
	v_lshl_add_u64 v[26:27], v[2:3], 0, v[56:57]
	global_load_dwordx4 v[4:7], v[24:25], off nt
	global_load_dwordx4 v[0:3], v[26:27], off nt
	s_mov_b32 s27, s26
	v_cmp_gt_u32_e32 vcc, s8, v60
	v_mov_b64_e32 v[38:39], s[26:27]
	v_mov_b32_e32 v35, 0
	v_mov_b32_e32 v34, 0
	;; [unrolled: 1-line block ×4, first 2 shown]
	v_mov_b64_e32 v[36:37], s[26:27]
	v_mov_b64_e32 v[26:27], s[26:27]
	;; [unrolled: 1-line block ×5, first 2 shown]
	s_and_saveexec_b64 s[4:5], vcc
	s_cbranch_execz .LBB60_17
; %bb.19:                               ;   in Loop: Header=BB60_18 Depth=2
	v_cmp_lt_u32_e32 vcc, s39, v60
                                        ; implicit-def: $vgpr30_vgpr31
	s_and_saveexec_b64 s[6:7], vcc
	s_xor_b64 s[6:7], exec, s[6:7]
	s_cbranch_execz .LBB60_21
; %bb.20:                               ;   in Loop: Header=BB60_18 Depth=2
	v_mov_b32_e32 v61, v47
	v_lshl_add_u64 v[24:25], v[60:61], 1, s[12:13]
	global_load_dwordx4 v[28:31], v[24:25], off
.LBB60_21:                              ;   in Loop: Header=BB60_18 Depth=2
	s_andn2_saveexec_b64 s[6:7], s[6:7]
	s_cbranch_execz .LBB60_23
; %bb.22:                               ;   in Loop: Header=BB60_18 Depth=2
	v_lshlrev_b32_e32 v24, 1, v60
	s_waitcnt vmcnt(0)
	ds_read_b128 v[28:31], v24
.LBB60_23:                              ;   in Loop: Header=BB60_18 Depth=2
	s_or_b64 exec, exec, s[6:7]
	v_add_u32_e32 v46, s10, v60
	v_cmp_lt_u32_e32 vcc, s39, v46
                                        ; implicit-def: $vgpr26_vgpr27
	s_and_saveexec_b64 s[6:7], vcc
	s_xor_b64 s[6:7], exec, s[6:7]
	s_cbranch_execz .LBB60_25
; %bb.24:                               ;   in Loop: Header=BB60_18 Depth=2
	v_lshl_add_u64 v[24:25], v[46:47], 1, s[12:13]
	global_load_dwordx4 v[24:27], v[24:25], off
.LBB60_25:                              ;   in Loop: Header=BB60_18 Depth=2
	s_andn2_saveexec_b64 s[6:7], s[6:7]
	s_cbranch_execz .LBB60_27
; %bb.26:                               ;   in Loop: Header=BB60_18 Depth=2
	s_waitcnt vmcnt(0)
	v_lshlrev_b32_e32 v24, 1, v46
	ds_read_b128 v[24:27], v24
.LBB60_27:                              ;   in Loop: Header=BB60_18 Depth=2
	s_or_b64 exec, exec, s[6:7]
	s_mov_b32 s27, s26
	v_cmp_gt_u32_e32 vcc, s8, v58
	v_mov_b32_e32 v35, 0
	v_mov_b64_e32 v[38:39], s[26:27]
	v_mov_b32_e32 v34, 0
	v_mov_b32_e32 v33, 0
	;; [unrolled: 1-line block ×3, first 2 shown]
	v_mov_b64_e32 v[36:37], s[26:27]
	s_and_saveexec_b64 s[6:7], vcc
	s_cbranch_execz .LBB60_16
; %bb.28:                               ;   in Loop: Header=BB60_18 Depth=2
	v_cmp_lt_u32_e32 vcc, s39, v58
                                        ; implicit-def: $vgpr38_vgpr39
	s_and_saveexec_b64 s[28:29], vcc
	s_xor_b64 s[28:29], exec, s[28:29]
	s_cbranch_execz .LBB60_30
; %bb.29:                               ;   in Loop: Header=BB60_18 Depth=2
	v_mov_b32_e32 v59, v47
	v_lshl_add_u64 v[32:33], v[58:59], 1, s[12:13]
	global_load_dwordx4 v[36:39], v[32:33], off
                                        ; implicit-def: $vgpr60
.LBB60_30:                              ;   in Loop: Header=BB60_18 Depth=2
	s_andn2_saveexec_b64 s[28:29], s[28:29]
	s_cbranch_execz .LBB60_32
; %bb.31:                               ;   in Loop: Header=BB60_18 Depth=2
	v_lshlrev_b32_e32 v32, 1, v60
	s_waitcnt vmcnt(0)
	ds_read_b128 v[36:39], v32 offset:1024
.LBB60_32:                              ;   in Loop: Header=BB60_18 Depth=2
	s_or_b64 exec, exec, s[28:29]
	v_add_u32_e32 v32, s10, v58
	v_cmp_lt_u32_e32 vcc, s39, v32
                                        ; implicit-def: $vgpr35
	s_and_saveexec_b64 s[28:29], vcc
	s_xor_b64 s[28:29], exec, s[28:29]
	s_cbranch_execz .LBB60_34
; %bb.33:                               ;   in Loop: Header=BB60_18 Depth=2
	v_mov_b32_e32 v33, v47
	v_lshl_add_u64 v[32:33], v[32:33], 1, s[12:13]
	global_load_dwordx4 v[32:35], v[32:33], off
.LBB60_34:                              ;   in Loop: Header=BB60_18 Depth=2
	s_andn2_saveexec_b64 s[28:29], s[28:29]
	s_cbranch_execz .LBB60_15
; %bb.35:                               ;   in Loop: Header=BB60_18 Depth=2
	s_waitcnt vmcnt(0)
	v_lshlrev_b32_e32 v32, 1, v46
	ds_read_b128 v[32:35], v32 offset:1024
	s_branch .LBB60_15
.LBB60_36:                              ;   in Loop: Header=BB60_13 Depth=1
	v_cvt_i32_f32_e32 v0, v65
	v_cvt_i32_f32_e32 v1, v64
	;; [unrolled: 1-line block ×4, first 2 shown]
	v_cvt_f32_i32_dpp v0, v0 row_shr:8 row_mask:0xf bank_mask:0xf bound_ctrl:1
	v_cvt_f32_i32_dpp v1, v1 row_shr:8 row_mask:0xf bank_mask:0xf bound_ctrl:1
	;; [unrolled: 1-line block ×4, first 2 shown]
	v_add_f32_e32 v0, v65, v0
	v_add_f32_e32 v1, v64, v1
	v_cvt_i32_f32_e32 v2, v0
	v_cvt_i32_f32_e32 v3, v1
	v_add_f32_e32 v4, v63, v4
	v_cvt_i32_f32_e32 v6, v4
	v_cvt_f32_i32_dpp v2, v2 row_shr:4 row_mask:0xf bank_mask:0xf bound_ctrl:1
	v_cvt_f32_i32_dpp v3, v3 row_shr:4 row_mask:0xf bank_mask:0xf bound_ctrl:1
	v_add_f32_e32 v5, v51, v5
	v_cvt_f32_i32_dpp v6, v6 row_shr:4 row_mask:0xf bank_mask:0xf bound_ctrl:1
	v_add_f32_e32 v0, v0, v2
	v_add_f32_e32 v1, v1, v3
	v_cvt_i32_f32_e32 v2, v0
	v_cvt_i32_f32_e32 v3, v1
	v_add_f32_e32 v4, v4, v6
	v_cvt_i32_f32_e32 v6, v4
	v_cvt_f32_i32_dpp v2, v2 row_shr:2 row_mask:0xf bank_mask:0xf bound_ctrl:1
	v_cvt_f32_i32_dpp v3, v3 row_shr:2 row_mask:0xf bank_mask:0xf bound_ctrl:1
	v_cvt_i32_f32_e32 v7, v5
	v_cvt_f32_i32_dpp v6, v6 row_shr:2 row_mask:0xf bank_mask:0xf bound_ctrl:1
	v_add_f32_e32 v0, v0, v2
	v_add_f32_e32 v1, v1, v3
	v_cvt_i32_f32_e32 v2, v0
	v_cvt_i32_f32_e32 v3, v1
	v_add_f32_e32 v8, v4, v6
	v_cvt_i32_f32_e32 v6, v8
	v_cvt_f32_i32_dpp v2, v2 row_shr:1 row_mask:0xf bank_mask:0xf bound_ctrl:1
	v_cvt_f32_i32_dpp v3, v3 row_shr:1 row_mask:0xf bank_mask:0xf bound_ctrl:1
	v_add_f32_e32 v0, v0, v2
	v_add_f32_e32 v1, v1, v3
	v_cvt_i32_f32_e32 v2, v0
	v_cvt_i32_f32_e32 v3, v1
	s_nop 0
	v_cvt_f32_i32_dpp v2, v2 row_bcast:15 row_mask:0xf bank_mask:0xf bound_ctrl:1
	v_cvt_f32_i32_dpp v3, v3 row_bcast:15 row_mask:0xf bank_mask:0xf bound_ctrl:1
	v_add_f32_e32 v4, v0, v2
	v_add_f32_e32 v0, v1, v3
	v_cvt_i32_f32_e32 v1, v4
	v_cvt_f32_i32_dpp v3, v7 row_shr:4 row_mask:0xf bank_mask:0xf bound_ctrl:1
	v_cvt_f32_i32_dpp v7, v6 row_shr:1 row_mask:0xf bank_mask:0xf bound_ctrl:1
	v_cvt_i32_f32_e32 v2, v0
	v_mov_b32_dpp v6, v1 row_bcast:31 row_mask:0xf bank_mask:0xf bound_ctrl:1
	v_cvt_i32_f32_e32 v1, v49
	v_add_f32_e32 v3, v5, v3
	v_cvt_i32_f32_e32 v5, v45
	v_cvt_i32_f32_e32 v9, v3
	v_cvt_f32_i32_dpp v1, v1 row_shr:8 row_mask:0xf bank_mask:0xf bound_ctrl:1
	v_add_f32_e32 v7, v8, v7
	v_cvt_f32_i32_dpp v5, v5 row_shr:8 row_mask:0xf bank_mask:0xf bound_ctrl:1
	v_cvt_f32_i32_dpp v8, v9 row_shr:2 row_mask:0xf bank_mask:0xf bound_ctrl:1
	v_add_f32_e32 v1, v49, v1
	v_cvt_i32_f32_e32 v9, v1
	v_add_f32_e32 v5, v45, v5
	v_cvt_i32_f32_e32 v10, v5
	v_add_f32_e32 v3, v3, v8
	v_cvt_f32_i32_dpp v9, v9 row_shr:4 row_mask:0xf bank_mask:0xf bound_ctrl:1
	v_cvt_i32_f32_e32 v11, v7
	v_cvt_f32_i32_dpp v8, v10 row_shr:4 row_mask:0xf bank_mask:0xf bound_ctrl:1
	v_cvt_i32_f32_e32 v10, v3
	v_add_f32_e32 v1, v1, v9
	v_cvt_i32_f32_e32 v9, v1
	v_add_f32_e32 v5, v5, v8
	v_cvt_i32_f32_e32 v8, v5
	v_cvt_f32_i32_dpp v10, v10 row_shr:1 row_mask:0xf bank_mask:0xf bound_ctrl:1
	v_cvt_f32_i32_dpp v9, v9 row_shr:2 row_mask:0xf bank_mask:0xf bound_ctrl:1
	v_cvt_f32_i32_dpp v11, v11 row_bcast:15 row_mask:0xf bank_mask:0xf bound_ctrl:1
	v_cvt_f32_i32_dpp v8, v8 row_shr:2 row_mask:0xf bank_mask:0xf bound_ctrl:1
	v_add_f32_e32 v3, v3, v10
	v_add_f32_e32 v1, v1, v9
	v_cvt_i32_f32_e32 v9, v1
	v_add_f32_e32 v5, v5, v8
	v_cvt_i32_f32_e32 v8, v5
	v_cvt_i32_f32_e32 v10, v3
	s_waitcnt vmcnt(0)
	v_cvt_f32_i32_dpp v12, v9 row_shr:1 row_mask:0xf bank_mask:0xf bound_ctrl:1
	v_add_f32_e32 v9, v7, v11
	v_cvt_f32_i32_dpp v7, v8 row_shr:1 row_mask:0xf bank_mask:0xf bound_ctrl:1
	v_cvt_f32_i32_dpp v8, v10 row_bcast:15 row_mask:0xf bank_mask:0xf bound_ctrl:1
	v_add_f32_e32 v1, v1, v12
	v_cvt_i32_f32_e32 v10, v1
	v_add_f32_e32 v7, v5, v7
	v_cvt_i32_f32_e32 v5, v7
	v_add_f32_e32 v8, v3, v8
	v_cvt_f32_i32_dpp v10, v10 row_bcast:15 row_mask:0xf bank_mask:0xf bound_ctrl:1
	v_cvt_i32_f32_e32 v11, v9
	v_cvt_f32_i32_dpp v3, v5 row_bcast:15 row_mask:0xf bank_mask:0xf bound_ctrl:1
	v_cvt_i32_f32_e32 v12, v8
	v_add_f32_e32 v5, v1, v10
	v_cvt_i32_f32_e32 v13, v5
	v_add_f32_e32 v1, v7, v3
	v_cvt_i32_f32_e32 v3, v1
	v_mov_b32_dpp v2, v2 row_bcast:31 row_mask:0xf bank_mask:0xf bound_ctrl:1
	v_mov_b32_dpp v11, v11 row_bcast:31 row_mask:0xf bank_mask:0xf bound_ctrl:1
	;; [unrolled: 1-line block ×5, first 2 shown]
	s_and_saveexec_b64 s[28:29], s[0:1]
	s_cbranch_execz .LBB60_46
; %bb.37:                               ;   in Loop: Header=BB60_13 Depth=1
	s_andn2_b64 vcc, exec, s[24:25]
	v_mov_b32_e32 v17, 0
	v_mov_b32_e32 v16, 0
	;; [unrolled: 1-line block ×6, first 2 shown]
	s_cbranch_vccnz .LBB60_39
; %bb.38:                               ;   in Loop: Header=BB60_13 Depth=1
	v_mul_hi_u32 v12, v44, v62
	v_mul_lo_u32 v12, v12, s16
	v_sub_u32_e32 v12, v44, v12
	v_subrev_u32_e32 v13, s16, v12
	v_cmp_le_u32_e32 vcc, s16, v12
	v_mov_b32_e32 v15, v47
	s_nop 0
	v_cndmask_b32_e32 v12, v12, v13, vcc
	v_subrev_u32_e32 v13, s16, v12
	v_cmp_le_u32_e32 vcc, s16, v12
	s_nop 1
	v_cndmask_b32_e32 v46, v12, v13, vcc
	v_mul_hi_u32 v12, v50, v62
	v_mul_lo_u32 v12, v12, s16
	v_sub_u32_e32 v12, v50, v12
	v_subrev_u32_e32 v13, s16, v12
	v_cmp_le_u32_e32 vcc, s16, v12
	v_lshl_add_u64 v[18:19], v[46:47], 1, s[14:15]
	v_add_u32_e32 v46, s17, v46
	v_cndmask_b32_e32 v12, v12, v13, vcc
	v_subrev_u32_e32 v13, s16, v12
	v_cmp_le_u32_e32 vcc, s16, v12
	v_lshl_add_u64 v[24:25], v[46:47], 1, s[14:15]
	s_nop 0
	v_cndmask_b32_e32 v12, v12, v13, vcc
	v_mov_b32_e32 v13, v47
	v_lshl_add_u64 v[20:21], v[12:13], 1, s[14:15]
	v_mul_hi_u32 v13, v48, v62
	v_mul_lo_u32 v13, v13, s16
	v_sub_u32_e32 v13, v48, v13
	v_subrev_u32_e32 v14, s16, v13
	v_cmp_le_u32_e32 vcc, s16, v13
	v_add_u32_e32 v46, s17, v12
	v_lshl_add_u64 v[26:27], v[46:47], 1, s[14:15]
	v_cndmask_b32_e32 v13, v13, v14, vcc
	v_subrev_u32_e32 v14, s16, v13
	v_cmp_le_u32_e32 vcc, s16, v13
	s_nop 1
	v_cndmask_b32_e32 v14, v13, v14, vcc
	v_add_u32_e32 v46, s17, v14
	v_lshl_add_u64 v[22:23], v[14:15], 1, s[14:15]
	v_lshl_add_u64 v[28:29], v[46:47], 1, s[14:15]
	global_load_ushort v17, v[18:19], off
	global_load_ushort v16, v[20:21], off
	;; [unrolled: 1-line block ×6, first 2 shown]
.LBB60_39:                              ;   in Loop: Header=BB60_13 Depth=1
	v_cmp_ne_u32_e32 vcc, 0, v40
	s_and_saveexec_b64 s[4:5], vcc
	s_cbranch_execnz .LBB60_51
; %bb.40:                               ;   in Loop: Header=BB60_13 Depth=1
	s_or_b64 exec, exec, s[4:5]
	v_cmp_ne_u32_e64 s[4:5], 0, v41
	s_and_saveexec_b64 s[6:7], s[4:5]
	s_cbranch_execnz .LBB60_52
.LBB60_41:                              ;   in Loop: Header=BB60_13 Depth=1
	s_or_b64 exec, exec, s[6:7]
	v_cmp_ne_u32_e64 s[6:7], 0, v42
	s_and_saveexec_b64 s[30:31], s[6:7]
	s_cbranch_execnz .LBB60_53
.LBB60_42:                              ;   in Loop: Header=BB60_13 Depth=1
	s_or_b64 exec, exec, s[30:31]
	v_add_u32_e32 v46, s11, v44
	s_and_saveexec_b64 s[30:31], vcc
	s_cbranch_execnz .LBB60_54
.LBB60_43:                              ;   in Loop: Header=BB60_13 Depth=1
	s_or_b64 exec, exec, s[30:31]
	s_and_saveexec_b64 s[30:31], s[4:5]
	s_cbranch_execnz .LBB60_55
.LBB60_44:                              ;   in Loop: Header=BB60_13 Depth=1
	s_or_b64 exec, exec, s[30:31]
	s_and_b64 exec, exec, s[6:7]
	s_cbranch_execz .LBB60_46
.LBB60_45:                              ;   in Loop: Header=BB60_13 Depth=1
	v_cvt_f32_i32_e32 v0, v3
	s_waitcnt vmcnt(0)
	v_cvt_f32_f16_e32 v2, v12
	v_add_u32_e32 v46, 2, v46
	v_add_f32_e32 v0, v1, v0
	v_add_f32_e32 v0, v0, v2
	v_cvt_f16_f32_e32 v2, v0
	s_waitcnt lgkmcnt(0)
	v_lshl_add_u64 v[0:1], v[46:47], 1, s[20:21]
	global_store_short v[0:1], v2, off
.LBB60_46:                              ;   in Loop: Header=BB60_13 Depth=1
	s_or_b64 exec, exec, s[28:29]
	v_add_u32_e32 v44, s37, v44
	v_add_u32_e32 v0, 3, v44
	v_cmp_gt_u32_e32 vcc, s11, v44
	v_cmp_le_u32_e64 s[4:5], s11, v0
	s_and_b64 s[4:5], vcc, s[4:5]
	s_and_saveexec_b64 s[6:7], s[4:5]
	s_cbranch_execz .LBB60_12
; %bb.47:                               ;   in Loop: Header=BB60_13 Depth=1
	v_cmp_ne_u32_e32 vcc, s38, v44
	s_and_saveexec_b64 s[28:29], vcc
	s_cbranch_execz .LBB60_11
; %bb.48:                               ;   in Loop: Header=BB60_13 Depth=1
	v_subrev_u32_e32 v0, s38, v44
	v_cmp_lt_u32_e32 vcc, 1, v0
	s_mov_b64 s[30:31], 0
	s_mov_b64 s[34:35], 0
	v_cndmask_b32_e32 v0, 1, v0, vcc
.LBB60_49:                              ;   Parent Loop BB60_13 Depth=1
                                        ; =>  This Inner Loop Header: Depth=2
	s_cmp_lg_u32 s34, 2
	s_cselect_b64 vcc, -1, 0
	s_cmp_lg_u32 s34, 1
	v_cndmask_b32_e32 v42, 0, v42, vcc
	s_cselect_b64 vcc, -1, 0
	s_cmp_lg_u32 s34, 0
	v_cndmask_b32_e32 v41, 0, v41, vcc
	s_cselect_b64 vcc, -1, 0
	s_add_u32 s34, s34, 1
	s_addc_u32 s35, s35, 0
	v_cmp_eq_u32_e64 s[4:5], s34, v0
	s_or_b64 s[30:31], s[4:5], s[30:31]
	v_cndmask_b32_e32 v40, 0, v40, vcc
	s_andn2_b64 exec, exec, s[30:31]
	s_cbranch_execnz .LBB60_49
; %bb.50:                               ;   in Loop: Header=BB60_13 Depth=1
	s_or_b64 exec, exec, s[30:31]
	s_branch .LBB60_11
.LBB60_51:                              ;   in Loop: Header=BB60_13 Depth=1
	v_cvt_f32_i32_e32 v6, v6
	s_waitcnt vmcnt(5)
	v_cvt_f32_f16_e32 v17, v17
	v_mov_b32_e32 v45, v47
	s_waitcnt lgkmcnt(0)
	v_lshl_add_u64 v[18:19], v[44:45], 1, s[20:21]
	v_add_f32_e32 v4, v4, v6
	v_add_f32_e32 v4, v4, v17
	v_cvt_f16_f32_e32 v4, v4
	global_store_short v[18:19], v4, off
	s_or_b64 exec, exec, s[4:5]
	v_cmp_ne_u32_e64 s[4:5], 0, v41
	s_and_saveexec_b64 s[6:7], s[4:5]
	s_cbranch_execz .LBB60_41
.LBB60_52:                              ;   in Loop: Header=BB60_13 Depth=1
	v_cvt_f32_i32_e32 v2, v2
	s_waitcnt vmcnt(4)
	v_cvt_f32_f16_e32 v4, v16
	v_mov_b32_e32 v51, v47
	s_waitcnt lgkmcnt(0)
	v_lshl_add_u64 v[16:17], v[50:51], 1, s[20:21]
	v_add_f32_e32 v0, v0, v2
	v_add_f32_e32 v0, v0, v4
	v_cvt_f16_f32_e32 v0, v0
	global_store_short v[16:17], v0, off
	s_or_b64 exec, exec, s[6:7]
	v_cmp_ne_u32_e64 s[6:7], 0, v42
	s_and_saveexec_b64 s[30:31], s[6:7]
	s_cbranch_execz .LBB60_42
.LBB60_53:                              ;   in Loop: Header=BB60_13 Depth=1
	v_cvt_f32_i32_e32 v0, v11
	s_waitcnt vmcnt(3)
	v_cvt_f32_f16_e32 v2, v15
	v_mov_b32_e32 v49, v47
	s_waitcnt lgkmcnt(0)
	v_lshl_add_u64 v[16:17], v[48:49], 1, s[20:21]
	v_add_f32_e32 v0, v9, v0
	v_add_f32_e32 v0, v0, v2
	v_cvt_f16_f32_e32 v0, v0
	global_store_short v[16:17], v0, off
	s_or_b64 exec, exec, s[30:31]
	v_add_u32_e32 v46, s11, v44
	s_and_saveexec_b64 s[30:31], vcc
	s_cbranch_execz .LBB60_43
.LBB60_54:                              ;   in Loop: Header=BB60_13 Depth=1
	v_cvt_f32_i32_e32 v0, v10
	s_waitcnt vmcnt(2)
	v_cvt_f32_f16_e32 v2, v14
	v_add_f32_e32 v0, v8, v0
	v_add_f32_e32 v0, v0, v2
	v_cvt_f16_f32_e32 v0, v0
	s_waitcnt lgkmcnt(0)
	v_lshl_add_u64 v[8:9], v[46:47], 1, s[20:21]
	global_store_short v[8:9], v0, off
	s_or_b64 exec, exec, s[30:31]
	s_and_saveexec_b64 s[30:31], s[4:5]
	s_cbranch_execz .LBB60_44
.LBB60_55:                              ;   in Loop: Header=BB60_13 Depth=1
	v_cvt_f32_i32_e32 v0, v7
	s_waitcnt vmcnt(1)
	v_cvt_f32_f16_e32 v2, v13
	v_add_u32_e32 v4, 1, v46
	v_add_f32_e32 v0, v5, v0
	v_add_f32_e32 v0, v0, v2
	v_cvt_f16_f32_e32 v0, v0
	v_mov_b32_e32 v5, v47
	s_waitcnt lgkmcnt(0)
	v_lshl_add_u64 v[4:5], v[4:5], 1, s[20:21]
	global_store_short v[4:5], v0, off
	s_or_b64 exec, exec, s[30:31]
	s_and_b64 exec, exec, s[6:7]
	s_cbranch_execnz .LBB60_45
	s_branch .LBB60_46
.LBB60_56:
	s_endpgm
	.section	.rodata,"a",@progbits
	.p2align	6, 0x0
	.amdhsa_kernel _Z12wvSplitK_hf_I6__halfLi64ELi3ELi16ELi8ELi2ELi2EEviiiiiiPKT_S3_S3_PS1_ii
		.amdhsa_group_segment_fixed_size 65536
		.amdhsa_private_segment_fixed_size 0
		.amdhsa_kernarg_size 64
		.amdhsa_user_sgpr_count 2
		.amdhsa_user_sgpr_dispatch_ptr 0
		.amdhsa_user_sgpr_queue_ptr 0
		.amdhsa_user_sgpr_kernarg_segment_ptr 1
		.amdhsa_user_sgpr_dispatch_id 0
		.amdhsa_user_sgpr_kernarg_preload_length 0
		.amdhsa_user_sgpr_kernarg_preload_offset 0
		.amdhsa_user_sgpr_private_segment_size 0
		.amdhsa_uses_dynamic_stack 0
		.amdhsa_enable_private_segment 0
		.amdhsa_system_sgpr_workgroup_id_x 1
		.amdhsa_system_sgpr_workgroup_id_y 0
		.amdhsa_system_sgpr_workgroup_id_z 0
		.amdhsa_system_sgpr_workgroup_info 0
		.amdhsa_system_vgpr_workitem_id 1
		.amdhsa_next_free_vgpr 66
		.amdhsa_next_free_sgpr 40
		.amdhsa_accum_offset 68
		.amdhsa_reserve_vcc 1
		.amdhsa_float_round_mode_32 0
		.amdhsa_float_round_mode_16_64 0
		.amdhsa_float_denorm_mode_32 3
		.amdhsa_float_denorm_mode_16_64 3
		.amdhsa_dx10_clamp 1
		.amdhsa_ieee_mode 1
		.amdhsa_fp16_overflow 0
		.amdhsa_tg_split 0
		.amdhsa_exception_fp_ieee_invalid_op 0
		.amdhsa_exception_fp_denorm_src 0
		.amdhsa_exception_fp_ieee_div_zero 0
		.amdhsa_exception_fp_ieee_overflow 0
		.amdhsa_exception_fp_ieee_underflow 0
		.amdhsa_exception_fp_ieee_inexact 0
		.amdhsa_exception_int_div_zero 0
	.end_amdhsa_kernel
	.section	.text._Z12wvSplitK_hf_I6__halfLi64ELi3ELi16ELi8ELi2ELi2EEviiiiiiPKT_S3_S3_PS1_ii,"axG",@progbits,_Z12wvSplitK_hf_I6__halfLi64ELi3ELi16ELi8ELi2ELi2EEviiiiiiPKT_S3_S3_PS1_ii,comdat
.Lfunc_end60:
	.size	_Z12wvSplitK_hf_I6__halfLi64ELi3ELi16ELi8ELi2ELi2EEviiiiiiPKT_S3_S3_PS1_ii, .Lfunc_end60-_Z12wvSplitK_hf_I6__halfLi64ELi3ELi16ELi8ELi2ELi2EEviiiiiiPKT_S3_S3_PS1_ii
                                        ; -- End function
	.section	.AMDGPU.csdata,"",@progbits
; Kernel info:
; codeLenInByte = 3172
; NumSgprs: 46
; NumVgprs: 66
; NumAgprs: 0
; TotalNumVgprs: 66
; ScratchSize: 0
; MemoryBound: 1
; FloatMode: 240
; IeeeMode: 1
; LDSByteSize: 65536 bytes/workgroup (compile time only)
; SGPRBlocks: 5
; VGPRBlocks: 8
; NumSGPRsForWavesPerEU: 46
; NumVGPRsForWavesPerEU: 66
; AccumOffset: 68
; Occupancy: 4
; WaveLimiterHint : 0
; COMPUTE_PGM_RSRC2:SCRATCH_EN: 0
; COMPUTE_PGM_RSRC2:USER_SGPR: 2
; COMPUTE_PGM_RSRC2:TRAP_HANDLER: 0
; COMPUTE_PGM_RSRC2:TGID_X_EN: 1
; COMPUTE_PGM_RSRC2:TGID_Y_EN: 0
; COMPUTE_PGM_RSRC2:TGID_Z_EN: 0
; COMPUTE_PGM_RSRC2:TIDIG_COMP_CNT: 1
; COMPUTE_PGM_RSRC3_GFX90A:ACCUM_OFFSET: 16
; COMPUTE_PGM_RSRC3_GFX90A:TG_SPLIT: 0
	.section	.text._Z16wvSplitK_hf_big_I6__halfLi64ELi3ELi16ELi8ELi2ELi2EEviiiiiiPKT_S3_S3_PS1_ii,"axG",@progbits,_Z16wvSplitK_hf_big_I6__halfLi64ELi3ELi16ELi8ELi2ELi2EEviiiiiiPKT_S3_S3_PS1_ii,comdat
	.protected	_Z16wvSplitK_hf_big_I6__halfLi64ELi3ELi16ELi8ELi2ELi2EEviiiiiiPKT_S3_S3_PS1_ii ; -- Begin function _Z16wvSplitK_hf_big_I6__halfLi64ELi3ELi16ELi8ELi2ELi2EEviiiiiiPKT_S3_S3_PS1_ii
	.globl	_Z16wvSplitK_hf_big_I6__halfLi64ELi3ELi16ELi8ELi2ELi2EEviiiiiiPKT_S3_S3_PS1_ii
	.p2align	8
	.type	_Z16wvSplitK_hf_big_I6__halfLi64ELi3ELi16ELi8ELi2ELi2EEviiiiiiPKT_S3_S3_PS1_ii,@function
_Z16wvSplitK_hf_big_I6__halfLi64ELi3ELi16ELi8ELi2ELi2EEviiiiiiPKT_S3_S3_PS1_ii: ; @_Z16wvSplitK_hf_big_I6__halfLi64ELi3ELi16ELi8ELi2ELi2EEviiiiiiPKT_S3_S3_PS1_ii
; %bb.0:
	s_load_dwordx2 s[8:9], s[0:1], 0x38
	v_bfe_u32 v1, v0, 10, 10
	s_waitcnt lgkmcnt(0)
	v_cmp_gt_u32_e32 vcc, s8, v1
	s_and_saveexec_b64 s[4:5], vcc
	s_cbranch_execz .LBB61_52
; %bb.1:
	s_load_dwordx4 s[20:23], s[0:1], 0x0
	s_mul_i32 s2, s2, s8
	v_add_u32_e32 v2, s2, v1
	v_lshl_add_u32 v44, v2, 1, v2
	s_mov_b32 s4, 1
	v_add_u32_e32 v2, 3, v44
	s_mov_b32 s6, s4
	s_waitcnt lgkmcnt(0)
	v_cmp_gt_u32_e32 vcc, s23, v44
	v_cmp_le_u32_e64 s[2:3], s23, v2
	s_mov_b32 s5, s4
	v_mov_b32_e32 v42, s6
	s_and_b64 s[10:11], vcc, s[2:3]
	v_mov_b32_e32 v41, s5
	v_mov_b32_e32 v40, s4
	s_and_saveexec_b64 s[2:3], s[10:11]
	s_cbranch_execz .LBB61_7
; %bb.2:
	s_add_i32 s7, s23, -3
	v_mov_b32_e32 v42, s6
	v_cmp_ne_u32_e32 vcc, s7, v44
	v_mov_b32_e32 v41, s5
	v_mov_b32_e32 v40, s4
	s_and_saveexec_b64 s[10:11], vcc
	s_cbranch_execz .LBB61_6
; %bb.3:
	v_subrev_u32_e32 v2, s7, v44
	v_cmp_lt_u32_e32 vcc, 1, v2
	s_mov_b64 s[12:13], 0
	s_mov_b64 s[14:15], 0
	v_cndmask_b32_e32 v2, 1, v2, vcc
	s_mov_b32 s5, s4
	s_mov_b32 s6, s4
.LBB61_4:                               ; =>This Inner Loop Header: Depth=1
	s_cmp_lg_u32 s14, 2
	s_cselect_b32 s6, s6, 0
	s_cmp_lg_u32 s14, 1
	s_cselect_b32 s5, s5, 0
	;; [unrolled: 2-line block ×3, first 2 shown]
	s_add_u32 s14, s14, 1
	s_addc_u32 s15, s15, 0
	v_cmp_eq_u32_e32 vcc, s14, v2
	v_mov_b32_e32 v42, s6
	s_or_b64 s[12:13], vcc, s[12:13]
	v_mov_b32_e32 v41, s5
	v_mov_b32_e32 v40, s4
	s_andn2_b64 exec, exec, s[12:13]
	s_cbranch_execnz .LBB61_4
; %bb.5:
	s_or_b64 exec, exec, s[12:13]
	v_mov_b32_e32 v44, s7
.LBB61_6:
	s_or_b64 exec, exec, s[10:11]
.LBB61_7:
	s_or_b64 exec, exec, s[2:3]
	s_mul_i32 s44, s8, 3
	s_abs_i32 s2, s44
	v_cvt_f32_u32_e32 v2, s2
	s_sub_i32 s5, 0, s2
	s_abs_i32 s4, s23
	s_ashr_i32 s3, s23, 31
	v_rcp_iflag_f32_e32 v2, v2
	s_nop 0
	v_mul_f32_e32 v2, 0x4f7ffffe, v2
	v_cvt_u32_f32_e32 v2, v2
	s_nop 0
	v_readfirstlane_b32 s6, v2
	s_mul_i32 s5, s5, s6
	s_mul_hi_u32 s5, s6, s5
	s_add_i32 s6, s6, s5
	s_mul_hi_u32 s5, s4, s6
	s_mul_i32 s5, s5, s2
	s_sub_i32 s4, s4, s5
	s_sub_i32 s5, s4, s2
	s_cmp_ge_u32 s4, s2
	s_cselect_b32 s4, s5, s4
	s_sub_i32 s5, s4, s2
	s_cmp_ge_u32 s4, s2
	s_cselect_b32 s2, s5, s4
	s_xor_b32 s2, s2, s3
	s_sub_i32 s2, s2, s3
	s_add_i32 s3, s44, s23
	s_sub_i32 s3, s3, s2
	s_cmp_eq_u32 s2, 0
	s_cselect_b32 s33, s23, s3
	v_cmp_gt_u32_e32 vcc, s33, v44
	s_and_b64 exec, exec, vcc
	s_cbranch_execz .LBB61_52
; %bb.8:
	s_load_dwordx8 s[12:19], s[0:1], 0x10
	s_min_u32 s40, s22, 0x4000
	s_cmp_lg_u32 s20, 0
	s_cselect_b64 s[2:3], -1, 0
	s_cmp_lg_u32 s22, 0
	s_waitcnt lgkmcnt(0)
	v_cvt_f32_u32_e32 v2, s12
	s_cselect_b64 s[4:5], -1, 0
	s_lshl_b32 s41, s8, 9
	s_add_i32 s42, s20, -8
	v_rcp_iflag_f32_e32 v2, v2
	s_add_i32 s43, s23, -1
	s_cmp_lg_u64 s[18:19], 0
	s_cselect_b64 s[26:27], -1, 0
	v_mul_f32_e32 v2, 0x4f7ffffe, v2
	v_cvt_u32_f32_e32 v2, v2
	s_sub_i32 s6, 0, s12
	s_load_dwordx2 s[10:11], s[0:1], 0x30
	s_add_i32 s45, s23, -3
	v_mul_lo_u32 v3, s6, v2
	s_abs_i32 s6, s13
	s_sub_i32 s7, 1, s6
	s_cmp_lt_u32 s6, 2
	v_and_b32_e32 v0, 0x3ff, v0
	s_cselect_b32 s7, s7, 1
	v_lshlrev_b32_e32 v43, 3, v0
	s_mul_i32 s44, s44, s9
	v_cmp_eq_u32_e64 s[0:1], 63, v0
	s_sub_i32 s9, s7, s6
	v_lshlrev_b32_e32 v0, 4, v0
	s_cmp_ge_u32 s7, s6
	v_lshl_add_u32 v55, v1, 10, v0
	v_cndmask_b32_e64 v0, 0, 1, s[2:3]
	v_mul_hi_u32 v3, v2, v3
	s_cselect_b32 s13, s9, s7
	s_waitcnt lgkmcnt(0)
	s_add_u32 s28, s10, 2
	v_lshl_add_u32 v56, v1, 9, v43
	v_cmp_ne_u32_e64 s[2:3], 1, v0
	v_cndmask_b32_e64 v0, 0, 1, s[4:5]
	s_mov_b64 s[24:25], 0
	v_add_u32_e32 v54, v2, v3
	v_mov_b32_e32 v47, 0
	s_mul_i32 s13, s13, s12
	s_addc_u32 s29, s11, 0
	s_lshl_b32 s46, s40, 1
	s_lshl_b32 s47, s8, 10
	v_add_u32_e32 v57, s22, v56
	v_cmp_ne_u32_e64 s[4:5], 1, v0
	s_branch .LBB61_12
.LBB61_9:                               ;   in Loop: Header=BB61_12 Depth=1
	s_or_b64 exec, exec, s[34:35]
	v_mov_b32_e32 v44, s45
.LBB61_10:                              ;   in Loop: Header=BB61_12 Depth=1
	s_or_b64 exec, exec, s[8:9]
.LBB61_11:                              ;   in Loop: Header=BB61_12 Depth=1
	s_or_b64 exec, exec, s[30:31]
	v_cmp_le_u32_e32 vcc, s33, v44
	s_or_b64 s[24:25], vcc, s[24:25]
	s_andn2_b64 exec, exec, s[24:25]
	s_cbranch_execz .LBB61_52
.LBB61_12:                              ; =>This Loop Header: Depth=1
                                        ;     Child Loop BB61_17 Depth 2
                                        ;       Child Loop BB61_22 Depth 3
                                        ;     Child Loop BB61_45 Depth 2
	s_mov_b32 s36, 0
	s_and_b64 vcc, exec, s[2:3]
	v_mov_b32_e32 v62, v47
	v_mov_b32_e32 v61, v47
	;; [unrolled: 1-line block ×6, first 2 shown]
	s_cbranch_vccnz .LBB61_29
; %bb.13:                               ;   in Loop: Header=BB61_12 Depth=1
	v_min_u32_e32 v0, s43, v44
	v_mul_lo_u32 v46, v0, s21
	v_add_u32_e32 v0, 1, v44
	v_add_u32_e32 v2, 2, v44
	v_min_u32_e32 v0, s43, v0
	v_min_u32_e32 v2, s43, v2
	v_mul_lo_u32 v0, v0, s21
	v_mov_b32_e32 v1, v47
	v_mul_lo_u32 v2, v2, s21
	v_mov_b32_e32 v3, v47
	v_cmp_gt_u32_e64 s[6:7], s23, v44
	v_mov_b32_e32 v45, 0
	v_lshlrev_b64 v[48:49], 1, v[46:47]
	v_lshlrev_b64 v[50:51], 1, v[0:1]
	;; [unrolled: 1-line block ×3, first 2 shown]
	v_mov_b32_e32 v58, 0
	v_mov_b32_e32 v59, 0
	;; [unrolled: 1-line block ×5, first 2 shown]
	s_mov_b32 s37, 0
	s_branch .LBB61_17
.LBB61_14:                              ;   in Loop: Header=BB61_17 Depth=2
	s_or_b64 exec, exec, s[34:35]
.LBB61_15:                              ;   in Loop: Header=BB61_17 Depth=2
	s_or_b64 exec, exec, s[30:31]
	s_waitcnt vmcnt(5) lgkmcnt(1)
	;;#ASMSTART
	v_dot2c_f32_f16 v62, v36, v28
	;;#ASMEND
	s_waitcnt vmcnt(4)
	;;#ASMSTART
	v_dot2c_f32_f16 v61, v36, v24
	;;#ASMEND
	s_waitcnt vmcnt(3)
	;;#ASMSTART
	v_dot2c_f32_f16 v60, v36, v20
	;;#ASMEND
	s_waitcnt lgkmcnt(0)
	;;#ASMSTART
	v_dot2c_f32_f16 v59, v32, v28
	;;#ASMEND
	;;#ASMSTART
	v_dot2c_f32_f16 v58, v32, v24
	;;#ASMEND
	;;#ASMSTART
	v_dot2c_f32_f16 v45, v32, v20
	;;#ASMEND
	;;#ASMSTART
	v_dot2c_f32_f16 v62, v37, v29
	;;#ASMEND
	;;#ASMSTART
	v_dot2c_f32_f16 v61, v37, v25
	;;#ASMEND
	;;#ASMSTART
	v_dot2c_f32_f16 v60, v37, v21
	;;#ASMEND
	s_nop 0
	;;#ASMSTART
	v_dot2c_f32_f16 v59, v33, v29
	;;#ASMEND
	;;#ASMSTART
	v_dot2c_f32_f16 v58, v33, v25
	;;#ASMEND
	;;#ASMSTART
	v_dot2c_f32_f16 v45, v33, v21
	;;#ASMEND
	;;#ASMSTART
	v_dot2c_f32_f16 v62, v38, v30
	;;#ASMEND
	;;#ASMSTART
	v_dot2c_f32_f16 v61, v38, v26
	;;#ASMEND
	;;#ASMSTART
	v_dot2c_f32_f16 v60, v38, v22
	;;#ASMEND
	s_nop 0
	;; [unrolled: 19-line block ×3, first 2 shown]
	;;#ASMSTART
	v_dot2c_f32_f16 v59, v35, v31
	;;#ASMEND
	;;#ASMSTART
	v_dot2c_f32_f16 v58, v35, v27
	;;#ASMEND
	;; [unrolled: 3-line block ×3, first 2 shown]
	s_waitcnt vmcnt(2)
	;;#ASMSTART
	v_dot2c_f32_f16 v62, v16, v8
	;;#ASMEND
	s_waitcnt vmcnt(1)
	;;#ASMSTART
	v_dot2c_f32_f16 v61, v16, v4
	;;#ASMEND
	;; [unrolled: 4-line block ×3, first 2 shown]
	;;#ASMSTART
	v_dot2c_f32_f16 v59, v12, v8
	;;#ASMEND
	;;#ASMSTART
	v_dot2c_f32_f16 v58, v12, v4
	;;#ASMEND
	;;#ASMSTART
	v_dot2c_f32_f16 v45, v12, v0
	;;#ASMEND
	;;#ASMSTART
	v_dot2c_f32_f16 v62, v17, v9
	;;#ASMEND
	;;#ASMSTART
	v_dot2c_f32_f16 v61, v17, v5
	;;#ASMEND
	s_nop 0
	;;#ASMSTART
	v_dot2c_f32_f16 v60, v17, v1
	;;#ASMEND
	;;#ASMSTART
	v_dot2c_f32_f16 v59, v13, v9
	;;#ASMEND
	;;#ASMSTART
	v_dot2c_f32_f16 v58, v13, v5
	;;#ASMEND
	;;#ASMSTART
	v_dot2c_f32_f16 v45, v13, v1
	;;#ASMEND
	;;#ASMSTART
	v_dot2c_f32_f16 v62, v18, v10
	;;#ASMEND
	;;#ASMSTART
	v_dot2c_f32_f16 v61, v18, v6
	;;#ASMEND
	s_nop 0
	;;#ASMSTART
	v_dot2c_f32_f16 v60, v18, v2
	;;#ASMEND
	;; [unrolled: 19-line block ×3, first 2 shown]
	;;#ASMSTART
	v_dot2c_f32_f16 v59, v15, v11
	;;#ASMEND
	;;#ASMSTART
	v_dot2c_f32_f16 v58, v15, v7
	;;#ASMEND
	;;#ASMSTART
	v_dot2c_f32_f16 v45, v15, v3
	;;#ASMEND
.LBB61_16:                              ;   in Loop: Header=BB61_17 Depth=2
	s_or_b64 exec, exec, s[8:9]
	s_addk_i32 s37, 0x400
	s_cmp_ge_u32 s37, s20
	s_cbranch_scc1 .LBB61_29
.LBB61_17:                              ;   Parent Loop BB61_12 Depth=1
                                        ; =>  This Loop Header: Depth=2
                                        ;       Child Loop BB61_22 Depth 3
	s_cmp_eq_u32 s37, 0
	s_cselect_b64 s[8:9], -1, 0
	s_add_i32 s30, s36, s40
	s_cmp_eq_u32 s37, s30
	s_cselect_b64 s[34:35], -1, 0
	s_or_b64 s[34:35], s[8:9], s[34:35]
	s_andn2_b64 vcc, exec, s[34:35]
	s_cbranch_vccz .LBB61_19
; %bb.18:                               ;   in Loop: Header=BB61_17 Depth=2
	s_and_saveexec_b64 s[8:9], s[6:7]
	s_cbranch_execz .LBB61_16
	s_branch .LBB61_26
.LBB61_19:                              ;   in Loop: Header=BB61_17 Depth=2
	s_and_b64 s[8:9], s[8:9], exec
	s_cselect_b32 s36, s36, s30
	s_and_b64 vcc, exec, s[4:5]
	s_barrier
	s_cbranch_vccnz .LBB61_25
; %bb.20:                               ;   in Loop: Header=BB61_17 Depth=2
	v_add_u32_e32 v0, s36, v57
	v_add_u32_e32 v1, s36, v56
	s_mov_b32 s38, 0
	s_mov_b64 s[30:31], 0
	v_mov_b32_e32 v2, v55
                                        ; implicit-def: $sgpr34_sgpr35
	s_branch .LBB61_22
.LBB61_21:                              ;   in Loop: Header=BB61_22 Depth=3
	s_or_b64 exec, exec, s[8:9]
	s_and_b64 s[8:9], exec, s[34:35]
	s_or_b64 s[30:31], s[8:9], s[30:31]
	s_andn2_b64 exec, exec, s[30:31]
	s_cbranch_execz .LBB61_24
.LBB61_22:                              ;   Parent Loop BB61_12 Depth=1
                                        ;     Parent Loop BB61_17 Depth=2
                                        ; =>    This Inner Loop Header: Depth=3
	v_add_u32_e32 v3, s38, v56
	v_add_u32_e32 v46, s38, v1
	v_cmp_gt_u32_e32 vcc, s22, v46
	v_cmp_gt_u32_e64 s[8:9], s40, v3
	s_and_b64 s[48:49], s[8:9], vcc
	s_or_b64 s[34:35], s[34:35], exec
	s_and_saveexec_b64 s[8:9], s[48:49]
	s_cbranch_execz .LBB61_21
; %bb.23:                               ;   in Loop: Header=BB61_22 Depth=3
	v_lshl_add_u64 v[4:5], v[46:47], 1, s[16:17]
	v_add_u32_e32 v46, s38, v0
	global_load_dwordx4 v[4:7], v[4:5], off
	v_lshl_add_u64 v[8:9], v[46:47], 1, s[16:17]
	global_load_dwordx4 v[8:11], v[8:9], off
	s_add_i32 s38, s38, s41
	s_cmp_ge_u32 s38, s40
	s_cselect_b64 s[48:49], -1, 0
	s_andn2_b64 s[34:35], s[34:35], exec
	s_and_b64 s[48:49], s[48:49], exec
	v_add_u32_e32 v3, s46, v2
	s_or_b64 s[34:35], s[34:35], s[48:49]
	s_waitcnt vmcnt(1)
	ds_write_b128 v2, v[4:7]
	v_add_u32_e32 v2, s47, v2
	s_waitcnt vmcnt(0)
	ds_write2_b64 v3, v[8:9], v[10:11] offset1:1
	s_branch .LBB61_21
.LBB61_24:                              ;   in Loop: Header=BB61_17 Depth=2
	s_or_b64 exec, exec, s[30:31]
.LBB61_25:                              ;   in Loop: Header=BB61_17 Depth=2
	s_waitcnt lgkmcnt(0)
	s_barrier
	s_and_saveexec_b64 s[8:9], s[6:7]
	s_cbranch_execz .LBB61_16
.LBB61_26:                              ;   in Loop: Header=BB61_17 Depth=2
	v_add_u32_e32 v63, s37, v43
	v_min_u32_e32 v46, s42, v63
	v_lshl_add_u64 v[0:1], v[46:47], 1, s[14:15]
	v_add_u32_e32 v64, 0x200, v63
	v_lshl_add_u64 v[2:3], v[0:1], 0, v[48:49]
	v_min_u32_e32 v46, s42, v64
	v_lshl_add_u64 v[4:5], v[0:1], 0, v[50:51]
	global_load_dwordx4 v[28:31], v[2:3], off nt
	global_load_dwordx4 v[24:27], v[4:5], off nt
	v_lshl_add_u64 v[2:3], v[46:47], 1, s[14:15]
	v_lshl_add_u64 v[0:1], v[0:1], 0, v[52:53]
	;; [unrolled: 1-line block ×3, first 2 shown]
	s_waitcnt vmcnt(2)
	v_lshl_add_u64 v[12:13], v[2:3], 0, v[50:51]
	global_load_dwordx4 v[20:23], v[0:1], off nt
	global_load_dwordx4 v[8:11], v[4:5], off nt
	v_lshl_add_u64 v[14:15], v[2:3], 0, v[52:53]
	global_load_dwordx4 v[4:7], v[12:13], off nt
	global_load_dwordx4 v[0:3], v[14:15], off nt
	v_cmp_gt_u32_e32 vcc, s20, v63
	v_mov_b32_e32 v36, 0
	v_mov_b32_e32 v37, 0
	;; [unrolled: 1-line block ×16, first 2 shown]
	s_and_saveexec_b64 s[30:31], vcc
	s_cbranch_execz .LBB61_15
; %bb.27:                               ;   in Loop: Header=BB61_17 Depth=2
	v_subrev_u32_e32 v12, s36, v63
	v_lshlrev_b32_e32 v63, 1, v12
	v_lshl_add_u32 v46, s40, 1, v63
	ds_read_b128 v[36:39], v63
	ds_read_b128 v[32:35], v46
	v_cmp_gt_u32_e32 vcc, s20, v64
	v_mov_b32_e32 v15, 0
	v_mov_b32_e32 v14, 0
	v_mov_b32_e32 v13, 0
	v_mov_b32_e32 v12, 0
	v_mov_b32_e32 v19, 0
	v_mov_b32_e32 v18, 0
	v_mov_b32_e32 v17, 0
	v_mov_b32_e32 v16, 0
	s_and_saveexec_b64 s[34:35], vcc
	s_cbranch_execz .LBB61_14
; %bb.28:                               ;   in Loop: Header=BB61_17 Depth=2
	ds_read_b128 v[16:19], v63 offset:1024
	ds_read_b128 v[12:15], v46 offset:1024
	s_branch .LBB61_14
.LBB61_29:                              ;   in Loop: Header=BB61_12 Depth=1
	v_cmp_le_u32_e32 vcc, s23, v44
	s_and_saveexec_b64 s[6:7], vcc
	s_xor_b64 s[6:7], exec, s[6:7]
; %bb.30:                               ;   in Loop: Header=BB61_12 Depth=1
	v_add_u32_e32 v44, s44, v44
                                        ; implicit-def: $vgpr62
                                        ; implicit-def: $vgpr61
                                        ; implicit-def: $vgpr60
                                        ; implicit-def: $vgpr59
                                        ; implicit-def: $vgpr58
                                        ; implicit-def: $vgpr45
; %bb.31:                               ;   in Loop: Header=BB61_12 Depth=1
	s_andn2_saveexec_b64 s[30:31], s[6:7]
	s_cbranch_execz .LBB61_11
; %bb.32:                               ;   in Loop: Header=BB61_12 Depth=1
	v_cvt_i32_f32_e32 v0, v62
	v_cvt_i32_f32_e32 v1, v61
	;; [unrolled: 1-line block ×4, first 2 shown]
	v_cvt_f32_i32_dpp v0, v0 row_shr:8 row_mask:0xf bank_mask:0xf bound_ctrl:1
	v_cvt_f32_i32_dpp v1, v1 row_shr:8 row_mask:0xf bank_mask:0xf bound_ctrl:1
	;; [unrolled: 1-line block ×4, first 2 shown]
	v_add_f32_e32 v0, v62, v0
	v_add_f32_e32 v1, v61, v1
	v_cvt_i32_f32_e32 v2, v0
	v_cvt_i32_f32_e32 v3, v1
	v_add_f32_e32 v4, v60, v4
	v_cvt_i32_f32_e32 v6, v4
	v_cvt_f32_i32_dpp v2, v2 row_shr:4 row_mask:0xf bank_mask:0xf bound_ctrl:1
	v_cvt_f32_i32_dpp v3, v3 row_shr:4 row_mask:0xf bank_mask:0xf bound_ctrl:1
	v_add_f32_e32 v8, v59, v5
	v_cvt_f32_i32_dpp v6, v6 row_shr:4 row_mask:0xf bank_mask:0xf bound_ctrl:1
	v_add_f32_e32 v0, v0, v2
	v_add_f32_e32 v1, v1, v3
	v_cvt_i32_f32_e32 v2, v0
	v_cvt_i32_f32_e32 v3, v1
	v_add_f32_e32 v4, v4, v6
	v_cvt_i32_f32_e32 v5, v4
	v_cvt_f32_i32_dpp v2, v2 row_shr:2 row_mask:0xf bank_mask:0xf bound_ctrl:1
	v_cvt_f32_i32_dpp v3, v3 row_shr:2 row_mask:0xf bank_mask:0xf bound_ctrl:1
	v_cvt_i32_f32_e32 v6, v8
	v_cvt_f32_i32_dpp v5, v5 row_shr:2 row_mask:0xf bank_mask:0xf bound_ctrl:1
	v_add_f32_e32 v0, v0, v2
	v_add_f32_e32 v1, v1, v3
	v_cvt_i32_f32_e32 v2, v0
	v_cvt_i32_f32_e32 v3, v1
	v_add_f32_e32 v4, v4, v5
	v_cvt_i32_f32_e32 v7, v4
	v_cvt_f32_i32_dpp v2, v2 row_shr:1 row_mask:0xf bank_mask:0xf bound_ctrl:1
	v_cvt_f32_i32_dpp v3, v3 row_shr:1 row_mask:0xf bank_mask:0xf bound_ctrl:1
	;; [unrolled: 1-line block ×4, first 2 shown]
	v_add_f32_e32 v0, v0, v2
	v_add_f32_e32 v1, v1, v3
	v_cvt_i32_f32_e32 v2, v0
	v_cvt_i32_f32_e32 v3, v1
	v_add_f32_e32 v4, v4, v9
	v_cvt_i32_f32_e32 v11, v4
	v_cvt_f32_i32_dpp v2, v2 row_bcast:15 row_mask:0xf bank_mask:0xf bound_ctrl:1
	v_cvt_f32_i32_dpp v3, v3 row_bcast:15 row_mask:0xf bank_mask:0xf bound_ctrl:1
	;; [unrolled: 1-line block ×3, first 2 shown]
	v_add_f32_e32 v5, v0, v2
	v_add_f32_e32 v1, v1, v3
	v_cvt_i32_f32_e32 v0, v5
	v_cvt_i32_f32_e32 v2, v1
	s_nop 0
	v_mov_b32_dpp v7, v0 row_bcast:31 row_mask:0xf bank_mask:0xf bound_ctrl:1
	v_mov_b32_dpp v3, v2 row_bcast:31 row_mask:0xf bank_mask:0xf bound_ctrl:1
	v_cvt_i32_f32_e32 v0, v58
	v_add_f32_e32 v2, v8, v6
	v_cvt_i32_f32_e32 v6, v45
	v_cvt_i32_f32_e32 v8, v2
	v_cvt_f32_i32_dpp v0, v0 row_shr:8 row_mask:0xf bank_mask:0xf bound_ctrl:1
	v_cvt_f32_i32_dpp v6, v6 row_shr:8 row_mask:0xf bank_mask:0xf bound_ctrl:1
	;; [unrolled: 1-line block ×3, first 2 shown]
	v_add_f32_e32 v0, v58, v0
	v_cvt_i32_f32_e32 v9, v0
	v_add_f32_e32 v6, v45, v6
	v_cvt_i32_f32_e32 v10, v6
	v_add_f32_e32 v2, v2, v8
	v_cvt_f32_i32_dpp v9, v9 row_shr:4 row_mask:0xf bank_mask:0xf bound_ctrl:1
	v_cvt_f32_i32_dpp v8, v10 row_shr:4 row_mask:0xf bank_mask:0xf bound_ctrl:1
	v_cvt_i32_f32_e32 v10, v2
	v_add_f32_e32 v0, v0, v9
	v_cvt_i32_f32_e32 v9, v0
	v_add_f32_e32 v6, v6, v8
	v_cvt_i32_f32_e32 v8, v6
	v_cvt_f32_i32_dpp v10, v10 row_shr:1 row_mask:0xf bank_mask:0xf bound_ctrl:1
	v_cvt_f32_i32_dpp v9, v9 row_shr:2 row_mask:0xf bank_mask:0xf bound_ctrl:1
	;; [unrolled: 1-line block ×3, first 2 shown]
	v_add_f32_e32 v2, v2, v10
	v_add_f32_e32 v0, v0, v9
	v_cvt_i32_f32_e32 v9, v0
	v_add_f32_e32 v6, v6, v8
	v_cvt_i32_f32_e32 v8, v6
	v_add_f32_e32 v10, v4, v11
	v_cvt_f32_i32_dpp v9, v9 row_shr:1 row_mask:0xf bank_mask:0xf bound_ctrl:1
	v_cvt_i32_f32_e32 v12, v2
	v_cvt_f32_i32_dpp v4, v8 row_shr:1 row_mask:0xf bank_mask:0xf bound_ctrl:1
	v_cvt_i32_f32_e32 v11, v10
	v_add_f32_e32 v0, v0, v9
	v_cvt_f32_i32_dpp v8, v12 row_bcast:15 row_mask:0xf bank_mask:0xf bound_ctrl:1
	v_add_f32_e32 v4, v6, v4
	v_cvt_i32_f32_e32 v9, v0
	v_cvt_i32_f32_e32 v6, v4
	s_nop 0
	v_cvt_f32_i32_dpp v12, v9 row_bcast:15 row_mask:0xf bank_mask:0xf bound_ctrl:1
	v_add_f32_e32 v9, v2, v8
	v_cvt_f32_i32_dpp v2, v6 row_bcast:15 row_mask:0xf bank_mask:0xf bound_ctrl:1
	v_cvt_i32_f32_e32 v8, v9
	v_add_f32_e32 v6, v0, v12
	v_cvt_i32_f32_e32 v0, v6
	v_add_f32_e32 v2, v4, v2
	v_cvt_i32_f32_e32 v4, v2
	v_mov_b32_dpp v12, v11 row_bcast:31 row_mask:0xf bank_mask:0xf bound_ctrl:1
	v_mov_b32_dpp v11, v8 row_bcast:31 row_mask:0xf bank_mask:0xf bound_ctrl:1
	;; [unrolled: 1-line block ×4, first 2 shown]
	s_and_saveexec_b64 s[34:35], s[0:1]
	s_cbranch_execz .LBB61_42
; %bb.33:                               ;   in Loop: Header=BB61_12 Depth=1
	s_andn2_b64 vcc, exec, s[26:27]
	s_waitcnt vmcnt(5)
	v_mov_b32_e32 v18, 0
	v_add_u32_e32 v0, 2, v44
	s_waitcnt vmcnt(4)
	v_mov_b32_e32 v17, 0
	s_waitcnt vmcnt(3)
	v_mov_b32_e32 v16, 0
	;; [unrolled: 2-line block ×5, first 2 shown]
	s_cbranch_vccnz .LBB61_35
; %bb.34:                               ;   in Loop: Header=BB61_12 Depth=1
	v_mul_hi_u32 v13, v44, v54
	v_mul_lo_u32 v13, v13, s12
	v_sub_u32_e32 v13, v44, v13
	v_subrev_u32_e32 v14, s12, v13
	v_cmp_le_u32_e32 vcc, s12, v13
	v_mov_b32_e32 v15, v47
	v_mov_b32_e32 v17, v47
	v_cndmask_b32_e32 v13, v13, v14, vcc
	v_subrev_u32_e32 v14, s12, v13
	v_cmp_le_u32_e32 vcc, s12, v13
	s_nop 1
	v_cndmask_b32_e32 v46, v13, v14, vcc
	v_add_u32_e32 v13, 1, v44
	v_mul_hi_u32 v14, v13, v54
	v_mul_lo_u32 v14, v14, s12
	v_sub_u32_e32 v13, v13, v14
	v_subrev_u32_e32 v14, s12, v13
	v_cmp_le_u32_e32 vcc, s12, v13
	v_lshl_add_u64 v[20:21], v[46:47], 1, s[18:19]
	v_add_u32_e32 v46, s13, v46
	v_cndmask_b32_e32 v13, v13, v14, vcc
	v_subrev_u32_e32 v14, s12, v13
	v_cmp_le_u32_e32 vcc, s12, v13
	v_lshl_add_u64 v[26:27], v[46:47], 1, s[18:19]
	s_nop 0
	v_cndmask_b32_e32 v14, v13, v14, vcc
	v_mul_hi_u32 v13, v0, v54
	v_mul_lo_u32 v13, v13, s12
	v_sub_u32_e32 v13, v0, v13
	v_lshl_add_u64 v[22:23], v[14:15], 1, s[18:19]
	v_subrev_u32_e32 v15, s12, v13
	v_cmp_le_u32_e32 vcc, s12, v13
	v_add_u32_e32 v46, s13, v14
	v_lshl_add_u64 v[28:29], v[46:47], 1, s[18:19]
	v_cndmask_b32_e32 v13, v13, v15, vcc
	v_subrev_u32_e32 v15, s12, v13
	v_cmp_le_u32_e32 vcc, s12, v13
	s_nop 1
	v_cndmask_b32_e32 v16, v13, v15, vcc
	v_add_u32_e32 v46, s13, v16
	v_lshl_add_u64 v[24:25], v[16:17], 1, s[18:19]
	v_lshl_add_u64 v[30:31], v[46:47], 1, s[18:19]
	global_load_ushort v18, v[20:21], off
	global_load_ushort v17, v[22:23], off
	global_load_ushort v16, v[24:25], off
	global_load_ushort v15, v[26:27], off
	global_load_ushort v14, v[28:29], off
	global_load_ushort v13, v[30:31], off
.LBB61_35:                              ;   in Loop: Header=BB61_12 Depth=1
	v_cmp_ne_u32_e32 vcc, 0, v40
	s_and_saveexec_b64 s[6:7], vcc
	s_cbranch_execnz .LBB61_47
; %bb.36:                               ;   in Loop: Header=BB61_12 Depth=1
	s_or_b64 exec, exec, s[6:7]
	v_cmp_ne_u32_e64 s[6:7], 0, v41
	s_and_saveexec_b64 s[8:9], s[6:7]
	s_cbranch_execnz .LBB61_48
.LBB61_37:                              ;   in Loop: Header=BB61_12 Depth=1
	s_or_b64 exec, exec, s[8:9]
	v_cmp_ne_u32_e64 s[8:9], 0, v42
	s_and_saveexec_b64 s[36:37], s[8:9]
	s_cbranch_execnz .LBB61_49
.LBB61_38:                              ;   in Loop: Header=BB61_12 Depth=1
	s_or_b64 exec, exec, s[36:37]
	v_add_u32_e32 v46, s23, v44
	s_and_saveexec_b64 s[36:37], vcc
	s_cbranch_execnz .LBB61_50
.LBB61_39:                              ;   in Loop: Header=BB61_12 Depth=1
	s_or_b64 exec, exec, s[36:37]
	s_and_saveexec_b64 s[36:37], s[6:7]
	s_cbranch_execnz .LBB61_51
.LBB61_40:                              ;   in Loop: Header=BB61_12 Depth=1
	s_or_b64 exec, exec, s[36:37]
	s_and_b64 exec, exec, s[8:9]
	s_cbranch_execz .LBB61_42
.LBB61_41:                              ;   in Loop: Header=BB61_12 Depth=1
	v_cvt_f32_i32_e32 v0, v4
	s_waitcnt vmcnt(0)
	v_cvt_f32_f16_e32 v1, v13
	v_add_u32_e32 v46, 2, v46
	v_add_f32_e32 v0, v2, v0
	v_add_f32_e32 v0, v0, v1
	v_cvt_f16_f32_e32 v2, v0
	v_lshl_add_u64 v[0:1], v[46:47], 1, s[10:11]
	global_store_short v[0:1], v2, off
.LBB61_42:                              ;   in Loop: Header=BB61_12 Depth=1
	s_or_b64 exec, exec, s[34:35]
	v_add_u32_e32 v44, s44, v44
	v_add_u32_e32 v0, 3, v44
	v_cmp_gt_u32_e32 vcc, s23, v44
	v_cmp_le_u32_e64 s[6:7], s23, v0
	s_and_b64 s[6:7], vcc, s[6:7]
	s_and_saveexec_b64 s[8:9], s[6:7]
	s_cbranch_execz .LBB61_10
; %bb.43:                               ;   in Loop: Header=BB61_12 Depth=1
	v_cmp_ne_u32_e32 vcc, s45, v44
	s_and_saveexec_b64 s[34:35], vcc
	s_cbranch_execz .LBB61_9
; %bb.44:                               ;   in Loop: Header=BB61_12 Depth=1
	v_subrev_u32_e32 v0, s45, v44
	v_cmp_lt_u32_e32 vcc, 1, v0
	s_mov_b64 s[36:37], 0
	s_mov_b64 s[38:39], 0
	v_cndmask_b32_e32 v0, 1, v0, vcc
.LBB61_45:                              ;   Parent Loop BB61_12 Depth=1
                                        ; =>  This Inner Loop Header: Depth=2
	s_cmp_lg_u32 s38, 2
	s_cselect_b64 vcc, -1, 0
	s_cmp_lg_u32 s38, 1
	v_cndmask_b32_e32 v42, 0, v42, vcc
	s_cselect_b64 vcc, -1, 0
	s_cmp_lg_u32 s38, 0
	v_cndmask_b32_e32 v41, 0, v41, vcc
	s_cselect_b64 vcc, -1, 0
	s_add_u32 s38, s38, 1
	s_addc_u32 s39, s39, 0
	v_cmp_eq_u32_e64 s[6:7], s38, v0
	s_or_b64 s[36:37], s[6:7], s[36:37]
	v_cndmask_b32_e32 v40, 0, v40, vcc
	s_andn2_b64 exec, exec, s[36:37]
	s_cbranch_execnz .LBB61_45
; %bb.46:                               ;   in Loop: Header=BB61_12 Depth=1
	s_or_b64 exec, exec, s[36:37]
	s_branch .LBB61_9
.LBB61_47:                              ;   in Loop: Header=BB61_12 Depth=1
	v_cvt_f32_i32_e32 v7, v7
	s_waitcnt vmcnt(5)
	v_cvt_f32_f16_e32 v18, v18
	v_mov_b32_e32 v45, v47
	v_add_f32_e32 v5, v5, v7
	v_add_f32_e32 v5, v5, v18
	v_cvt_f16_f32_e32 v5, v5
	v_lshl_add_u64 v[18:19], v[44:45], 1, s[10:11]
	global_store_short v[18:19], v5, off
	s_or_b64 exec, exec, s[6:7]
	v_cmp_ne_u32_e64 s[6:7], 0, v41
	s_and_saveexec_b64 s[8:9], s[6:7]
	s_cbranch_execz .LBB61_37
.LBB61_48:                              ;   in Loop: Header=BB61_12 Depth=1
	v_cvt_f32_i32_e32 v3, v3
	s_waitcnt vmcnt(4)
	v_cvt_f32_f16_e32 v5, v17
	v_mov_b32_e32 v45, v47
	v_lshl_add_u64 v[18:19], v[44:45], 1, s[28:29]
	v_add_f32_e32 v1, v1, v3
	v_add_f32_e32 v1, v1, v5
	v_cvt_f16_f32_e32 v1, v1
	global_store_short v[18:19], v1, off
	s_or_b64 exec, exec, s[8:9]
	v_cmp_ne_u32_e64 s[8:9], 0, v42
	s_and_saveexec_b64 s[36:37], s[8:9]
	s_cbranch_execz .LBB61_38
.LBB61_49:                              ;   in Loop: Header=BB61_12 Depth=1
	v_cvt_f32_i32_e32 v1, v12
	s_waitcnt vmcnt(3)
	v_cvt_f32_f16_e32 v3, v16
	v_add_f32_e32 v1, v10, v1
	v_add_f32_e32 v1, v1, v3
	v_cvt_f16_f32_e32 v3, v1
	v_mov_b32_e32 v1, v47
	v_lshl_add_u64 v[0:1], v[0:1], 1, s[10:11]
	global_store_short v[0:1], v3, off
	s_or_b64 exec, exec, s[36:37]
	v_add_u32_e32 v46, s23, v44
	s_and_saveexec_b64 s[36:37], vcc
	s_cbranch_execz .LBB61_39
.LBB61_50:                              ;   in Loop: Header=BB61_12 Depth=1
	v_cvt_f32_i32_e32 v0, v11
	s_waitcnt vmcnt(2)
	v_cvt_f32_f16_e32 v1, v15
	v_add_f32_e32 v0, v9, v0
	v_add_f32_e32 v0, v0, v1
	v_cvt_f16_f32_e32 v3, v0
	v_lshl_add_u64 v[0:1], v[46:47], 1, s[10:11]
	global_store_short v[0:1], v3, off
	s_or_b64 exec, exec, s[36:37]
	s_and_saveexec_b64 s[36:37], s[6:7]
	s_cbranch_execz .LBB61_40
.LBB61_51:                              ;   in Loop: Header=BB61_12 Depth=1
	v_cvt_f32_i32_e32 v0, v8
	s_waitcnt vmcnt(1)
	v_cvt_f32_f16_e32 v1, v14
	v_add_f32_e32 v0, v6, v0
	v_add_f32_e32 v0, v0, v1
	v_cvt_f16_f32_e32 v3, v0
	v_add_u32_e32 v0, 1, v46
	v_mov_b32_e32 v1, v47
	v_lshl_add_u64 v[0:1], v[0:1], 1, s[10:11]
	global_store_short v[0:1], v3, off
	s_or_b64 exec, exec, s[36:37]
	s_and_b64 exec, exec, s[8:9]
	s_cbranch_execnz .LBB61_41
	s_branch .LBB61_42
.LBB61_52:
	s_endpgm
	.section	.rodata,"a",@progbits
	.p2align	6, 0x0
	.amdhsa_kernel _Z16wvSplitK_hf_big_I6__halfLi64ELi3ELi16ELi8ELi2ELi2EEviiiiiiPKT_S3_S3_PS1_ii
		.amdhsa_group_segment_fixed_size 65536
		.amdhsa_private_segment_fixed_size 0
		.amdhsa_kernarg_size 64
		.amdhsa_user_sgpr_count 2
		.amdhsa_user_sgpr_dispatch_ptr 0
		.amdhsa_user_sgpr_queue_ptr 0
		.amdhsa_user_sgpr_kernarg_segment_ptr 1
		.amdhsa_user_sgpr_dispatch_id 0
		.amdhsa_user_sgpr_kernarg_preload_length 0
		.amdhsa_user_sgpr_kernarg_preload_offset 0
		.amdhsa_user_sgpr_private_segment_size 0
		.amdhsa_uses_dynamic_stack 0
		.amdhsa_enable_private_segment 0
		.amdhsa_system_sgpr_workgroup_id_x 1
		.amdhsa_system_sgpr_workgroup_id_y 0
		.amdhsa_system_sgpr_workgroup_id_z 0
		.amdhsa_system_sgpr_workgroup_info 0
		.amdhsa_system_vgpr_workitem_id 1
		.amdhsa_next_free_vgpr 65
		.amdhsa_next_free_sgpr 50
		.amdhsa_accum_offset 68
		.amdhsa_reserve_vcc 1
		.amdhsa_float_round_mode_32 0
		.amdhsa_float_round_mode_16_64 0
		.amdhsa_float_denorm_mode_32 3
		.amdhsa_float_denorm_mode_16_64 3
		.amdhsa_dx10_clamp 1
		.amdhsa_ieee_mode 1
		.amdhsa_fp16_overflow 0
		.amdhsa_tg_split 0
		.amdhsa_exception_fp_ieee_invalid_op 0
		.amdhsa_exception_fp_denorm_src 0
		.amdhsa_exception_fp_ieee_div_zero 0
		.amdhsa_exception_fp_ieee_overflow 0
		.amdhsa_exception_fp_ieee_underflow 0
		.amdhsa_exception_fp_ieee_inexact 0
		.amdhsa_exception_int_div_zero 0
	.end_amdhsa_kernel
	.section	.text._Z16wvSplitK_hf_big_I6__halfLi64ELi3ELi16ELi8ELi2ELi2EEviiiiiiPKT_S3_S3_PS1_ii,"axG",@progbits,_Z16wvSplitK_hf_big_I6__halfLi64ELi3ELi16ELi8ELi2ELi2EEviiiiiiPKT_S3_S3_PS1_ii,comdat
.Lfunc_end61:
	.size	_Z16wvSplitK_hf_big_I6__halfLi64ELi3ELi16ELi8ELi2ELi2EEviiiiiiPKT_S3_S3_PS1_ii, .Lfunc_end61-_Z16wvSplitK_hf_big_I6__halfLi64ELi3ELi16ELi8ELi2ELi2EEviiiiiiPKT_S3_S3_PS1_ii
                                        ; -- End function
	.section	.AMDGPU.csdata,"",@progbits
; Kernel info:
; codeLenInByte = 3348
; NumSgprs: 56
; NumVgprs: 65
; NumAgprs: 0
; TotalNumVgprs: 65
; ScratchSize: 0
; MemoryBound: 0
; FloatMode: 240
; IeeeMode: 1
; LDSByteSize: 65536 bytes/workgroup (compile time only)
; SGPRBlocks: 6
; VGPRBlocks: 8
; NumSGPRsForWavesPerEU: 56
; NumVGPRsForWavesPerEU: 65
; AccumOffset: 68
; Occupancy: 4
; WaveLimiterHint : 0
; COMPUTE_PGM_RSRC2:SCRATCH_EN: 0
; COMPUTE_PGM_RSRC2:USER_SGPR: 2
; COMPUTE_PGM_RSRC2:TRAP_HANDLER: 0
; COMPUTE_PGM_RSRC2:TGID_X_EN: 1
; COMPUTE_PGM_RSRC2:TGID_Y_EN: 0
; COMPUTE_PGM_RSRC2:TGID_Z_EN: 0
; COMPUTE_PGM_RSRC2:TIDIG_COMP_CNT: 1
; COMPUTE_PGM_RSRC3_GFX90A:ACCUM_OFFSET: 16
; COMPUTE_PGM_RSRC3_GFX90A:TG_SPLIT: 0
	.section	.text._Z16wvSplitK_hf_sml_I6__halfLi64ELi4ELi16ELi8ELi1ELi2EEviiiiiiPKT_S3_S3_PS1_ii,"axG",@progbits,_Z16wvSplitK_hf_sml_I6__halfLi64ELi4ELi16ELi8ELi1ELi2EEviiiiiiPKT_S3_S3_PS1_ii,comdat
	.protected	_Z16wvSplitK_hf_sml_I6__halfLi64ELi4ELi16ELi8ELi1ELi2EEviiiiiiPKT_S3_S3_PS1_ii ; -- Begin function _Z16wvSplitK_hf_sml_I6__halfLi64ELi4ELi16ELi8ELi1ELi2EEviiiiiiPKT_S3_S3_PS1_ii
	.globl	_Z16wvSplitK_hf_sml_I6__halfLi64ELi4ELi16ELi8ELi1ELi2EEviiiiiiPKT_S3_S3_PS1_ii
	.p2align	8
	.type	_Z16wvSplitK_hf_sml_I6__halfLi64ELi4ELi16ELi8ELi1ELi2EEviiiiiiPKT_S3_S3_PS1_ii,@function
_Z16wvSplitK_hf_sml_I6__halfLi64ELi4ELi16ELi8ELi1ELi2EEviiiiiiPKT_S3_S3_PS1_ii: ; @_Z16wvSplitK_hf_sml_I6__halfLi64ELi4ELi16ELi8ELi1ELi2EEviiiiiiPKT_S3_S3_PS1_ii
; %bb.0:
	s_load_dwordx4 s[4:7], s[0:1], 0x0
	s_load_dwordx2 s[8:9], s[0:1], 0x10
	s_load_dwordx2 s[10:11], s[0:1], 0x28
	v_and_b32_e32 v2, 0x3ff, v0
	v_bfe_u32 v3, v0, 10, 10
	v_lshlrev_b32_e32 v36, 3, v2
	s_waitcnt lgkmcnt(0)
	s_lshl_b32 s6, s6, 1
	v_lshl_add_u32 v4, v3, 9, v36
	s_min_u32 s3, s6, 0x8000
	v_cmp_gt_u32_e32 vcc, s3, v4
	s_and_saveexec_b64 s[12:13], vcc
	s_cbranch_execz .LBB62_3
; %bb.1:
	s_load_dwordx2 s[14:15], s[0:1], 0x20
	v_mov_b32_e32 v7, 0
	v_lshlrev_b32_e32 v6, 10, v3
	v_lshlrev_b32_e32 v8, 4, v2
	v_mov_b32_e32 v9, v7
	v_lshl_add_u64 v[0:1], v[6:7], 0, v[8:9]
	s_waitcnt lgkmcnt(0)
	v_lshl_add_u64 v[0:1], s[14:15], 0, v[0:1]
	v_add_u32_e32 v5, v6, v8
	s_mov_b64 s[14:15], 0
	s_mov_b64 s[16:17], 0x4000
.LBB62_2:                               ; =>This Inner Loop Header: Depth=1
	global_load_dwordx4 v[6:9], v[0:1], off
	v_add_u32_e32 v4, 0x2000, v4
	v_cmp_le_u32_e32 vcc, s3, v4
	v_lshl_add_u64 v[0:1], v[0:1], 0, s[16:17]
	s_or_b64 s[14:15], vcc, s[14:15]
	s_waitcnt vmcnt(0)
	ds_write_b128 v5, v[6:9]
	v_add_u32_e32 v5, 0x4000, v5
	s_andn2_b64 exec, exec, s[14:15]
	s_cbranch_execnz .LBB62_2
.LBB62_3:
	s_or_b64 exec, exec, s[12:13]
	s_load_dwordx2 s[16:17], s[0:1], 0x38
	s_waitcnt lgkmcnt(0)
	s_barrier
	v_cmp_gt_u32_e32 vcc, s16, v3
	s_and_saveexec_b64 s[12:13], vcc
	s_cbranch_execz .LBB62_18
; %bb.4:
	s_mul_i32 s2, s2, s16
	v_add_lshl_u32 v24, s2, v3, 2
	v_cmp_gt_u32_e32 vcc, s7, v24
	s_and_b64 exec, exec, vcc
	s_cbranch_execz .LBB62_18
; %bb.5:
	v_cvt_f32_u32_e32 v0, s8
	s_cmp_lg_u32 s4, 0
	s_cselect_b64 s[2:3], -1, 0
	s_add_i32 s24, s4, -8
	v_rcp_iflag_f32_e32 v0, v0
	s_add_i32 s25, s7, -1
	s_mul_i32 s20, s16, s17
	s_cmp_lg_u64 s[10:11], 0
	v_mul_f32_e32 v0, 0x4f7ffffe, v0
	v_cvt_u32_f32_e32 v0, v0
	s_cselect_b64 s[18:19], -1, 0
	s_lshl_b32 s26, s20, 2
	s_sub_i32 s20, 0, s8
	s_abs_i32 s9, s9
	v_mul_lo_u32 v1, s20, v0
	s_sub_i32 s20, 1, s9
	s_cmp_lt_u32 s9, 2
	s_load_dwordx2 s[12:13], s[0:1], 0x18
	s_load_dwordx2 s[14:15], s[0:1], 0x30
	s_cselect_b32 s20, s20, 1
	s_sub_i32 s21, s20, s9
	v_mul_hi_u32 v1, v0, v1
	s_cmp_ge_u32 s20, s9
	v_add_u32_e32 v37, v0, v1
	s_cselect_b32 s9, s21, s20
	v_cndmask_b32_e64 v0, 0, 1, s[2:3]
	v_cmp_eq_u32_e64 s[0:1], 63, v2
	s_mov_b64 s[16:17], 0
	v_mov_b32_e32 v27, 0
	s_mul_i32 s9, s9, s8
	v_lshlrev_b32_e32 v38, 4, v2
	v_cmp_ne_u32_e64 s[2:3], 1, v0
	s_branch .LBB62_8
.LBB62_6:                               ;   in Loop: Header=BB62_8 Depth=1
	v_cvt_f32_i32_e32 v2, v2
	v_cvt_f32_i32_e32 v4, v4
	;; [unrolled: 1-line block ×4, first 2 shown]
	v_add_f32_e32 v0, v0, v2
	v_cvt_f32_i32_e32 v2, v15
	v_add_f32_e32 v1, v1, v4
	v_add_f32_e32 v4, v5, v7
	;; [unrolled: 1-line block ×4, first 2 shown]
	s_waitcnt vmcnt(7)
	v_cvt_f32_f16_e32 v8, v23
	v_cvt_f32_i32_e32 v2, v14
	v_cvt_f32_i32_e32 v6, v13
	v_add_u32_e32 v26, s7, v24
	v_add_f32_e32 v0, v0, v8
	v_add_f32_e32 v9, v9, v2
	;; [unrolled: 1-line block ×3, first 2 shown]
	s_waitcnt vmcnt(6)
	v_cvt_f32_f16_e32 v2, v22
	s_waitcnt vmcnt(5)
	v_cvt_f32_f16_e32 v8, v21
	v_cvt_f16_f32_e32 v10, v0
	s_waitcnt vmcnt(4)
	v_cvt_f32_f16_e32 v0, v20
	v_add_f32_e32 v1, v1, v2
	v_add_f32_e32 v2, v3, v8
	v_cvt_f16_f32_e32 v2, v2
	v_add_f32_e32 v0, v4, v0
	v_cvt_f16_f32_e32 v3, v0
	v_cvt_f16_f32_e32 v4, v1
	s_waitcnt vmcnt(3)
	v_cvt_f32_f16_e32 v8, v19
	s_waitcnt lgkmcnt(0)
	v_lshl_add_u64 v[0:1], v[24:25], 1, s[14:15]
	v_pack_b32_f16 v3, v2, v3
	v_pack_b32_f16 v2, v10, v4
	global_store_dwordx2 v[0:1], v[2:3], off
	v_add_f32_e32 v0, v5, v8
	v_cvt_f16_f32_e32 v2, v0
	s_waitcnt vmcnt(3)
	v_cvt_f32_f16_e32 v3, v18
	v_lshl_add_u64 v[0:1], v[26:27], 1, s[14:15]
	v_cvt_f32_i32_e32 v7, v12
	global_store_short v[0:1], v2, off
	v_add_f32_e32 v0, v9, v3
	v_cvt_f16_f32_e32 v2, v0
	s_waitcnt vmcnt(3)
	v_cvt_f32_f16_e32 v3, v17
	v_add_u32_e32 v0, 1, v26
	v_mov_b32_e32 v1, v27
	v_lshl_add_u64 v[0:1], v[0:1], 1, s[14:15]
	global_store_short v[0:1], v2, off
	v_add_f32_e32 v0, v6, v3
	s_waitcnt vmcnt(3)
	v_cvt_f32_f16_e32 v3, v16
	v_add_f32_e32 v7, v11, v7
	v_cvt_f16_f32_e32 v2, v0
	v_add_u32_e32 v0, 2, v26
	v_add_f32_e32 v3, v7, v3
	v_cvt_f16_f32_e32 v3, v3
	v_mov_b32_e32 v1, v27
	v_lshl_add_u64 v[0:1], v[0:1], 1, s[14:15]
	v_add_u32_e32 v26, 3, v26
	global_store_short v[0:1], v2, off
	v_lshl_add_u64 v[0:1], v[26:27], 1, s[14:15]
	global_store_short v[0:1], v3, off
.LBB62_7:                               ;   in Loop: Header=BB62_8 Depth=1
	s_or_b64 exec, exec, s[20:21]
	v_add_u32_e32 v24, s26, v24
	v_cmp_le_u32_e32 vcc, s7, v24
	s_or_b64 s[16:17], vcc, s[16:17]
	s_andn2_b64 exec, exec, s[16:17]
	s_cbranch_execz .LBB62_18
.LBB62_8:                               ; =>This Loop Header: Depth=1
                                        ;     Child Loop BB62_11 Depth 2
	s_mov_b32 s22, 0
	s_and_b64 vcc, exec, s[2:3]
	v_mov_b32_e32 v45, v27
	v_mov_b32_e32 v44, v27
	;; [unrolled: 1-line block ×8, first 2 shown]
	s_cbranch_vccnz .LBB62_13
; %bb.9:                                ;   in Loop: Header=BB62_8 Depth=1
	v_min_u32_e32 v0, s25, v24
	v_mul_lo_u32 v28, v0, s5
	v_or_b32_e32 v0, 1, v24
	v_min_u32_e32 v0, s25, v0
	v_mul_lo_u32 v30, v0, s5
	v_or_b32_e32 v0, 2, v24
	;; [unrolled: 3-line block ×3, first 2 shown]
	v_min_u32_e32 v0, s25, v0
	v_mov_b32_e32 v29, v27
	v_mov_b32_e32 v31, v27
	;; [unrolled: 1-line block ×3, first 2 shown]
	v_mul_lo_u32 v34, v0, s5
	v_mov_b32_e32 v35, v27
	v_mov_b32_e32 v41, 0
	v_mov_b32_e32 v46, v38
	v_mov_b32_e32 v40, 0
	v_mov_b32_e32 v39, 0
	v_mov_b32_e32 v25, 0
	v_mov_b32_e32 v42, 0
	v_mov_b32_e32 v43, 0
	v_mov_b32_e32 v44, 0
	v_mov_b32_e32 v45, 0
	s_branch .LBB62_11
.LBB62_10:                              ;   in Loop: Header=BB62_11 Depth=2
	s_or_b64 exec, exec, s[20:21]
	s_waitcnt vmcnt(3) lgkmcnt(1)
	;;#ASMSTART
	v_dot2c_f32_f16 v45, v20, v16
	;;#ASMEND
	s_waitcnt vmcnt(2)
	;;#ASMSTART
	v_dot2c_f32_f16 v44, v20, v12
	;;#ASMEND
	s_waitcnt vmcnt(1)
	;; [unrolled: 4-line block ×3, first 2 shown]
	;;#ASMSTART
	v_dot2c_f32_f16 v42, v20, v0
	;;#ASMEND
	s_waitcnt lgkmcnt(0)
	;;#ASMSTART
	v_dot2c_f32_f16 v41, v8, v16
	;;#ASMEND
	;;#ASMSTART
	v_dot2c_f32_f16 v40, v8, v12
	;;#ASMEND
	;; [unrolled: 3-line block ×8, first 2 shown]
	s_nop 0
	;;#ASMSTART
	v_dot2c_f32_f16 v41, v9, v17
	;;#ASMEND
	;;#ASMSTART
	v_dot2c_f32_f16 v40, v9, v13
	;;#ASMEND
	;;#ASMSTART
	v_dot2c_f32_f16 v39, v9, v5
	;;#ASMEND
	;;#ASMSTART
	v_dot2c_f32_f16 v25, v9, v1
	;;#ASMEND
	s_addk_i32 s22, 0x200
	;;#ASMSTART
	v_dot2c_f32_f16 v45, v22, v18
	;;#ASMEND
	;;#ASMSTART
	v_dot2c_f32_f16 v44, v22, v14
	;;#ASMEND
	;; [unrolled: 3-line block ×8, first 2 shown]
	s_cmp_ge_u32 s22, s4
	v_add_u32_e32 v46, 0x400, v46
	;;#ASMSTART
	v_dot2c_f32_f16 v45, v23, v19
	;;#ASMEND
	;;#ASMSTART
	v_dot2c_f32_f16 v44, v23, v15
	;;#ASMEND
	;; [unrolled: 3-line block ×8, first 2 shown]
	s_cbranch_scc1 .LBB62_13
.LBB62_11:                              ;   Parent Loop BB62_8 Depth=1
                                        ; =>  This Inner Loop Header: Depth=2
	v_add_u32_e32 v20, s22, v36
	v_min_u32_e32 v26, s24, v20
	s_waitcnt lgkmcnt(0)
	v_lshl_add_u64 v[0:1], v[26:27], 1, s[12:13]
	v_lshl_add_u64 v[2:3], v[28:29], 1, v[0:1]
	;; [unrolled: 1-line block ×4, first 2 shown]
	global_load_dwordx4 v[16:19], v[2:3], off nt
	global_load_dwordx4 v[12:15], v[4:5], off nt
	v_lshl_add_u64 v[10:11], v[34:35], 1, v[0:1]
	global_load_dwordx4 v[4:7], v[8:9], off nt
	global_load_dwordx4 v[0:3], v[10:11], off nt
	v_cmp_gt_u32_e32 vcc, s4, v20
	v_mov_b32_e32 v20, 0
	v_mov_b32_e32 v21, 0
	;; [unrolled: 1-line block ×8, first 2 shown]
	s_and_saveexec_b64 s[20:21], vcc
	s_cbranch_execz .LBB62_10
; %bb.12:                               ;   in Loop: Header=BB62_11 Depth=2
	v_add_u32_e32 v8, s6, v46
	ds_read_b128 v[20:23], v46
	ds_read_b128 v[8:11], v8
	s_branch .LBB62_10
.LBB62_13:                              ;   in Loop: Header=BB62_8 Depth=1
	; sched_barrier mask(0x00000000)
	v_cvt_i32_f32_e32 v0, v45
	v_cvt_i32_f32_e32 v1, v44
	;; [unrolled: 1-line block ×4, first 2 shown]
	v_cvt_f32_i32_dpp v0, v0 row_shr:8 row_mask:0xf bank_mask:0xf bound_ctrl:1
	v_cvt_f32_i32_dpp v1, v1 row_shr:8 row_mask:0xf bank_mask:0xf bound_ctrl:1
	;; [unrolled: 1-line block ×4, first 2 shown]
	v_add_f32_e32 v0, v45, v0
	v_cvt_i32_f32_e32 v4, v0
	v_add_f32_e32 v1, v44, v1
	v_cvt_i32_f32_e32 v5, v1
	v_add_f32_e32 v2, v43, v2
	v_cvt_f32_i32_dpp v4, v4 row_shr:4 row_mask:0xf bank_mask:0xf bound_ctrl:1
	v_cvt_i32_f32_e32 v6, v2
	v_cvt_f32_i32_dpp v5, v5 row_shr:4 row_mask:0xf bank_mask:0xf bound_ctrl:1
	v_add_f32_e32 v3, v42, v3
	v_add_f32_e32 v0, v0, v4
	v_cvt_i32_f32_e32 v4, v0
	v_add_f32_e32 v1, v1, v5
	v_cvt_i32_f32_e32 v5, v1
	v_cvt_f32_i32_dpp v6, v6 row_shr:4 row_mask:0xf bank_mask:0xf bound_ctrl:1
	v_cvt_f32_i32_dpp v4, v4 row_shr:2 row_mask:0xf bank_mask:0xf bound_ctrl:1
	v_cvt_i32_f32_e32 v7, v3
	v_cvt_f32_i32_dpp v5, v5 row_shr:2 row_mask:0xf bank_mask:0xf bound_ctrl:1
	v_add_f32_e32 v2, v2, v6
	v_add_f32_e32 v0, v0, v4
	v_cvt_i32_f32_e32 v4, v0
	v_add_f32_e32 v1, v1, v5
	v_cvt_i32_f32_e32 v5, v1
	v_cvt_i32_f32_e32 v6, v2
	v_cvt_f32_i32_dpp v4, v4 row_shr:1 row_mask:0xf bank_mask:0xf bound_ctrl:1
	v_cvt_f32_i32_dpp v7, v7 row_shr:4 row_mask:0xf bank_mask:0xf bound_ctrl:1
	;; [unrolled: 1-line block ×4, first 2 shown]
	v_add_f32_e32 v0, v0, v4
	v_cvt_i32_f32_e32 v4, v0
	v_add_f32_e32 v1, v1, v5
	v_add_f32_e32 v6, v2, v6
	;; [unrolled: 1-line block ×3, first 2 shown]
	v_cvt_f32_i32_dpp v2, v4 row_bcast:15 row_mask:0xf bank_mask:0xf bound_ctrl:1
	v_cvt_i32_f32_e32 v4, v1
	v_cvt_i32_f32_e32 v7, v3
	;; [unrolled: 1-line block ×3, first 2 shown]
	v_add_f32_e32 v0, v0, v2
	v_cvt_f32_i32_dpp v4, v4 row_bcast:15 row_mask:0xf bank_mask:0xf bound_ctrl:1
	v_cvt_f32_i32_dpp v7, v7 row_shr:2 row_mask:0xf bank_mask:0xf bound_ctrl:1
	v_cvt_f32_i32_dpp v5, v5 row_shr:1 row_mask:0xf bank_mask:0xf bound_ctrl:1
	v_cvt_i32_f32_e32 v2, v0
	v_add_f32_e32 v1, v1, v4
	v_cvt_i32_f32_e32 v4, v41
	v_add_f32_e32 v3, v3, v7
	v_add_f32_e32 v5, v6, v5
	v_cvt_i32_f32_e32 v6, v3
	v_cvt_f32_i32_dpp v4, v4 row_shr:8 row_mask:0xf bank_mask:0xf bound_ctrl:1
	v_cvt_i32_f32_e32 v7, v5
	v_cvt_i32_f32_e32 v8, v1
	v_cvt_f32_i32_dpp v6, v6 row_shr:1 row_mask:0xf bank_mask:0xf bound_ctrl:1
	v_add_f32_e32 v9, v41, v4
	v_cvt_i32_f32_e32 v10, v9
	v_cvt_f32_i32_dpp v7, v7 row_bcast:15 row_mask:0xf bank_mask:0xf bound_ctrl:1
	v_add_f32_e32 v6, v3, v6
	v_mov_b32_dpp v4, v8 row_bcast:31 row_mask:0xf bank_mask:0xf bound_ctrl:1
	v_cvt_f32_i32_dpp v8, v10 row_shr:4 row_mask:0xf bank_mask:0xf bound_ctrl:1
	v_cvt_i32_f32_e32 v11, v6
	v_add_f32_e32 v3, v5, v7
	v_cvt_i32_f32_e32 v7, v40
	v_add_f32_e32 v8, v9, v8
	v_cvt_f32_i32_dpp v5, v11 row_bcast:15 row_mask:0xf bank_mask:0xf bound_ctrl:1
	v_cvt_i32_f32_e32 v9, v8
	v_cvt_f32_i32_dpp v7, v7 row_shr:8 row_mask:0xf bank_mask:0xf bound_ctrl:1
	v_cvt_i32_f32_e32 v10, v3
	v_add_f32_e32 v5, v6, v5
	v_cvt_f32_i32_dpp v6, v9 row_shr:2 row_mask:0xf bank_mask:0xf bound_ctrl:1
	v_add_f32_e32 v11, v40, v7
	v_cvt_i32_f32_e32 v7, v11
	v_cvt_i32_f32_e32 v9, v5
	v_add_f32_e32 v8, v8, v6
	v_cvt_i32_f32_e32 v12, v8
	v_mov_b32_dpp v6, v10 row_bcast:31 row_mask:0xf bank_mask:0xf bound_ctrl:1
	v_cvt_f32_i32_dpp v10, v7 row_shr:4 row_mask:0xf bank_mask:0xf bound_ctrl:1
	v_mov_b32_dpp v7, v9 row_bcast:31 row_mask:0xf bank_mask:0xf bound_ctrl:1
	v_cvt_f32_i32_dpp v9, v12 row_shr:1 row_mask:0xf bank_mask:0xf bound_ctrl:1
	v_cvt_i32_f32_e32 v12, v39
	v_add_f32_e32 v10, v11, v10
	v_cvt_i32_f32_e32 v11, v25
	v_add_f32_e32 v8, v8, v9
	v_cvt_f32_i32_dpp v12, v12 row_shr:8 row_mask:0xf bank_mask:0xf bound_ctrl:1
	v_cvt_i32_f32_e32 v13, v10
	v_cvt_f32_i32_dpp v9, v11 row_shr:8 row_mask:0xf bank_mask:0xf bound_ctrl:1
	v_cvt_i32_f32_e32 v15, v8
	v_add_f32_e32 v12, v39, v12
	v_cvt_f32_i32_dpp v11, v13 row_shr:2 row_mask:0xf bank_mask:0xf bound_ctrl:1
	v_add_f32_e32 v9, v25, v9
	v_cvt_i32_f32_e32 v13, v12
	v_cvt_i32_f32_e32 v14, v9
	v_add_f32_e32 v10, v10, v11
	v_cvt_f32_i32_dpp v15, v15 row_bcast:15 row_mask:0xf bank_mask:0xf bound_ctrl:1
	v_cvt_f32_i32_dpp v13, v13 row_shr:4 row_mask:0xf bank_mask:0xf bound_ctrl:1
	v_cvt_f32_i32_dpp v11, v14 row_shr:4 row_mask:0xf bank_mask:0xf bound_ctrl:1
	v_cvt_i32_f32_e32 v14, v10
	v_add_f32_e32 v8, v8, v15
	v_add_f32_e32 v12, v12, v13
	;; [unrolled: 1-line block ×3, first 2 shown]
	v_cvt_i32_f32_e32 v13, v12
	v_cvt_i32_f32_e32 v11, v9
	v_cvt_f32_i32_dpp v14, v14 row_shr:1 row_mask:0xf bank_mask:0xf bound_ctrl:1
	v_cvt_i32_f32_e32 v16, v8
	v_cvt_f32_i32_dpp v13, v13 row_shr:2 row_mask:0xf bank_mask:0xf bound_ctrl:1
	v_cvt_f32_i32_dpp v11, v11 row_shr:2 row_mask:0xf bank_mask:0xf bound_ctrl:1
	v_add_f32_e32 v10, v10, v14
	v_cvt_i32_f32_e32 v14, v10
	v_add_f32_e32 v12, v12, v13
	v_add_f32_e32 v9, v9, v11
	v_cvt_i32_f32_e32 v13, v12
	v_cvt_i32_f32_e32 v11, v9
	v_cvt_f32_i32_dpp v14, v14 row_bcast:15 row_mask:0xf bank_mask:0xf bound_ctrl:1
	v_mov_b32_dpp v2, v2 row_bcast:31 row_mask:0xf bank_mask:0xf bound_ctrl:1
	v_cvt_f32_i32_dpp v13, v13 row_shr:1 row_mask:0xf bank_mask:0xf bound_ctrl:1
	v_cvt_f32_i32_dpp v11, v11 row_shr:1 row_mask:0xf bank_mask:0xf bound_ctrl:1
	v_add_f32_e32 v12, v12, v13
	v_add_f32_e32 v11, v9, v11
	v_cvt_i32_f32_e32 v13, v12
	v_cvt_i32_f32_e32 v15, v11
	v_add_f32_e32 v9, v10, v14
	v_cvt_i32_f32_e32 v17, v9
	v_cvt_f32_i32_dpp v13, v13 row_bcast:15 row_mask:0xf bank_mask:0xf bound_ctrl:1
	v_cvt_f32_i32_dpp v14, v15 row_bcast:15 row_mask:0xf bank_mask:0xf bound_ctrl:1
	v_mov_b32_dpp v15, v16 row_bcast:31 row_mask:0xf bank_mask:0xf bound_ctrl:1
	v_add_f32_e32 v10, v12, v13
	v_add_f32_e32 v11, v11, v14
	v_cvt_i32_f32_e32 v12, v10
	v_cvt_i32_f32_e32 v18, v11
	v_mov_b32_dpp v14, v17 row_bcast:31 row_mask:0xf bank_mask:0xf bound_ctrl:1
	v_mov_b32_dpp v13, v12 row_bcast:31 row_mask:0xf bank_mask:0xf bound_ctrl:1
	;; [unrolled: 1-line block ×3, first 2 shown]
	s_and_saveexec_b64 s[20:21], s[0:1]
	s_cbranch_execz .LBB62_7
; %bb.14:                               ;   in Loop: Header=BB62_8 Depth=1
	s_and_b64 vcc, exec, s[18:19]
	s_cbranch_vccz .LBB62_16
; %bb.15:                               ;   in Loop: Header=BB62_8 Depth=1
	v_mul_hi_u32 v16, v24, v37
	v_mul_lo_u32 v16, v16, s8
	v_sub_u32_e32 v16, v24, v16
	v_subrev_u32_e32 v17, s8, v16
	v_cmp_le_u32_e32 vcc, s8, v16
	v_mov_b32_e32 v19, v27
	v_mov_b32_e32 v21, v27
	v_cndmask_b32_e32 v16, v16, v17, vcc
	v_subrev_u32_e32 v17, s8, v16
	v_cmp_le_u32_e32 vcc, s8, v16
	v_mov_b32_e32 v25, v27
	s_nop 0
	v_cndmask_b32_e32 v26, v16, v17, vcc
	v_or_b32_e32 v16, 1, v24
	v_mul_hi_u32 v17, v16, v37
	v_mul_lo_u32 v17, v17, s8
	v_sub_u32_e32 v16, v16, v17
	v_subrev_u32_e32 v17, s8, v16
	v_cmp_le_u32_e32 vcc, s8, v16
	v_lshl_add_u64 v[28:29], v[26:27], 1, s[10:11]
	v_add_u32_e32 v26, s9, v26
	v_cndmask_b32_e32 v16, v16, v17, vcc
	v_subrev_u32_e32 v17, s8, v16
	v_cmp_le_u32_e32 vcc, s8, v16
	v_lshl_add_u64 v[40:41], v[26:27], 1, s[10:11]
	s_nop 0
	v_cndmask_b32_e32 v16, v16, v17, vcc
	v_mov_b32_e32 v17, v27
	v_lshl_add_u64 v[30:31], v[16:17], 1, s[10:11]
	v_or_b32_e32 v17, 2, v24
	v_mul_hi_u32 v18, v17, v37
	v_mul_lo_u32 v18, v18, s8
	v_sub_u32_e32 v17, v17, v18
	v_subrev_u32_e32 v18, s8, v17
	v_cmp_le_u32_e32 vcc, s8, v17
	v_add_u32_e32 v26, s9, v16
	v_lshl_add_u64 v[42:43], v[26:27], 1, s[10:11]
	v_cndmask_b32_e32 v17, v17, v18, vcc
	v_subrev_u32_e32 v18, s8, v17
	v_cmp_le_u32_e32 vcc, s8, v17
	s_nop 1
	v_cndmask_b32_e32 v18, v17, v18, vcc
	v_or_b32_e32 v17, 3, v24
	v_lshl_add_u64 v[32:33], v[18:19], 1, s[10:11]
	v_mul_hi_u32 v19, v17, v37
	v_mul_lo_u32 v19, v19, s8
	v_sub_u32_e32 v17, v17, v19
	v_subrev_u32_e32 v19, s8, v17
	v_cmp_le_u32_e32 vcc, s8, v17
	v_add_u32_e32 v26, s9, v18
	v_lshl_add_u64 v[44:45], v[26:27], 1, s[10:11]
	v_cndmask_b32_e32 v17, v17, v19, vcc
	v_subrev_u32_e32 v19, s8, v17
	v_cmp_le_u32_e32 vcc, s8, v17
	s_nop 1
	v_cndmask_b32_e32 v20, v17, v19, vcc
	v_add_u32_e32 v26, s9, v20
	v_lshl_add_u64 v[34:35], v[20:21], 1, s[10:11]
	v_lshl_add_u64 v[46:47], v[26:27], 1, s[10:11]
	global_load_ushort v23, v[28:29], off
	global_load_ushort v22, v[30:31], off
	;; [unrolled: 1-line block ×8, first 2 shown]
	s_cbranch_execnz .LBB62_6
	s_branch .LBB62_17
.LBB62_16:                              ;   in Loop: Header=BB62_8 Depth=1
                                        ; implicit-def: $vgpr16
                                        ; implicit-def: $vgpr17
                                        ; implicit-def: $vgpr18
                                        ; implicit-def: $vgpr19
                                        ; implicit-def: $vgpr20
                                        ; implicit-def: $vgpr21
                                        ; implicit-def: $vgpr22
                                        ; implicit-def: $vgpr23
.LBB62_17:                              ;   in Loop: Header=BB62_8 Depth=1
	v_mov_b32_e32 v25, v27
	s_waitcnt vmcnt(7)
	v_mov_b32_e32 v23, 0
	s_waitcnt vmcnt(6)
	;; [unrolled: 2-line block ×8, first 2 shown]
	v_mov_b32_e32 v16, 0
	s_branch .LBB62_6
.LBB62_18:
	s_endpgm
	.section	.rodata,"a",@progbits
	.p2align	6, 0x0
	.amdhsa_kernel _Z16wvSplitK_hf_sml_I6__halfLi64ELi4ELi16ELi8ELi1ELi2EEviiiiiiPKT_S3_S3_PS1_ii
		.amdhsa_group_segment_fixed_size 65536
		.amdhsa_private_segment_fixed_size 0
		.amdhsa_kernarg_size 64
		.amdhsa_user_sgpr_count 2
		.amdhsa_user_sgpr_dispatch_ptr 0
		.amdhsa_user_sgpr_queue_ptr 0
		.amdhsa_user_sgpr_kernarg_segment_ptr 1
		.amdhsa_user_sgpr_dispatch_id 0
		.amdhsa_user_sgpr_kernarg_preload_length 0
		.amdhsa_user_sgpr_kernarg_preload_offset 0
		.amdhsa_user_sgpr_private_segment_size 0
		.amdhsa_uses_dynamic_stack 0
		.amdhsa_enable_private_segment 0
		.amdhsa_system_sgpr_workgroup_id_x 1
		.amdhsa_system_sgpr_workgroup_id_y 0
		.amdhsa_system_sgpr_workgroup_id_z 0
		.amdhsa_system_sgpr_workgroup_info 0
		.amdhsa_system_vgpr_workitem_id 1
		.amdhsa_next_free_vgpr 48
		.amdhsa_next_free_sgpr 27
		.amdhsa_accum_offset 48
		.amdhsa_reserve_vcc 1
		.amdhsa_float_round_mode_32 0
		.amdhsa_float_round_mode_16_64 0
		.amdhsa_float_denorm_mode_32 3
		.amdhsa_float_denorm_mode_16_64 3
		.amdhsa_dx10_clamp 1
		.amdhsa_ieee_mode 1
		.amdhsa_fp16_overflow 0
		.amdhsa_tg_split 0
		.amdhsa_exception_fp_ieee_invalid_op 0
		.amdhsa_exception_fp_denorm_src 0
		.amdhsa_exception_fp_ieee_div_zero 0
		.amdhsa_exception_fp_ieee_overflow 0
		.amdhsa_exception_fp_ieee_underflow 0
		.amdhsa_exception_fp_ieee_inexact 0
		.amdhsa_exception_int_div_zero 0
	.end_amdhsa_kernel
	.section	.text._Z16wvSplitK_hf_sml_I6__halfLi64ELi4ELi16ELi8ELi1ELi2EEviiiiiiPKT_S3_S3_PS1_ii,"axG",@progbits,_Z16wvSplitK_hf_sml_I6__halfLi64ELi4ELi16ELi8ELi1ELi2EEviiiiiiPKT_S3_S3_PS1_ii,comdat
.Lfunc_end62:
	.size	_Z16wvSplitK_hf_sml_I6__halfLi64ELi4ELi16ELi8ELi1ELi2EEviiiiiiPKT_S3_S3_PS1_ii, .Lfunc_end62-_Z16wvSplitK_hf_sml_I6__halfLi64ELi4ELi16ELi8ELi1ELi2EEviiiiiiPKT_S3_S3_PS1_ii
                                        ; -- End function
	.section	.AMDGPU.csdata,"",@progbits
; Kernel info:
; codeLenInByte = 2576
; NumSgprs: 33
; NumVgprs: 48
; NumAgprs: 0
; TotalNumVgprs: 48
; ScratchSize: 0
; MemoryBound: 0
; FloatMode: 240
; IeeeMode: 1
; LDSByteSize: 65536 bytes/workgroup (compile time only)
; SGPRBlocks: 4
; VGPRBlocks: 5
; NumSGPRsForWavesPerEU: 33
; NumVGPRsForWavesPerEU: 48
; AccumOffset: 48
; Occupancy: 4
; WaveLimiterHint : 0
; COMPUTE_PGM_RSRC2:SCRATCH_EN: 0
; COMPUTE_PGM_RSRC2:USER_SGPR: 2
; COMPUTE_PGM_RSRC2:TRAP_HANDLER: 0
; COMPUTE_PGM_RSRC2:TGID_X_EN: 1
; COMPUTE_PGM_RSRC2:TGID_Y_EN: 0
; COMPUTE_PGM_RSRC2:TGID_Z_EN: 0
; COMPUTE_PGM_RSRC2:TIDIG_COMP_CNT: 1
; COMPUTE_PGM_RSRC3_GFX90A:ACCUM_OFFSET: 11
; COMPUTE_PGM_RSRC3_GFX90A:TG_SPLIT: 0
	.section	.text._Z12wvSplitK_hf_I6__halfLi64ELi4ELi16ELi8ELi1ELi2EEviiiiiiPKT_S3_S3_PS1_ii,"axG",@progbits,_Z12wvSplitK_hf_I6__halfLi64ELi4ELi16ELi8ELi1ELi2EEviiiiiiPKT_S3_S3_PS1_ii,comdat
	.protected	_Z12wvSplitK_hf_I6__halfLi64ELi4ELi16ELi8ELi1ELi2EEviiiiiiPKT_S3_S3_PS1_ii ; -- Begin function _Z12wvSplitK_hf_I6__halfLi64ELi4ELi16ELi8ELi1ELi2EEviiiiiiPKT_S3_S3_PS1_ii
	.globl	_Z12wvSplitK_hf_I6__halfLi64ELi4ELi16ELi8ELi1ELi2EEviiiiiiPKT_S3_S3_PS1_ii
	.p2align	8
	.type	_Z12wvSplitK_hf_I6__halfLi64ELi4ELi16ELi8ELi1ELi2EEviiiiiiPKT_S3_S3_PS1_ii,@function
_Z12wvSplitK_hf_I6__halfLi64ELi4ELi16ELi8ELi1ELi2EEviiiiiiPKT_S3_S3_PS1_ii: ; @_Z12wvSplitK_hf_I6__halfLi64ELi4ELi16ELi8ELi1ELi2EEviiiiiiPKT_S3_S3_PS1_ii
; %bb.0:
	s_load_dwordx2 s[8:9], s[0:1], 0x38
	s_load_dwordx4 s[12:15], s[0:1], 0x0
	s_load_dwordx2 s[10:11], s[0:1], 0x10
	v_bfe_u32 v7, v0, 10, 10
	s_mov_b32 s4, 1
	s_waitcnt lgkmcnt(0)
	s_mul_i32 s2, s2, s8
	v_add_lshl_u32 v30, s2, v7, 2
	v_add_u32_e32 v1, 4, v30
	s_mov_b32 s5, s4
	v_cmp_gt_u32_e32 vcc, s15, v30
	v_cmp_le_u32_e64 s[2:3], s15, v1
	s_mov_b32 s6, s4
	s_mov_b32 s7, s4
	v_mov_b64_e32 v[2:3], s[4:5]
	s_and_b64 s[16:17], vcc, s[2:3]
	v_mov_b64_e32 v[4:5], s[6:7]
	s_and_saveexec_b64 s[2:3], s[16:17]
	s_cbranch_execz .LBB63_6
; %bb.1:
	s_add_i32 s22, s15, -4
	v_mov_b64_e32 v[2:3], s[4:5]
	v_cmp_ne_u32_e32 vcc, s22, v30
	v_mov_b64_e32 v[4:5], s[6:7]
	s_and_saveexec_b64 s[16:17], vcc
	s_cbranch_execz .LBB63_5
; %bb.2:
	v_subrev_u32_e32 v1, s22, v30
	v_cmp_lt_u32_e32 vcc, 1, v1
	s_mov_b64 s[18:19], 0
	s_mov_b64 s[20:21], 0
	v_cndmask_b32_e32 v6, 1, v1, vcc
	s_mov_b32 s5, s4
	s_mov_b32 s6, s4
	;; [unrolled: 1-line block ×3, first 2 shown]
.LBB63_3:                               ; =>This Inner Loop Header: Depth=1
	s_cmp_lg_u32 s20, 3
	s_cselect_b32 s7, s7, 0
	s_cmp_lg_u32 s20, 2
	s_cselect_b32 s6, s6, 0
	;; [unrolled: 2-line block ×4, first 2 shown]
	s_add_u32 s20, s20, 1
	s_addc_u32 s21, s21, 0
	v_cmp_eq_u32_e32 vcc, s20, v6
	v_mov_b64_e32 v[2:3], s[4:5]
	s_or_b64 s[18:19], vcc, s[18:19]
	v_mov_b64_e32 v[4:5], s[6:7]
	s_andn2_b64 exec, exec, s[18:19]
	s_cbranch_execnz .LBB63_3
; %bb.4:
	s_or_b64 exec, exec, s[18:19]
	v_mov_b32_e32 v30, s22
.LBB63_5:
	s_or_b64 exec, exec, s[16:17]
.LBB63_6:
	s_or_b64 exec, exec, s[2:3]
	s_load_dwordx4 s[16:19], s[0:1], 0x20
	v_and_b32_e32 v6, 0x3ff, v0
	v_lshlrev_b32_e32 v48, 3, v6
	s_lshl_b32 s33, s14, 1
	v_lshl_add_u32 v8, v7, 9, v48
	s_min_u32 s20, s33, 0x8000
	v_cmp_gt_u32_e32 vcc, s20, v8
	s_and_saveexec_b64 s[2:3], vcc
	s_cbranch_execz .LBB63_9
; %bb.7:
	v_mov_b32_e32 v11, 0
	v_lshlrev_b32_e32 v10, 10, v7
	v_lshlrev_b32_e32 v12, 4, v6
	v_mov_b32_e32 v13, v11
	v_lshl_add_u64 v[0:1], v[10:11], 0, v[12:13]
	s_waitcnt lgkmcnt(0)
	v_lshl_add_u64 v[0:1], s[16:17], 0, v[0:1]
	v_add_u32_e32 v9, v10, v12
	s_mov_b64 s[4:5], 0
	s_mov_b64 s[6:7], 0x4000
.LBB63_8:                               ; =>This Inner Loop Header: Depth=1
	global_load_dwordx4 v[10:13], v[0:1], off
	v_add_u32_e32 v8, 0x2000, v8
	v_cmp_le_u32_e32 vcc, s20, v8
	v_lshl_add_u64 v[0:1], v[0:1], 0, s[6:7]
	s_or_b64 s[4:5], vcc, s[4:5]
	s_waitcnt vmcnt(0)
	ds_write_b128 v9, v[10:13]
	v_add_u32_e32 v9, 0x4000, v9
	s_andn2_b64 exec, exec, s[4:5]
	s_cbranch_execnz .LBB63_8
.LBB63_9:
	s_or_b64 exec, exec, s[2:3]
	v_cmp_gt_u32_e32 vcc, s8, v7
	v_cmp_gt_u32_e64 s[2:3], s15, v30
	s_and_b64 s[2:3], vcc, s[2:3]
	s_waitcnt lgkmcnt(0)
	s_barrier
	s_and_saveexec_b64 s[4:5], s[2:3]
	s_cbranch_execz .LBB63_50
; %bb.10:
	v_cvt_f32_u32_e32 v0, s10
	s_cmp_lg_u32 s12, 0
	s_cselect_b64 s[2:3], -1, 0
	s_add_i32 s36, s12, -8
	v_rcp_iflag_f32_e32 v0, v0
	s_add_i32 s37, s15, -1
	s_mul_i32 s4, s8, s9
	s_cmp_lg_u64 s[18:19], 0
	v_mul_f32_e32 v0, 0x4f7ffffe, v0
	v_cvt_u32_f32_e32 v0, v0
	s_cselect_b64 s[26:27], -1, 0
	s_lshl_b32 s38, s4, 2
	s_sub_i32 s4, 0, s10
	v_mul_lo_u32 v1, s4, v0
	s_abs_i32 s4, s11
	s_add_i32 s39, s15, -4
	s_sub_i32 s5, 1, s4
	s_cmp_lt_u32 s4, 2
	s_load_dwordx2 s[20:21], s[0:1], 0x18
	s_load_dwordx2 s[22:23], s[0:1], 0x30
	s_cselect_b32 s5, s5, 1
	s_sub_i32 s6, s5, s4
	v_mul_hi_u32 v1, v0, v1
	s_cmp_ge_u32 s5, s4
	v_add_u32_e32 v49, v0, v1
	s_cselect_b32 s11, s6, s5
	v_cndmask_b32_e64 v0, 0, 1, s[2:3]
	v_cmp_eq_u32_e64 s[0:1], 63, v6
	s_mov_b64 s[24:25], 0
	v_mov_b32_e32 v1, 0
	s_mul_i32 s11, s11, s10
	v_lshlrev_b32_e32 v50, 4, v6
	v_add_u32_e32 v51, s14, v48
	v_cmp_ne_u32_e64 s[2:3], 1, v0
	s_movk_i32 s14, 0x7fff
	s_mov_b32 s28, 0
	s_branch .LBB63_13
.LBB63_11:                              ;   in Loop: Header=BB63_13 Depth=1
	s_or_b64 exec, exec, s[8:9]
	v_mov_b32_e32 v30, s39
.LBB63_12:                              ;   in Loop: Header=BB63_13 Depth=1
	s_or_b64 exec, exec, s[6:7]
	v_cmp_le_u32_e32 vcc, s15, v30
	s_or_b64 s[24:25], vcc, s[24:25]
	s_andn2_b64 exec, exec, s[24:25]
	s_cbranch_execz .LBB63_50
.LBB63_13:                              ; =>This Loop Header: Depth=1
                                        ;     Child Loop BB63_17 Depth 2
                                        ;     Child Loop BB63_41 Depth 2
	s_and_b64 vcc, exec, s[2:3]
	v_add_u32_e32 v36, 1, v30
	v_add_u32_e32 v34, 2, v30
	v_add_u32_e32 v32, 3, v30
	v_mov_b32_e32 v55, v1
	v_mov_b32_e32 v54, v1
	;; [unrolled: 1-line block ×8, first 2 shown]
	s_cbranch_vccnz .LBB63_26
; %bb.14:                               ;   in Loop: Header=BB63_13 Depth=1
	v_min_u32_e32 v0, s37, v30
	v_mul_lo_u32 v38, v0, s13
	v_min_u32_e32 v0, s37, v36
	v_mul_lo_u32 v40, v0, s13
	;; [unrolled: 2-line block ×3, first 2 shown]
	v_min_u32_e32 v0, s37, v32
	v_mov_b32_e32 v39, v1
	v_mov_b32_e32 v41, v1
	;; [unrolled: 1-line block ×3, first 2 shown]
	v_mul_lo_u32 v44, v0, s13
	v_mov_b32_e32 v45, v1
	v_mov_b32_e32 v37, 0
	;; [unrolled: 1-line block ×10, first 2 shown]
	s_mov_b32 s8, s28
	s_branch .LBB63_17
.LBB63_15:                              ;   in Loop: Header=BB63_17 Depth=2
	s_or_b64 exec, exec, s[6:7]
.LBB63_16:                              ;   in Loop: Header=BB63_17 Depth=2
	s_or_b64 exec, exec, s[4:5]
	s_waitcnt vmcnt(0) lgkmcnt(0)
	;;#ASMSTART
	v_dot2c_f32_f16 v55, v22, v18
	;;#ASMEND
	;;#ASMSTART
	v_dot2c_f32_f16 v54, v22, v14
	;;#ASMEND
	;; [unrolled: 3-line block ×8, first 2 shown]
	s_nop 0
	;;#ASMSTART
	v_dot2c_f32_f16 v55, v23, v19
	;;#ASMEND
	;;#ASMSTART
	v_dot2c_f32_f16 v54, v23, v15
	;;#ASMEND
	;; [unrolled: 3-line block ×8, first 2 shown]
	s_addk_i32 s8, 0x200
	;;#ASMSTART
	v_dot2c_f32_f16 v55, v24, v20
	;;#ASMEND
	;;#ASMSTART
	v_dot2c_f32_f16 v54, v24, v16
	;;#ASMEND
	;; [unrolled: 3-line block ×8, first 2 shown]
	s_cmp_ge_u32 s8, s12
	v_add_u32_e32 v56, 0x400, v56
	;;#ASMSTART
	v_dot2c_f32_f16 v55, v25, v21
	;;#ASMEND
	;;#ASMSTART
	v_dot2c_f32_f16 v54, v25, v17
	;;#ASMEND
	;;#ASMSTART
	v_dot2c_f32_f16 v53, v25, v13
	;;#ASMEND
	;;#ASMSTART
	v_dot2c_f32_f16 v52, v25, v9
	;;#ASMEND
	;;#ASMSTART
	v_dot2c_f32_f16 v37, v29, v21
	;;#ASMEND
	;;#ASMSTART
	v_dot2c_f32_f16 v35, v29, v17
	;;#ASMEND
	;;#ASMSTART
	v_dot2c_f32_f16 v33, v29, v13
	;;#ASMEND
	;;#ASMSTART
	v_dot2c_f32_f16 v31, v29, v9
	;;#ASMEND
	s_cbranch_scc1 .LBB63_26
.LBB63_17:                              ;   Parent Loop BB63_13 Depth=1
                                        ; =>  This Inner Loop Header: Depth=2
	v_add_u32_e32 v46, s8, v48
	v_min_u32_e32 v0, s36, v46
	s_waitcnt lgkmcnt(0)
	v_lshl_add_u64 v[6:7], v[0:1], 1, s[20:21]
	v_lshl_add_u64 v[8:9], v[38:39], 1, v[6:7]
	;; [unrolled: 1-line block ×3, first 2 shown]
	s_waitcnt vmcnt(0)
	v_lshl_add_u64 v[22:23], v[42:43], 1, v[6:7]
	global_load_dwordx4 v[18:21], v[8:9], off nt
	global_load_dwordx4 v[14:17], v[10:11], off nt
	v_lshl_add_u64 v[24:25], v[44:45], 1, v[6:7]
	global_load_dwordx4 v[10:13], v[22:23], off nt
	global_load_dwordx4 v[6:9], v[24:25], off nt
	s_mov_b32 s29, s28
	v_cmp_gt_u32_e32 vcc, s12, v46
	v_mov_b64_e32 v[24:25], s[28:29]
	v_mov_b32_e32 v29, 0
	v_mov_b32_e32 v28, 0
	;; [unrolled: 1-line block ×4, first 2 shown]
	v_mov_b64_e32 v[22:23], s[28:29]
	s_and_saveexec_b64 s[4:5], vcc
	s_cbranch_execz .LBB63_16
; %bb.18:                               ;   in Loop: Header=BB63_17 Depth=2
	v_cmp_lt_u32_e32 vcc, s14, v46
                                        ; implicit-def: $vgpr24_vgpr25
	s_and_saveexec_b64 s[6:7], vcc
	s_xor_b64 s[6:7], exec, s[6:7]
	s_cbranch_execz .LBB63_20
; %bb.19:                               ;   in Loop: Header=BB63_17 Depth=2
	v_mov_b32_e32 v47, v1
	v_lshl_add_u64 v[22:23], v[46:47], 1, s[16:17]
	global_load_dwordx4 v[22:25], v[22:23], off
.LBB63_20:                              ;   in Loop: Header=BB63_17 Depth=2
	s_andn2_saveexec_b64 s[6:7], s[6:7]
	s_cbranch_execz .LBB63_22
; %bb.21:                               ;   in Loop: Header=BB63_17 Depth=2
	s_waitcnt vmcnt(0)
	ds_read_b128 v[22:25], v56
.LBB63_22:                              ;   in Loop: Header=BB63_17 Depth=2
	s_or_b64 exec, exec, s[6:7]
	v_add_u32_e32 v0, s8, v51
	v_cmp_lt_u32_e32 vcc, s14, v0
                                        ; implicit-def: $vgpr29
	s_and_saveexec_b64 s[6:7], vcc
	s_xor_b64 s[6:7], exec, s[6:7]
	s_cbranch_execz .LBB63_24
; %bb.23:                               ;   in Loop: Header=BB63_17 Depth=2
	v_lshl_add_u64 v[26:27], v[0:1], 1, s[16:17]
	global_load_dwordx4 v[26:29], v[26:27], off
.LBB63_24:                              ;   in Loop: Header=BB63_17 Depth=2
	s_andn2_saveexec_b64 s[6:7], s[6:7]
	s_cbranch_execz .LBB63_15
; %bb.25:                               ;   in Loop: Header=BB63_17 Depth=2
	v_add_u32_e32 v0, s33, v56
	s_waitcnt vmcnt(0)
	ds_read_b128 v[26:29], v0
	s_branch .LBB63_15
.LBB63_26:                              ;   in Loop: Header=BB63_13 Depth=1
	v_cvt_i32_f32_e32 v0, v55
	v_cvt_i32_f32_e32 v6, v54
	;; [unrolled: 1-line block ×4, first 2 shown]
	v_cvt_f32_i32_dpp v0, v0 row_shr:8 row_mask:0xf bank_mask:0xf bound_ctrl:1
	v_cvt_f32_i32_dpp v6, v6 row_shr:8 row_mask:0xf bank_mask:0xf bound_ctrl:1
	;; [unrolled: 1-line block ×4, first 2 shown]
	v_add_f32_e32 v0, v55, v0
	v_cvt_i32_f32_e32 v9, v0
	v_add_f32_e32 v6, v54, v6
	v_cvt_i32_f32_e32 v10, v6
	v_add_f32_e32 v7, v53, v7
	v_cvt_f32_i32_dpp v9, v9 row_shr:4 row_mask:0xf bank_mask:0xf bound_ctrl:1
	v_cvt_i32_f32_e32 v11, v7
	v_cvt_f32_i32_dpp v10, v10 row_shr:4 row_mask:0xf bank_mask:0xf bound_ctrl:1
	v_add_f32_e32 v8, v52, v8
	v_add_f32_e32 v0, v0, v9
	v_cvt_i32_f32_e32 v9, v0
	v_add_f32_e32 v6, v6, v10
	v_cvt_i32_f32_e32 v10, v6
	v_cvt_f32_i32_dpp v11, v11 row_shr:4 row_mask:0xf bank_mask:0xf bound_ctrl:1
	v_cvt_f32_i32_dpp v9, v9 row_shr:2 row_mask:0xf bank_mask:0xf bound_ctrl:1
	v_cvt_i32_f32_e32 v12, v8
	v_cvt_f32_i32_dpp v10, v10 row_shr:2 row_mask:0xf bank_mask:0xf bound_ctrl:1
	v_add_f32_e32 v7, v7, v11
	v_add_f32_e32 v0, v0, v9
	v_cvt_i32_f32_e32 v9, v0
	v_cvt_i32_f32_e32 v11, v7
	v_add_f32_e32 v6, v6, v10
	v_cvt_i32_f32_e32 v10, v6
	v_cvt_f32_i32_dpp v9, v9 row_shr:1 row_mask:0xf bank_mask:0xf bound_ctrl:1
	v_cvt_f32_i32_dpp v12, v12 row_shr:4 row_mask:0xf bank_mask:0xf bound_ctrl:1
	;; [unrolled: 1-line block ×4, first 2 shown]
	v_add_f32_e32 v0, v0, v9
	v_cvt_i32_f32_e32 v9, v0
	v_add_f32_e32 v8, v8, v12
	v_add_f32_e32 v7, v7, v11
	v_cvt_i32_f32_e32 v12, v8
	v_cvt_f32_i32_dpp v9, v9 row_bcast:15 row_mask:0xf bank_mask:0xf bound_ctrl:1
	v_add_f32_e32 v6, v6, v10
	v_cvt_i32_f32_e32 v11, v7
	v_cvt_i32_f32_e32 v10, v6
	v_add_f32_e32 v9, v0, v9
	v_cvt_i32_f32_e32 v0, v9
	v_cvt_f32_i32_dpp v11, v11 row_shr:1 row_mask:0xf bank_mask:0xf bound_ctrl:1
	v_cvt_f32_i32_dpp v13, v12 row_shr:2 row_mask:0xf bank_mask:0xf bound_ctrl:1
	v_cvt_f32_i32_dpp v10, v10 row_bcast:15 row_mask:0xf bank_mask:0xf bound_ctrl:1
	v_mov_b32_dpp v12, v0 row_bcast:31 row_mask:0xf bank_mask:0xf bound_ctrl:1
	v_add_f32_e32 v0, v7, v11
	v_cvt_i32_f32_e32 v7, v37
	v_add_f32_e32 v8, v8, v13
	v_add_f32_e32 v6, v6, v10
	v_cvt_i32_f32_e32 v10, v8
	v_cvt_f32_i32_dpp v7, v7 row_shr:8 row_mask:0xf bank_mask:0xf bound_ctrl:1
	v_cvt_i32_f32_e32 v11, v0
	v_cvt_i32_f32_e32 v13, v6
	v_cvt_f32_i32_dpp v10, v10 row_shr:1 row_mask:0xf bank_mask:0xf bound_ctrl:1
	v_add_f32_e32 v15, v37, v7
	v_cvt_i32_f32_e32 v7, v15
	v_cvt_f32_i32_dpp v11, v11 row_bcast:15 row_mask:0xf bank_mask:0xf bound_ctrl:1
	v_add_f32_e32 v8, v8, v10
	v_cvt_i32_f32_e32 v10, v8
	v_mov_b32_dpp v14, v13 row_bcast:31 row_mask:0xf bank_mask:0xf bound_ctrl:1
	v_cvt_f32_i32_dpp v13, v7 row_shr:4 row_mask:0xf bank_mask:0xf bound_ctrl:1
	v_add_f32_e32 v7, v0, v11
	v_cvt_f32_i32_dpp v0, v10 row_bcast:15 row_mask:0xf bank_mask:0xf bound_ctrl:1
	v_cvt_i32_f32_e32 v10, v35
	v_add_f32_e32 v11, v15, v13
	v_cvt_i32_f32_e32 v13, v11
	v_add_f32_e32 v8, v8, v0
	v_cvt_f32_i32_dpp v10, v10 row_shr:8 row_mask:0xf bank_mask:0xf bound_ctrl:1
	v_cvt_i32_f32_e32 v15, v7
	v_cvt_f32_i32_dpp v0, v13 row_shr:2 row_mask:0xf bank_mask:0xf bound_ctrl:1
	v_cvt_i32_f32_e32 v13, v8
	v_add_f32_e32 v10, v35, v10
	v_cvt_i32_f32_e32 v17, v10
	v_add_f32_e32 v0, v11, v0
	v_cvt_i32_f32_e32 v18, v0
	v_mov_b32_dpp v16, v15 row_bcast:31 row_mask:0xf bank_mask:0xf bound_ctrl:1
	v_cvt_f32_i32_dpp v15, v17 row_shr:4 row_mask:0xf bank_mask:0xf bound_ctrl:1
	v_mov_b32_dpp v11, v13 row_bcast:31 row_mask:0xf bank_mask:0xf bound_ctrl:1
	v_cvt_f32_i32_dpp v13, v18 row_shr:1 row_mask:0xf bank_mask:0xf bound_ctrl:1
	v_cvt_i32_f32_e32 v17, v33
	v_add_f32_e32 v10, v10, v15
	v_cvt_i32_f32_e32 v15, v31
	v_add_f32_e32 v0, v0, v13
	v_cvt_f32_i32_dpp v17, v17 row_shr:8 row_mask:0xf bank_mask:0xf bound_ctrl:1
	v_cvt_i32_f32_e32 v18, v10
	v_cvt_f32_i32_dpp v13, v15 row_shr:8 row_mask:0xf bank_mask:0xf bound_ctrl:1
	v_cvt_i32_f32_e32 v20, v0
	v_add_f32_e32 v17, v33, v17
	v_cvt_f32_i32_dpp v15, v18 row_shr:2 row_mask:0xf bank_mask:0xf bound_ctrl:1
	v_add_f32_e32 v13, v31, v13
	v_cvt_i32_f32_e32 v18, v17
	v_cvt_i32_f32_e32 v19, v13
	v_add_f32_e32 v10, v10, v15
	v_cvt_f32_i32_dpp v20, v20 row_bcast:15 row_mask:0xf bank_mask:0xf bound_ctrl:1
	v_cvt_f32_i32_dpp v18, v18 row_shr:4 row_mask:0xf bank_mask:0xf bound_ctrl:1
	v_cvt_f32_i32_dpp v15, v19 row_shr:4 row_mask:0xf bank_mask:0xf bound_ctrl:1
	v_cvt_i32_f32_e32 v19, v10
	v_add_f32_e32 v17, v17, v18
	v_add_f32_e32 v13, v13, v15
	v_cvt_i32_f32_e32 v18, v17
	v_cvt_i32_f32_e32 v15, v13
	v_cvt_f32_i32_dpp v19, v19 row_shr:1 row_mask:0xf bank_mask:0xf bound_ctrl:1
	v_cvt_f32_i32_dpp v18, v18 row_shr:2 row_mask:0xf bank_mask:0xf bound_ctrl:1
	v_cvt_f32_i32_dpp v15, v15 row_shr:2 row_mask:0xf bank_mask:0xf bound_ctrl:1
	v_add_f32_e32 v10, v10, v19
	v_add_f32_e32 v19, v0, v20
	;; [unrolled: 1-line block ×4, first 2 shown]
	v_cvt_i32_f32_e32 v18, v17
	v_cvt_i32_f32_e32 v15, v13
	;; [unrolled: 1-line block ×4, first 2 shown]
	v_cvt_f32_i32_dpp v18, v18 row_shr:1 row_mask:0xf bank_mask:0xf bound_ctrl:1
	v_cvt_f32_i32_dpp v0, v15 row_shr:1 row_mask:0xf bank_mask:0xf bound_ctrl:1
	v_cvt_f32_i32_dpp v15, v21 row_bcast:15 row_mask:0xf bank_mask:0xf bound_ctrl:1
	v_add_f32_e32 v17, v17, v18
	v_add_f32_e32 v0, v13, v0
	v_cvt_i32_f32_e32 v18, v17
	v_cvt_i32_f32_e32 v13, v0
	s_nop 0
	v_cvt_f32_i32_dpp v21, v18 row_bcast:15 row_mask:0xf bank_mask:0xf bound_ctrl:1
	v_add_f32_e32 v18, v10, v15
	v_cvt_f32_i32_dpp v10, v13 row_bcast:15 row_mask:0xf bank_mask:0xf bound_ctrl:1
	v_cvt_i32_f32_e32 v13, v18
	v_add_f32_e32 v15, v17, v21
	v_cvt_i32_f32_e32 v17, v15
	v_add_f32_e32 v10, v0, v10
	v_cvt_i32_f32_e32 v0, v10
	v_mov_b32_dpp v21, v20 row_bcast:31 row_mask:0xf bank_mask:0xf bound_ctrl:1
	v_mov_b32_dpp v20, v13 row_bcast:31 row_mask:0xf bank_mask:0xf bound_ctrl:1
	;; [unrolled: 1-line block ×4, first 2 shown]
	s_and_saveexec_b64 s[30:31], s[0:1]
	s_cbranch_execz .LBB63_38
; %bb.27:                               ;   in Loop: Header=BB63_13 Depth=1
	s_andn2_b64 vcc, exec, s[26:27]
	v_mov_b32_e32 v28, 0
	v_mov_b32_e32 v27, 0
	v_mov_b32_e32 v26, 0
	v_mov_b32_e32 v0, 0
	s_waitcnt vmcnt(3)
	v_mov_b32_e32 v25, 0
	s_waitcnt vmcnt(2)
	v_mov_b32_e32 v24, 0
	;; [unrolled: 2-line block ×4, first 2 shown]
	s_cbranch_vccnz .LBB63_29
; %bb.28:                               ;   in Loop: Header=BB63_13 Depth=1
	v_mul_hi_u32 v0, v30, v49
	v_mul_lo_u32 v0, v0, s10
	v_sub_u32_e32 v0, v30, v0
	v_subrev_u32_e32 v22, s10, v0
	v_cmp_le_u32_e32 vcc, s10, v0
	v_mov_b32_e32 v25, v1
	v_mov_b32_e32 v27, v1
	v_cndmask_b32_e32 v0, v0, v22, vcc
	v_subrev_u32_e32 v22, s10, v0
	v_cmp_le_u32_e32 vcc, s10, v0
	s_nop 1
	v_cndmask_b32_e32 v0, v0, v22, vcc
	v_mul_hi_u32 v22, v36, v49
	v_mul_lo_u32 v22, v22, s10
	v_sub_u32_e32 v22, v36, v22
	v_subrev_u32_e32 v23, s10, v22
	v_cmp_le_u32_e32 vcc, s10, v22
	v_lshl_add_u64 v[38:39], v[0:1], 1, s[18:19]
	v_add_u32_e32 v0, s11, v0
	v_cndmask_b32_e32 v22, v22, v23, vcc
	v_subrev_u32_e32 v23, s10, v22
	v_cmp_le_u32_e32 vcc, s10, v22
	v_lshl_add_u64 v[46:47], v[0:1], 1, s[18:19]
	s_nop 0
	v_cndmask_b32_e32 v22, v22, v23, vcc
	v_mov_b32_e32 v23, v1
	v_lshl_add_u64 v[40:41], v[22:23], 1, s[18:19]
	v_mul_hi_u32 v23, v34, v49
	v_mul_lo_u32 v23, v23, s10
	v_sub_u32_e32 v23, v34, v23
	v_subrev_u32_e32 v24, s10, v23
	v_cmp_le_u32_e32 vcc, s10, v23
	v_add_u32_e32 v0, s11, v22
	v_lshl_add_u64 v[52:53], v[0:1], 1, s[18:19]
	v_cndmask_b32_e32 v23, v23, v24, vcc
	v_subrev_u32_e32 v24, s10, v23
	v_cmp_le_u32_e32 vcc, s10, v23
	s_nop 1
	v_cndmask_b32_e32 v24, v23, v24, vcc
	v_mul_hi_u32 v23, v32, v49
	v_mul_lo_u32 v23, v23, s10
	v_sub_u32_e32 v23, v32, v23
	v_lshl_add_u64 v[42:43], v[24:25], 1, s[18:19]
	v_subrev_u32_e32 v25, s10, v23
	v_cmp_le_u32_e32 vcc, s10, v23
	v_add_u32_e32 v0, s11, v24
	v_lshl_add_u64 v[54:55], v[0:1], 1, s[18:19]
	v_cndmask_b32_e32 v23, v23, v25, vcc
	v_subrev_u32_e32 v25, s10, v23
	v_cmp_le_u32_e32 vcc, s10, v23
	s_nop 1
	v_cndmask_b32_e32 v26, v23, v25, vcc
	v_add_u32_e32 v0, s11, v26
	v_lshl_add_u64 v[44:45], v[26:27], 1, s[18:19]
	v_lshl_add_u64 v[56:57], v[0:1], 1, s[18:19]
	global_load_ushort v28, v[38:39], off
	global_load_ushort v27, v[40:41], off
	;; [unrolled: 1-line block ×8, first 2 shown]
.LBB63_29:                              ;   in Loop: Header=BB63_13 Depth=1
	v_cmp_ne_u32_e32 vcc, 0, v2
	s_and_saveexec_b64 s[4:5], vcc
	s_cbranch_execnz .LBB63_43
; %bb.30:                               ;   in Loop: Header=BB63_13 Depth=1
	s_or_b64 exec, exec, s[4:5]
	v_cmp_ne_u32_e64 s[4:5], 0, v3
	s_and_saveexec_b64 s[6:7], s[4:5]
	s_cbranch_execnz .LBB63_44
.LBB63_31:                              ;   in Loop: Header=BB63_13 Depth=1
	s_or_b64 exec, exec, s[6:7]
	v_cmp_ne_u32_e64 s[6:7], 0, v4
	s_and_saveexec_b64 s[8:9], s[6:7]
	s_cbranch_execnz .LBB63_45
.LBB63_32:                              ;   in Loop: Header=BB63_13 Depth=1
	s_or_b64 exec, exec, s[8:9]
	v_cmp_ne_u32_e64 s[8:9], 0, v5
	s_and_saveexec_b64 s[34:35], s[8:9]
	s_cbranch_execnz .LBB63_46
.LBB63_33:                              ;   in Loop: Header=BB63_13 Depth=1
	s_or_b64 exec, exec, s[34:35]
	s_waitcnt vmcnt(4)
	v_add_u32_e32 v0, s15, v30
	s_and_saveexec_b64 s[34:35], vcc
	s_cbranch_execnz .LBB63_47
.LBB63_34:                              ;   in Loop: Header=BB63_13 Depth=1
	s_or_b64 exec, exec, s[34:35]
	s_and_saveexec_b64 s[34:35], s[4:5]
	s_cbranch_execnz .LBB63_48
.LBB63_35:                              ;   in Loop: Header=BB63_13 Depth=1
	s_or_b64 exec, exec, s[34:35]
	s_and_saveexec_b64 s[4:5], s[6:7]
	s_cbranch_execnz .LBB63_49
.LBB63_36:                              ;   in Loop: Header=BB63_13 Depth=1
	s_or_b64 exec, exec, s[4:5]
	s_and_b64 exec, exec, s[8:9]
	s_cbranch_execz .LBB63_38
.LBB63_37:                              ;   in Loop: Header=BB63_13 Depth=1
	v_cvt_f32_i32_e32 v6, v13
	s_waitcnt vmcnt(0)
	v_cvt_f32_f16_e32 v7, v22
	v_add_u32_e32 v0, 3, v0
	v_add_f32_e32 v6, v10, v6
	v_add_f32_e32 v6, v6, v7
	v_cvt_f16_f32_e32 v8, v6
	s_waitcnt lgkmcnt(0)
	v_lshl_add_u64 v[6:7], v[0:1], 1, s[22:23]
	global_store_short v[6:7], v8, off
.LBB63_38:                              ;   in Loop: Header=BB63_13 Depth=1
	s_or_b64 exec, exec, s[30:31]
	v_add_u32_e32 v30, s38, v30
	v_add_u32_e32 v0, 4, v30
	v_cmp_gt_u32_e32 vcc, s15, v30
	v_cmp_le_u32_e64 s[4:5], s15, v0
	s_and_b64 s[4:5], vcc, s[4:5]
	s_and_saveexec_b64 s[6:7], s[4:5]
	s_cbranch_execz .LBB63_12
; %bb.39:                               ;   in Loop: Header=BB63_13 Depth=1
	v_cmp_ne_u32_e32 vcc, s39, v30
	s_and_saveexec_b64 s[8:9], vcc
	s_cbranch_execz .LBB63_11
; %bb.40:                               ;   in Loop: Header=BB63_13 Depth=1
	v_subrev_u32_e32 v0, s39, v30
	v_cmp_lt_u32_e32 vcc, 1, v0
	s_mov_b64 s[30:31], 0
	s_mov_b64 s[34:35], 0
	v_cndmask_b32_e32 v0, 1, v0, vcc
.LBB63_41:                              ;   Parent Loop BB63_13 Depth=1
                                        ; =>  This Inner Loop Header: Depth=2
	s_cmp_lg_u32 s34, 3
	s_cselect_b64 vcc, -1, 0
	s_cmp_lg_u32 s34, 2
	v_cndmask_b32_e32 v5, 0, v5, vcc
	s_cselect_b64 vcc, -1, 0
	s_cmp_lg_u32 s34, 1
	v_cndmask_b32_e32 v4, 0, v4, vcc
	;; [unrolled: 3-line block ×3, first 2 shown]
	s_cselect_b64 vcc, -1, 0
	s_add_u32 s34, s34, 1
	s_addc_u32 s35, s35, 0
	v_cmp_eq_u32_e64 s[4:5], s34, v0
	s_or_b64 s[30:31], s[4:5], s[30:31]
	v_cndmask_b32_e32 v2, 0, v2, vcc
	s_andn2_b64 exec, exec, s[30:31]
	s_cbranch_execnz .LBB63_41
; %bb.42:                               ;   in Loop: Header=BB63_13 Depth=1
	s_or_b64 exec, exec, s[30:31]
	s_branch .LBB63_11
.LBB63_43:                              ;   in Loop: Header=BB63_13 Depth=1
	v_cvt_f32_i32_e32 v12, v12
	s_waitcnt vmcnt(7)
	v_cvt_f32_f16_e32 v28, v28
	v_mov_b32_e32 v31, v1
	v_add_f32_e32 v9, v9, v12
	v_add_f32_e32 v9, v9, v28
	v_cvt_f16_f32_e32 v9, v9
	s_waitcnt lgkmcnt(0)
	v_lshl_add_u64 v[28:29], v[30:31], 1, s[22:23]
	global_store_short v[28:29], v9, off
	s_or_b64 exec, exec, s[4:5]
	v_cmp_ne_u32_e64 s[4:5], 0, v3
	s_and_saveexec_b64 s[6:7], s[4:5]
	s_cbranch_execz .LBB63_31
.LBB63_44:                              ;   in Loop: Header=BB63_13 Depth=1
	v_cvt_f32_i32_e32 v9, v14
	s_waitcnt vmcnt(6)
	v_cvt_f32_f16_e32 v12, v27
	v_mov_b32_e32 v37, v1
	s_waitcnt lgkmcnt(0)
	v_lshl_add_u64 v[28:29], v[36:37], 1, s[22:23]
	v_add_f32_e32 v6, v6, v9
	v_add_f32_e32 v6, v6, v12
	v_cvt_f16_f32_e32 v6, v6
	global_store_short v[28:29], v6, off
	s_or_b64 exec, exec, s[6:7]
	v_cmp_ne_u32_e64 s[6:7], 0, v4
	s_and_saveexec_b64 s[8:9], s[6:7]
	s_cbranch_execz .LBB63_32
.LBB63_45:                              ;   in Loop: Header=BB63_13 Depth=1
	v_cvt_f32_i32_e32 v6, v16
	s_waitcnt vmcnt(5)
	v_cvt_f32_f16_e32 v9, v26
	v_mov_b32_e32 v35, v1
	v_add_f32_e32 v6, v7, v6
	v_add_f32_e32 v6, v6, v9
	v_cvt_f16_f32_e32 v9, v6
	s_waitcnt lgkmcnt(0)
	v_lshl_add_u64 v[6:7], v[34:35], 1, s[22:23]
	global_store_short v[6:7], v9, off
	s_or_b64 exec, exec, s[8:9]
	v_cmp_ne_u32_e64 s[8:9], 0, v5
	s_and_saveexec_b64 s[34:35], s[8:9]
	s_cbranch_execz .LBB63_33
.LBB63_46:                              ;   in Loop: Header=BB63_13 Depth=1
	v_cvt_f32_i32_e32 v6, v11
	s_waitcnt vmcnt(4)
	v_cvt_f32_f16_e32 v0, v0
	v_mov_b32_e32 v33, v1
	v_add_f32_e32 v6, v8, v6
	v_add_f32_e32 v0, v6, v0
	v_cvt_f16_f32_e32 v0, v0
	s_waitcnt lgkmcnt(0)
	v_lshl_add_u64 v[6:7], v[32:33], 1, s[22:23]
	global_store_short v[6:7], v0, off
	s_or_b64 exec, exec, s[34:35]
	v_add_u32_e32 v0, s15, v30
	s_and_saveexec_b64 s[34:35], vcc
	s_cbranch_execz .LBB63_34
.LBB63_47:                              ;   in Loop: Header=BB63_13 Depth=1
	v_cvt_f32_i32_e32 v6, v21
	s_waitcnt vmcnt(3)
	v_cvt_f32_f16_e32 v7, v25
	v_add_f32_e32 v6, v19, v6
	v_add_f32_e32 v6, v6, v7
	v_cvt_f16_f32_e32 v8, v6
	s_waitcnt lgkmcnt(0)
	v_lshl_add_u64 v[6:7], v[0:1], 1, s[22:23]
	global_store_short v[6:7], v8, off
	s_or_b64 exec, exec, s[34:35]
	s_and_saveexec_b64 s[34:35], s[4:5]
	s_cbranch_execz .LBB63_35
.LBB63_48:                              ;   in Loop: Header=BB63_13 Depth=1
	v_cvt_f32_i32_e32 v6, v20
	s_waitcnt vmcnt(2)
	v_cvt_f32_f16_e32 v7, v24
	v_add_f32_e32 v6, v18, v6
	v_add_f32_e32 v6, v6, v7
	v_cvt_f16_f32_e32 v8, v6
	v_add_u32_e32 v6, 1, v0
	v_mov_b32_e32 v7, v1
	s_waitcnt lgkmcnt(0)
	v_lshl_add_u64 v[6:7], v[6:7], 1, s[22:23]
	global_store_short v[6:7], v8, off
	s_or_b64 exec, exec, s[34:35]
	s_and_saveexec_b64 s[4:5], s[6:7]
	s_cbranch_execz .LBB63_36
.LBB63_49:                              ;   in Loop: Header=BB63_13 Depth=1
	v_cvt_f32_i32_e32 v6, v17
	s_waitcnt vmcnt(1)
	v_cvt_f32_f16_e32 v7, v23
	v_add_f32_e32 v6, v15, v6
	v_add_f32_e32 v6, v6, v7
	v_cvt_f16_f32_e32 v8, v6
	v_add_u32_e32 v6, 2, v0
	v_mov_b32_e32 v7, v1
	s_waitcnt lgkmcnt(0)
	v_lshl_add_u64 v[6:7], v[6:7], 1, s[22:23]
	global_store_short v[6:7], v8, off
	s_or_b64 exec, exec, s[4:5]
	s_and_b64 exec, exec, s[8:9]
	s_cbranch_execnz .LBB63_37
	s_branch .LBB63_38
.LBB63_50:
	s_endpgm
	.section	.rodata,"a",@progbits
	.p2align	6, 0x0
	.amdhsa_kernel _Z12wvSplitK_hf_I6__halfLi64ELi4ELi16ELi8ELi1ELi2EEviiiiiiPKT_S3_S3_PS1_ii
		.amdhsa_group_segment_fixed_size 65536
		.amdhsa_private_segment_fixed_size 0
		.amdhsa_kernarg_size 64
		.amdhsa_user_sgpr_count 2
		.amdhsa_user_sgpr_dispatch_ptr 0
		.amdhsa_user_sgpr_queue_ptr 0
		.amdhsa_user_sgpr_kernarg_segment_ptr 1
		.amdhsa_user_sgpr_dispatch_id 0
		.amdhsa_user_sgpr_kernarg_preload_length 0
		.amdhsa_user_sgpr_kernarg_preload_offset 0
		.amdhsa_user_sgpr_private_segment_size 0
		.amdhsa_uses_dynamic_stack 0
		.amdhsa_enable_private_segment 0
		.amdhsa_system_sgpr_workgroup_id_x 1
		.amdhsa_system_sgpr_workgroup_id_y 0
		.amdhsa_system_sgpr_workgroup_id_z 0
		.amdhsa_system_sgpr_workgroup_info 0
		.amdhsa_system_vgpr_workitem_id 1
		.amdhsa_next_free_vgpr 58
		.amdhsa_next_free_sgpr 40
		.amdhsa_accum_offset 60
		.amdhsa_reserve_vcc 1
		.amdhsa_float_round_mode_32 0
		.amdhsa_float_round_mode_16_64 0
		.amdhsa_float_denorm_mode_32 3
		.amdhsa_float_denorm_mode_16_64 3
		.amdhsa_dx10_clamp 1
		.amdhsa_ieee_mode 1
		.amdhsa_fp16_overflow 0
		.amdhsa_tg_split 0
		.amdhsa_exception_fp_ieee_invalid_op 0
		.amdhsa_exception_fp_denorm_src 0
		.amdhsa_exception_fp_ieee_div_zero 0
		.amdhsa_exception_fp_ieee_overflow 0
		.amdhsa_exception_fp_ieee_underflow 0
		.amdhsa_exception_fp_ieee_inexact 0
		.amdhsa_exception_int_div_zero 0
	.end_amdhsa_kernel
	.section	.text._Z12wvSplitK_hf_I6__halfLi64ELi4ELi16ELi8ELi1ELi2EEviiiiiiPKT_S3_S3_PS1_ii,"axG",@progbits,_Z12wvSplitK_hf_I6__halfLi64ELi4ELi16ELi8ELi1ELi2EEviiiiiiPKT_S3_S3_PS1_ii,comdat
.Lfunc_end63:
	.size	_Z12wvSplitK_hf_I6__halfLi64ELi4ELi16ELi8ELi1ELi2EEviiiiiiPKT_S3_S3_PS1_ii, .Lfunc_end63-_Z12wvSplitK_hf_I6__halfLi64ELi4ELi16ELi8ELi1ELi2EEviiiiiiPKT_S3_S3_PS1_ii
                                        ; -- End function
	.section	.AMDGPU.csdata,"",@progbits
; Kernel info:
; codeLenInByte = 3288
; NumSgprs: 46
; NumVgprs: 58
; NumAgprs: 0
; TotalNumVgprs: 58
; ScratchSize: 0
; MemoryBound: 1
; FloatMode: 240
; IeeeMode: 1
; LDSByteSize: 65536 bytes/workgroup (compile time only)
; SGPRBlocks: 5
; VGPRBlocks: 7
; NumSGPRsForWavesPerEU: 46
; NumVGPRsForWavesPerEU: 58
; AccumOffset: 60
; Occupancy: 4
; WaveLimiterHint : 0
; COMPUTE_PGM_RSRC2:SCRATCH_EN: 0
; COMPUTE_PGM_RSRC2:USER_SGPR: 2
; COMPUTE_PGM_RSRC2:TRAP_HANDLER: 0
; COMPUTE_PGM_RSRC2:TGID_X_EN: 1
; COMPUTE_PGM_RSRC2:TGID_Y_EN: 0
; COMPUTE_PGM_RSRC2:TGID_Z_EN: 0
; COMPUTE_PGM_RSRC2:TIDIG_COMP_CNT: 1
; COMPUTE_PGM_RSRC3_GFX90A:ACCUM_OFFSET: 14
; COMPUTE_PGM_RSRC3_GFX90A:TG_SPLIT: 0
	.section	.text._Z16wvSplitK_hf_big_I6__halfLi64ELi4ELi16ELi8ELi1ELi2EEviiiiiiPKT_S3_S3_PS1_ii,"axG",@progbits,_Z16wvSplitK_hf_big_I6__halfLi64ELi4ELi16ELi8ELi1ELi2EEviiiiiiPKT_S3_S3_PS1_ii,comdat
	.protected	_Z16wvSplitK_hf_big_I6__halfLi64ELi4ELi16ELi8ELi1ELi2EEviiiiiiPKT_S3_S3_PS1_ii ; -- Begin function _Z16wvSplitK_hf_big_I6__halfLi64ELi4ELi16ELi8ELi1ELi2EEviiiiiiPKT_S3_S3_PS1_ii
	.globl	_Z16wvSplitK_hf_big_I6__halfLi64ELi4ELi16ELi8ELi1ELi2EEviiiiiiPKT_S3_S3_PS1_ii
	.p2align	8
	.type	_Z16wvSplitK_hf_big_I6__halfLi64ELi4ELi16ELi8ELi1ELi2EEviiiiiiPKT_S3_S3_PS1_ii,@function
_Z16wvSplitK_hf_big_I6__halfLi64ELi4ELi16ELi8ELi1ELi2EEviiiiiiPKT_S3_S3_PS1_ii: ; @_Z16wvSplitK_hf_big_I6__halfLi64ELi4ELi16ELi8ELi1ELi2EEviiiiiiPKT_S3_S3_PS1_ii
; %bb.0:
	s_load_dwordx2 s[8:9], s[0:1], 0x38
	v_bfe_u32 v7, v0, 10, 10
	s_waitcnt lgkmcnt(0)
	v_cmp_gt_u32_e32 vcc, s8, v7
	s_and_saveexec_b64 s[4:5], vcc
	s_cbranch_execz .LBB64_54
; %bb.1:
	s_load_dwordx4 s[20:23], s[0:1], 0x0
	s_mul_i32 s2, s2, s8
	v_add_lshl_u32 v30, s2, v7, 2
	s_mov_b32 s4, 1
	v_add_u32_e32 v1, 4, v30
	s_mov_b32 s5, s4
	s_waitcnt lgkmcnt(0)
	v_cmp_gt_u32_e32 vcc, s23, v30
	v_cmp_le_u32_e64 s[2:3], s23, v1
	s_mov_b32 s6, s4
	s_mov_b32 s7, s4
	v_mov_b64_e32 v[2:3], s[4:5]
	s_and_b64 s[10:11], vcc, s[2:3]
	v_mov_b64_e32 v[4:5], s[6:7]
	s_and_saveexec_b64 s[2:3], s[10:11]
	s_cbranch_execz .LBB64_7
; %bb.2:
	s_add_i32 s16, s23, -4
	v_mov_b64_e32 v[2:3], s[4:5]
	v_cmp_ne_u32_e32 vcc, s16, v30
	v_mov_b64_e32 v[4:5], s[6:7]
	s_and_saveexec_b64 s[10:11], vcc
	s_cbranch_execz .LBB64_6
; %bb.3:
	v_subrev_u32_e32 v1, s16, v30
	v_cmp_lt_u32_e32 vcc, 1, v1
	s_mov_b64 s[12:13], 0
	s_mov_b64 s[14:15], 0
	v_cndmask_b32_e32 v6, 1, v1, vcc
	s_mov_b32 s5, s4
	s_mov_b32 s6, s4
	;; [unrolled: 1-line block ×3, first 2 shown]
.LBB64_4:                               ; =>This Inner Loop Header: Depth=1
	s_cmp_lg_u32 s14, 3
	s_cselect_b32 s7, s7, 0
	s_cmp_lg_u32 s14, 2
	s_cselect_b32 s6, s6, 0
	;; [unrolled: 2-line block ×4, first 2 shown]
	s_add_u32 s14, s14, 1
	s_addc_u32 s15, s15, 0
	v_cmp_eq_u32_e32 vcc, s14, v6
	v_mov_b64_e32 v[2:3], s[4:5]
	s_or_b64 s[12:13], vcc, s[12:13]
	v_mov_b64_e32 v[4:5], s[6:7]
	s_andn2_b64 exec, exec, s[12:13]
	s_cbranch_execnz .LBB64_4
; %bb.5:
	s_or_b64 exec, exec, s[12:13]
	v_mov_b32_e32 v30, s16
.LBB64_6:
	s_or_b64 exec, exec, s[10:11]
.LBB64_7:
	s_or_b64 exec, exec, s[2:3]
	s_lshl_b32 s2, s8, 2
	s_abs_i32 s3, s2
	v_cvt_f32_u32_e32 v1, s3
	s_sub_i32 s6, 0, s3
	s_abs_i32 s5, s23
	s_ashr_i32 s4, s23, 31
	v_rcp_iflag_f32_e32 v1, v1
	s_nop 0
	v_mul_f32_e32 v1, 0x4f7ffffe, v1
	v_cvt_u32_f32_e32 v1, v1
	s_nop 0
	v_readfirstlane_b32 s7, v1
	s_mul_i32 s6, s6, s7
	s_mul_hi_u32 s6, s7, s6
	s_add_i32 s7, s7, s6
	s_mul_hi_u32 s6, s5, s7
	s_mul_i32 s6, s6, s3
	s_sub_i32 s5, s5, s6
	s_sub_i32 s6, s5, s3
	s_cmp_ge_u32 s5, s3
	s_cselect_b32 s5, s6, s5
	s_sub_i32 s6, s5, s3
	s_cmp_ge_u32 s5, s3
	s_cselect_b32 s3, s6, s5
	s_xor_b32 s3, s3, s4
	s_sub_i32 s3, s3, s4
	s_add_i32 s2, s2, s23
	s_sub_i32 s2, s2, s3
	s_cmp_eq_u32 s3, 0
	s_cselect_b32 s33, s23, s2
	v_cmp_gt_u32_e32 vcc, s33, v30
	s_and_b64 exec, exec, vcc
	s_cbranch_execz .LBB64_54
; %bb.8:
	s_load_dwordx8 s[12:19], s[0:1], 0x10
	s_min_u32 s40, s22, 0x4000
	s_cmp_lg_u32 s20, 0
	s_load_dwordx2 s[24:25], s[0:1], 0x30
	s_cselect_b64 s[2:3], -1, 0
	s_waitcnt lgkmcnt(0)
	v_cvt_f32_u32_e32 v1, s12
	s_cmp_lg_u32 s22, 0
	s_mul_i32 s0, s9, s8
	s_cselect_b64 s[4:5], -1, 0
	v_rcp_iflag_f32_e32 v1, v1
	s_lshl_b32 s41, s8, 9
	s_add_i32 s42, s20, -8
	s_add_i32 s43, s23, -1
	v_mul_f32_e32 v1, 0x4f7ffffe, v1
	v_cvt_u32_f32_e32 v1, v1
	s_lshl_b32 s44, s0, 2
	s_cmp_lg_u64 s[18:19], 0
	s_cselect_b64 s[28:29], -1, 0
	s_sub_i32 s6, 0, s12
	v_mul_lo_u32 v6, s6, v1
	s_abs_i32 s6, s13
	s_add_i32 s45, s23, -4
	s_sub_i32 s7, 1, s6
	s_cmp_lt_u32 s6, 2
	v_and_b32_e32 v0, 0x3ff, v0
	s_cselect_b32 s7, s7, 1
	v_lshlrev_b32_e32 v40, 3, v0
	v_cmp_eq_u32_e64 s[0:1], 63, v0
	s_sub_i32 s9, s7, s6
	v_lshlrev_b32_e32 v0, 4, v0
	s_cmp_ge_u32 s7, s6
	v_lshl_add_u32 v42, v7, 10, v0
	v_cndmask_b32_e64 v0, 0, 1, s[2:3]
	v_mul_hi_u32 v6, v1, v6
	s_cselect_b32 s13, s9, s7
	s_add_u32 s30, s24, 2
	v_lshl_add_u32 v43, v7, 9, v40
	v_cmp_ne_u32_e64 s[2:3], 1, v0
	v_cndmask_b32_e64 v0, 0, 1, s[4:5]
	s_mov_b64 s[26:27], 0
	v_add_u32_e32 v41, v1, v6
	v_mov_b32_e32 v1, 0
	s_mul_i32 s13, s13, s12
	s_addc_u32 s31, s25, 0
	s_lshl_b32 s46, s40, 1
	s_lshl_b32 s47, s8, 10
	v_add_u32_e32 v44, s22, v43
	v_cmp_ne_u32_e64 s[4:5], 1, v0
	s_branch .LBB64_12
.LBB64_9:                               ;   in Loop: Header=BB64_12 Depth=1
	s_or_b64 exec, exec, s[10:11]
	v_mov_b32_e32 v30, s45
.LBB64_10:                              ;   in Loop: Header=BB64_12 Depth=1
	s_or_b64 exec, exec, s[8:9]
.LBB64_11:                              ;   in Loop: Header=BB64_12 Depth=1
	s_or_b64 exec, exec, s[34:35]
	v_cmp_le_u32_e32 vcc, s33, v30
	s_or_b64 s[26:27], vcc, s[26:27]
	s_andn2_b64 exec, exec, s[26:27]
	s_cbranch_execz .LBB64_54
.LBB64_12:                              ; =>This Loop Header: Depth=1
                                        ;     Child Loop BB64_16 Depth 2
                                        ;       Child Loop BB64_21 Depth 3
                                        ;     Child Loop BB64_45 Depth 2
	s_mov_b32 s36, 0
	s_and_b64 vcc, exec, s[2:3]
	v_mov_b32_e32 v51, v1
	v_mov_b32_e32 v50, v1
	;; [unrolled: 1-line block ×8, first 2 shown]
	s_cbranch_vccnz .LBB64_27
; %bb.13:                               ;   in Loop: Header=BB64_12 Depth=1
	v_min_u32_e32 v0, s43, v30
	v_mul_lo_u32 v32, v0, s21
	v_add_u32_e32 v0, 1, v30
	v_min_u32_e32 v0, s43, v0
	v_mul_lo_u32 v34, v0, s21
	v_add_u32_e32 v0, 2, v30
	;; [unrolled: 3-line block ×3, first 2 shown]
	v_min_u32_e32 v0, s43, v0
	v_cmp_gt_u32_e64 s[6:7], s23, v30
	v_mov_b32_e32 v33, v1
	v_mov_b32_e32 v35, v1
	;; [unrolled: 1-line block ×3, first 2 shown]
	v_mul_lo_u32 v38, v0, s21
	v_mov_b32_e32 v39, v1
	v_mov_b32_e32 v47, 0
	;; [unrolled: 1-line block ×9, first 2 shown]
	s_mov_b32 s37, 0
	s_branch .LBB64_16
.LBB64_14:                              ;   in Loop: Header=BB64_16 Depth=2
	s_or_b64 exec, exec, s[10:11]
	s_waitcnt vmcnt(3) lgkmcnt(1)
	;;#ASMSTART
	v_dot2c_f32_f16 v51, v26, v22
	;;#ASMEND
	s_waitcnt vmcnt(2)
	;;#ASMSTART
	v_dot2c_f32_f16 v50, v26, v18
	;;#ASMEND
	s_waitcnt vmcnt(1)
	;; [unrolled: 4-line block ×3, first 2 shown]
	;;#ASMSTART
	v_dot2c_f32_f16 v48, v26, v6
	;;#ASMEND
	s_waitcnt lgkmcnt(0)
	;;#ASMSTART
	v_dot2c_f32_f16 v47, v14, v22
	;;#ASMEND
	;;#ASMSTART
	v_dot2c_f32_f16 v46, v14, v18
	;;#ASMEND
	;;#ASMSTART
	v_dot2c_f32_f16 v45, v14, v10
	;;#ASMEND
	;;#ASMSTART
	v_dot2c_f32_f16 v31, v14, v6
	;;#ASMEND
	;;#ASMSTART
	v_dot2c_f32_f16 v51, v27, v23
	;;#ASMEND
	;;#ASMSTART
	v_dot2c_f32_f16 v50, v27, v19
	;;#ASMEND
	;;#ASMSTART
	v_dot2c_f32_f16 v49, v27, v11
	;;#ASMEND
	;;#ASMSTART
	v_dot2c_f32_f16 v48, v27, v7
	;;#ASMEND
	s_nop 0
	;;#ASMSTART
	v_dot2c_f32_f16 v47, v15, v23
	;;#ASMEND
	;;#ASMSTART
	v_dot2c_f32_f16 v46, v15, v19
	;;#ASMEND
	;;#ASMSTART
	v_dot2c_f32_f16 v45, v15, v11
	;;#ASMEND
	;;#ASMSTART
	v_dot2c_f32_f16 v31, v15, v7
	;;#ASMEND
	;;#ASMSTART
	v_dot2c_f32_f16 v51, v28, v24
	;;#ASMEND
	;;#ASMSTART
	v_dot2c_f32_f16 v50, v28, v20
	;;#ASMEND
	;;#ASMSTART
	v_dot2c_f32_f16 v49, v28, v12
	;;#ASMEND
	;;#ASMSTART
	v_dot2c_f32_f16 v48, v28, v8
	;;#ASMEND
	s_nop 0
	;; [unrolled: 25-line block ×3, first 2 shown]
	;;#ASMSTART
	v_dot2c_f32_f16 v47, v17, v25
	;;#ASMEND
	;;#ASMSTART
	v_dot2c_f32_f16 v46, v17, v21
	;;#ASMEND
	;; [unrolled: 3-line block ×4, first 2 shown]
.LBB64_15:                              ;   in Loop: Header=BB64_16 Depth=2
	s_or_b64 exec, exec, s[8:9]
	s_addk_i32 s37, 0x200
	s_cmp_ge_u32 s37, s20
	s_cbranch_scc1 .LBB64_27
.LBB64_16:                              ;   Parent Loop BB64_12 Depth=1
                                        ; =>  This Loop Header: Depth=2
                                        ;       Child Loop BB64_21 Depth 3
	s_cmp_eq_u32 s37, 0
	s_cselect_b64 s[8:9], -1, 0
	s_add_i32 s10, s36, s40
	s_cmp_eq_u32 s37, s10
	s_cselect_b64 s[34:35], -1, 0
	s_or_b64 s[34:35], s[8:9], s[34:35]
	s_andn2_b64 vcc, exec, s[34:35]
	s_cbranch_vccz .LBB64_18
; %bb.17:                               ;   in Loop: Header=BB64_16 Depth=2
	s_and_saveexec_b64 s[8:9], s[6:7]
	s_cbranch_execz .LBB64_15
	s_branch .LBB64_25
.LBB64_18:                              ;   in Loop: Header=BB64_16 Depth=2
	s_and_b64 s[8:9], s[8:9], exec
	s_cselect_b32 s36, s36, s10
	s_and_b64 vcc, exec, s[4:5]
	s_barrier
	s_cbranch_vccnz .LBB64_24
; %bb.19:                               ;   in Loop: Header=BB64_16 Depth=2
	v_add_u32_e32 v6, s36, v44
	v_add_u32_e32 v7, s36, v43
	s_mov_b32 s38, 0
	s_mov_b64 s[10:11], 0
	v_mov_b32_e32 v8, v42
                                        ; implicit-def: $sgpr34_sgpr35
	s_branch .LBB64_21
.LBB64_20:                              ;   in Loop: Header=BB64_21 Depth=3
	s_or_b64 exec, exec, s[8:9]
	s_and_b64 s[8:9], exec, s[34:35]
	s_or_b64 s[10:11], s[8:9], s[10:11]
	s_andn2_b64 exec, exec, s[10:11]
	s_cbranch_execz .LBB64_23
.LBB64_21:                              ;   Parent Loop BB64_12 Depth=1
                                        ;     Parent Loop BB64_16 Depth=2
                                        ; =>    This Inner Loop Header: Depth=3
	v_add_u32_e32 v9, s38, v43
	v_add_u32_e32 v0, s38, v7
	v_cmp_gt_u32_e32 vcc, s22, v0
	v_cmp_gt_u32_e64 s[8:9], s40, v9
	s_and_b64 s[48:49], s[8:9], vcc
	s_or_b64 s[34:35], s[34:35], exec
	s_and_saveexec_b64 s[8:9], s[48:49]
	s_cbranch_execz .LBB64_20
; %bb.22:                               ;   in Loop: Header=BB64_21 Depth=3
	v_lshl_add_u64 v[10:11], v[0:1], 1, s[16:17]
	v_add_u32_e32 v0, s38, v6
	global_load_dwordx4 v[10:13], v[10:11], off
	v_lshl_add_u64 v[14:15], v[0:1], 1, s[16:17]
	global_load_dwordx4 v[14:17], v[14:15], off
	s_add_i32 s38, s38, s41
	s_cmp_ge_u32 s38, s40
	s_cselect_b64 s[48:49], -1, 0
	s_andn2_b64 s[34:35], s[34:35], exec
	s_and_b64 s[48:49], s[48:49], exec
	v_add_u32_e32 v0, s46, v8
	s_or_b64 s[34:35], s[34:35], s[48:49]
	s_waitcnt vmcnt(1)
	ds_write_b128 v8, v[10:13]
	v_add_u32_e32 v8, s47, v8
	s_waitcnt vmcnt(0)
	ds_write2_b64 v0, v[14:15], v[16:17] offset1:1
	s_branch .LBB64_20
.LBB64_23:                              ;   in Loop: Header=BB64_16 Depth=2
	s_or_b64 exec, exec, s[10:11]
.LBB64_24:                              ;   in Loop: Header=BB64_16 Depth=2
	s_waitcnt lgkmcnt(0)
	s_barrier
	s_and_saveexec_b64 s[8:9], s[6:7]
	s_cbranch_execz .LBB64_15
.LBB64_25:                              ;   in Loop: Header=BB64_16 Depth=2
	v_add_u32_e32 v52, s37, v40
	v_min_u32_e32 v0, s42, v52
	v_lshl_add_u64 v[6:7], v[0:1], 1, s[14:15]
	v_lshl_add_u64 v[8:9], v[32:33], 1, v[6:7]
	;; [unrolled: 1-line block ×4, first 2 shown]
	global_load_dwordx4 v[22:25], v[8:9], off nt
	global_load_dwordx4 v[18:21], v[10:11], off nt
	v_lshl_add_u64 v[16:17], v[38:39], 1, v[6:7]
	global_load_dwordx4 v[10:13], v[14:15], off nt
	global_load_dwordx4 v[6:9], v[16:17], off nt
	v_cmp_gt_u32_e32 vcc, s20, v52
	s_waitcnt vmcnt(6)
	v_mov_b32_e32 v26, 0
	v_mov_b32_e32 v27, 0
	;; [unrolled: 1-line block ×8, first 2 shown]
	s_and_saveexec_b64 s[10:11], vcc
	s_cbranch_execz .LBB64_14
; %bb.26:                               ;   in Loop: Header=BB64_16 Depth=2
	v_subrev_u32_e32 v0, s36, v52
	v_lshlrev_b32_e32 v0, 1, v0
	v_lshl_add_u32 v14, s40, 1, v0
	ds_read_b128 v[26:29], v0
	ds_read_b128 v[14:17], v14
	s_branch .LBB64_14
.LBB64_27:                              ;   in Loop: Header=BB64_12 Depth=1
	v_cmp_le_u32_e32 vcc, s23, v30
	s_and_saveexec_b64 s[6:7], vcc
	s_xor_b64 s[6:7], exec, s[6:7]
; %bb.28:                               ;   in Loop: Header=BB64_12 Depth=1
	v_add_u32_e32 v30, s44, v30
                                        ; implicit-def: $vgpr51
                                        ; implicit-def: $vgpr50
                                        ; implicit-def: $vgpr49
                                        ; implicit-def: $vgpr48
                                        ; implicit-def: $vgpr31
                                        ; implicit-def: $vgpr45
                                        ; implicit-def: $vgpr46
                                        ; implicit-def: $vgpr47
; %bb.29:                               ;   in Loop: Header=BB64_12 Depth=1
	s_andn2_saveexec_b64 s[34:35], s[6:7]
	s_cbranch_execz .LBB64_11
; %bb.30:                               ;   in Loop: Header=BB64_12 Depth=1
	v_cvt_i32_f32_e32 v0, v51
	v_cvt_i32_f32_e32 v6, v50
	;; [unrolled: 1-line block ×4, first 2 shown]
	v_cvt_f32_i32_dpp v0, v0 row_shr:8 row_mask:0xf bank_mask:0xf bound_ctrl:1
	v_cvt_f32_i32_dpp v6, v6 row_shr:8 row_mask:0xf bank_mask:0xf bound_ctrl:1
	;; [unrolled: 1-line block ×4, first 2 shown]
	v_add_f32_e32 v0, v51, v0
	v_cvt_i32_f32_e32 v9, v0
	v_add_f32_e32 v6, v50, v6
	v_cvt_i32_f32_e32 v10, v6
	v_add_f32_e32 v7, v49, v7
	v_cvt_f32_i32_dpp v9, v9 row_shr:4 row_mask:0xf bank_mask:0xf bound_ctrl:1
	v_cvt_i32_f32_e32 v11, v7
	v_cvt_f32_i32_dpp v10, v10 row_shr:4 row_mask:0xf bank_mask:0xf bound_ctrl:1
	v_add_f32_e32 v8, v48, v8
	v_add_f32_e32 v0, v0, v9
	v_cvt_i32_f32_e32 v9, v0
	v_add_f32_e32 v6, v6, v10
	v_cvt_i32_f32_e32 v10, v6
	v_cvt_f32_i32_dpp v11, v11 row_shr:4 row_mask:0xf bank_mask:0xf bound_ctrl:1
	v_cvt_f32_i32_dpp v9, v9 row_shr:2 row_mask:0xf bank_mask:0xf bound_ctrl:1
	v_cvt_i32_f32_e32 v12, v8
	v_cvt_f32_i32_dpp v10, v10 row_shr:2 row_mask:0xf bank_mask:0xf bound_ctrl:1
	v_add_f32_e32 v7, v7, v11
	v_add_f32_e32 v0, v0, v9
	v_cvt_i32_f32_e32 v9, v0
	v_add_f32_e32 v6, v6, v10
	v_cvt_i32_f32_e32 v10, v6
	v_cvt_i32_f32_e32 v11, v7
	v_cvt_f32_i32_dpp v9, v9 row_shr:1 row_mask:0xf bank_mask:0xf bound_ctrl:1
	v_cvt_f32_i32_dpp v12, v12 row_shr:4 row_mask:0xf bank_mask:0xf bound_ctrl:1
	;; [unrolled: 1-line block ×4, first 2 shown]
	v_add_f32_e32 v0, v0, v9
	v_cvt_i32_f32_e32 v9, v0
	v_add_f32_e32 v6, v6, v10
	v_add_f32_e32 v13, v7, v11
	;; [unrolled: 1-line block ×3, first 2 shown]
	v_cvt_f32_i32_dpp v7, v9 row_bcast:15 row_mask:0xf bank_mask:0xf bound_ctrl:1
	v_cvt_i32_f32_e32 v9, v6
	v_cvt_i32_f32_e32 v12, v8
	;; [unrolled: 1-line block ×3, first 2 shown]
	v_add_f32_e32 v11, v0, v7
	v_cvt_f32_i32_dpp v7, v9 row_bcast:15 row_mask:0xf bank_mask:0xf bound_ctrl:1
	v_cvt_i32_f32_e32 v0, v11
	v_cvt_f32_i32_dpp v9, v10 row_shr:1 row_mask:0xf bank_mask:0xf bound_ctrl:1
	v_cvt_f32_i32_dpp v10, v12 row_shr:2 row_mask:0xf bank_mask:0xf bound_ctrl:1
	v_add_f32_e32 v7, v6, v7
	v_cvt_i32_f32_e32 v6, v47
	v_mov_b32_dpp v14, v0 row_bcast:31 row_mask:0xf bank_mask:0xf bound_ctrl:1
	v_add_f32_e32 v8, v8, v10
	v_add_f32_e32 v0, v13, v9
	v_cvt_f32_i32_dpp v6, v6 row_shr:8 row_mask:0xf bank_mask:0xf bound_ctrl:1
	v_cvt_i32_f32_e32 v9, v8
	v_cvt_i32_f32_e32 v10, v0
	;; [unrolled: 1-line block ×3, first 2 shown]
	v_add_f32_e32 v6, v47, v6
	v_cvt_f32_i32_dpp v9, v9 row_shr:1 row_mask:0xf bank_mask:0xf bound_ctrl:1
	v_cvt_i32_f32_e32 v13, v6
	v_cvt_f32_i32_dpp v10, v10 row_bcast:15 row_mask:0xf bank_mask:0xf bound_ctrl:1
	v_mov_b32_dpp v16, v12 row_bcast:31 row_mask:0xf bank_mask:0xf bound_ctrl:1
	v_add_f32_e32 v8, v8, v9
	v_cvt_f32_i32_dpp v12, v13 row_shr:4 row_mask:0xf bank_mask:0xf bound_ctrl:1
	v_cvt_i32_f32_e32 v15, v8
	v_add_f32_e32 v9, v0, v10
	v_cvt_i32_f32_e32 v10, v46
	v_add_f32_e32 v6, v6, v12
	v_cvt_f32_i32_dpp v0, v15 row_bcast:15 row_mask:0xf bank_mask:0xf bound_ctrl:1
	v_cvt_i32_f32_e32 v12, v6
	v_cvt_f32_i32_dpp v15, v10 row_shr:8 row_mask:0xf bank_mask:0xf bound_ctrl:1
	v_cvt_i32_f32_e32 v13, v9
	v_add_f32_e32 v10, v8, v0
	v_cvt_f32_i32_dpp v0, v12 row_shr:2 row_mask:0xf bank_mask:0xf bound_ctrl:1
	v_add_f32_e32 v12, v46, v15
	v_cvt_i32_f32_e32 v15, v12
	v_cvt_i32_f32_e32 v8, v10
	v_add_f32_e32 v0, v6, v0
	v_cvt_i32_f32_e32 v6, v0
	v_cvt_f32_i32_dpp v15, v15 row_shr:4 row_mask:0xf bank_mask:0xf bound_ctrl:1
	v_mov_b32_dpp v18, v13 row_bcast:31 row_mask:0xf bank_mask:0xf bound_ctrl:1
	v_mov_b32_dpp v13, v8 row_bcast:31 row_mask:0xf bank_mask:0xf bound_ctrl:1
	v_cvt_f32_i32_dpp v6, v6 row_shr:1 row_mask:0xf bank_mask:0xf bound_ctrl:1
	v_cvt_i32_f32_e32 v8, v45
	v_add_f32_e32 v12, v12, v15
	v_cvt_i32_f32_e32 v15, v31
	v_add_f32_e32 v0, v0, v6
	v_cvt_f32_i32_dpp v8, v8 row_shr:8 row_mask:0xf bank_mask:0xf bound_ctrl:1
	v_cvt_i32_f32_e32 v17, v12
	v_cvt_f32_i32_dpp v6, v15 row_shr:8 row_mask:0xf bank_mask:0xf bound_ctrl:1
	v_cvt_i32_f32_e32 v20, v0
	v_add_f32_e32 v8, v45, v8
	v_cvt_f32_i32_dpp v15, v17 row_shr:2 row_mask:0xf bank_mask:0xf bound_ctrl:1
	v_add_f32_e32 v6, v31, v6
	v_cvt_i32_f32_e32 v17, v8
	v_cvt_i32_f32_e32 v19, v6
	v_add_f32_e32 v12, v12, v15
	v_cvt_f32_i32_dpp v20, v20 row_bcast:15 row_mask:0xf bank_mask:0xf bound_ctrl:1
	v_cvt_f32_i32_dpp v17, v17 row_shr:4 row_mask:0xf bank_mask:0xf bound_ctrl:1
	v_cvt_f32_i32_dpp v15, v19 row_shr:4 row_mask:0xf bank_mask:0xf bound_ctrl:1
	v_cvt_i32_f32_e32 v19, v12
	v_add_f32_e32 v21, v0, v20
	v_add_f32_e32 v8, v8, v17
	;; [unrolled: 1-line block ×3, first 2 shown]
	v_cvt_i32_f32_e32 v17, v8
	v_cvt_i32_f32_e32 v15, v6
	v_cvt_f32_i32_dpp v19, v19 row_shr:1 row_mask:0xf bank_mask:0xf bound_ctrl:1
	v_cvt_f32_i32_dpp v17, v17 row_shr:2 row_mask:0xf bank_mask:0xf bound_ctrl:1
	;; [unrolled: 1-line block ×3, first 2 shown]
	v_add_f32_e32 v12, v12, v19
	v_cvt_i32_f32_e32 v19, v12
	v_add_f32_e32 v8, v8, v17
	v_add_f32_e32 v6, v6, v15
	v_cvt_i32_f32_e32 v17, v8
	v_cvt_i32_f32_e32 v15, v6
	s_nop 0
	v_cvt_f32_i32_dpp v17, v17 row_shr:1 row_mask:0xf bank_mask:0xf bound_ctrl:1
	v_cvt_f32_i32_dpp v0, v15 row_shr:1 row_mask:0xf bank_mask:0xf bound_ctrl:1
	v_cvt_f32_i32_dpp v15, v19 row_bcast:15 row_mask:0xf bank_mask:0xf bound_ctrl:1
	v_cvt_i32_f32_e32 v19, v21
	v_add_f32_e32 v8, v8, v17
	v_add_f32_e32 v0, v6, v0
	v_cvt_i32_f32_e32 v17, v8
	v_cvt_i32_f32_e32 v6, v0
	v_add_f32_e32 v20, v12, v15
	v_cvt_i32_f32_e32 v15, v20
	v_cvt_f32_i32_dpp v17, v17 row_bcast:15 row_mask:0xf bank_mask:0xf bound_ctrl:1
	v_cvt_f32_i32_dpp v6, v6 row_bcast:15 row_mask:0xf bank_mask:0xf bound_ctrl:1
	v_mov_b32_dpp v23, v19 row_bcast:31 row_mask:0xf bank_mask:0xf bound_ctrl:1
	v_mov_b32_dpp v22, v15 row_bcast:31 row_mask:0xf bank_mask:0xf bound_ctrl:1
	v_add_f32_e32 v17, v8, v17
	v_add_f32_e32 v12, v0, v6
	v_cvt_i32_f32_e32 v8, v17
	v_cvt_i32_f32_e32 v0, v12
	s_nop 0
	v_mov_b32_dpp v19, v8 row_bcast:31 row_mask:0xf bank_mask:0xf bound_ctrl:1
	v_mov_b32_dpp v15, v0 row_bcast:31 row_mask:0xf bank_mask:0xf bound_ctrl:1
	s_and_saveexec_b64 s[36:37], s[0:1]
	s_cbranch_execz .LBB64_42
; %bb.31:                               ;   in Loop: Header=BB64_12 Depth=1
	s_andn2_b64 vcc, exec, s[28:29]
	v_mov_b32_e32 v31, 0
	v_add_u32_e32 v8, 2, v30
	v_add_u32_e32 v6, 3, v30
	v_mov_b32_e32 v29, 0
	v_mov_b32_e32 v28, 0
	v_mov_b32_e32 v0, 0
	s_waitcnt vmcnt(3)
	v_mov_b32_e32 v27, 0
	s_waitcnt vmcnt(2)
	v_mov_b32_e32 v26, 0
	;; [unrolled: 2-line block ×4, first 2 shown]
	s_cbranch_vccnz .LBB64_33
; %bb.32:                               ;   in Loop: Header=BB64_12 Depth=1
	v_mul_hi_u32 v0, v30, v41
	v_mul_lo_u32 v0, v0, s12
	v_sub_u32_e32 v0, v30, v0
	v_subrev_u32_e32 v24, s12, v0
	v_cmp_le_u32_e32 vcc, s12, v0
	v_mov_b32_e32 v27, v1
	v_mov_b32_e32 v29, v1
	v_cndmask_b32_e32 v0, v0, v24, vcc
	v_subrev_u32_e32 v24, s12, v0
	v_cmp_le_u32_e32 vcc, s12, v0
	s_nop 1
	v_cndmask_b32_e32 v0, v0, v24, vcc
	v_add_u32_e32 v24, 1, v30
	v_mul_hi_u32 v25, v24, v41
	v_mul_lo_u32 v25, v25, s12
	v_sub_u32_e32 v24, v24, v25
	v_subrev_u32_e32 v25, s12, v24
	v_cmp_le_u32_e32 vcc, s12, v24
	v_lshl_add_u64 v[32:33], v[0:1], 1, s[18:19]
	v_add_u32_e32 v0, s13, v0
	v_cndmask_b32_e32 v24, v24, v25, vcc
	v_subrev_u32_e32 v25, s12, v24
	v_cmp_le_u32_e32 vcc, s12, v24
	v_lshl_add_u64 v[46:47], v[0:1], 1, s[18:19]
	s_nop 0
	v_cndmask_b32_e32 v24, v24, v25, vcc
	v_mov_b32_e32 v25, v1
	v_lshl_add_u64 v[34:35], v[24:25], 1, s[18:19]
	v_mul_hi_u32 v25, v8, v41
	v_mul_lo_u32 v25, v25, s12
	v_sub_u32_e32 v25, v8, v25
	v_subrev_u32_e32 v26, s12, v25
	v_cmp_le_u32_e32 vcc, s12, v25
	v_add_u32_e32 v0, s13, v24
	v_lshl_add_u64 v[48:49], v[0:1], 1, s[18:19]
	v_cndmask_b32_e32 v25, v25, v26, vcc
	v_subrev_u32_e32 v26, s12, v25
	v_cmp_le_u32_e32 vcc, s12, v25
	s_nop 1
	v_cndmask_b32_e32 v26, v25, v26, vcc
	v_mul_hi_u32 v25, v6, v41
	v_mul_lo_u32 v25, v25, s12
	v_sub_u32_e32 v25, v6, v25
	v_lshl_add_u64 v[36:37], v[26:27], 1, s[18:19]
	v_subrev_u32_e32 v27, s12, v25
	v_cmp_le_u32_e32 vcc, s12, v25
	v_add_u32_e32 v0, s13, v26
	v_lshl_add_u64 v[50:51], v[0:1], 1, s[18:19]
	v_cndmask_b32_e32 v25, v25, v27, vcc
	v_subrev_u32_e32 v27, s12, v25
	v_cmp_le_u32_e32 vcc, s12, v25
	s_nop 1
	v_cndmask_b32_e32 v28, v25, v27, vcc
	v_add_u32_e32 v0, s13, v28
	v_lshl_add_u64 v[38:39], v[28:29], 1, s[18:19]
	v_lshl_add_u64 v[52:53], v[0:1], 1, s[18:19]
	global_load_ushort v31, v[32:33], off
	global_load_ushort v29, v[34:35], off
	;; [unrolled: 1-line block ×8, first 2 shown]
.LBB64_33:                              ;   in Loop: Header=BB64_12 Depth=1
	v_cmp_ne_u32_e32 vcc, 0, v2
	s_and_saveexec_b64 s[6:7], vcc
	s_cbranch_execnz .LBB64_47
; %bb.34:                               ;   in Loop: Header=BB64_12 Depth=1
	s_or_b64 exec, exec, s[6:7]
	v_cmp_ne_u32_e64 s[6:7], 0, v3
	s_and_saveexec_b64 s[8:9], s[6:7]
	s_cbranch_execnz .LBB64_48
.LBB64_35:                              ;   in Loop: Header=BB64_12 Depth=1
	s_or_b64 exec, exec, s[8:9]
	v_cmp_ne_u32_e64 s[8:9], 0, v4
	s_and_saveexec_b64 s[10:11], s[8:9]
	s_cbranch_execnz .LBB64_49
.LBB64_36:                              ;   in Loop: Header=BB64_12 Depth=1
	s_or_b64 exec, exec, s[10:11]
	v_cmp_ne_u32_e64 s[10:11], 0, v5
	s_and_saveexec_b64 s[38:39], s[10:11]
	s_cbranch_execnz .LBB64_50
.LBB64_37:                              ;   in Loop: Header=BB64_12 Depth=1
	s_or_b64 exec, exec, s[38:39]
	s_waitcnt vmcnt(4)
	v_add_u32_e32 v0, s23, v30
	s_and_saveexec_b64 s[38:39], vcc
	s_cbranch_execnz .LBB64_51
.LBB64_38:                              ;   in Loop: Header=BB64_12 Depth=1
	s_or_b64 exec, exec, s[38:39]
	s_and_saveexec_b64 s[38:39], s[6:7]
	s_cbranch_execnz .LBB64_52
.LBB64_39:                              ;   in Loop: Header=BB64_12 Depth=1
	s_or_b64 exec, exec, s[38:39]
	s_and_saveexec_b64 s[6:7], s[8:9]
	s_cbranch_execnz .LBB64_53
.LBB64_40:                              ;   in Loop: Header=BB64_12 Depth=1
	s_or_b64 exec, exec, s[6:7]
	s_and_b64 exec, exec, s[10:11]
	s_cbranch_execz .LBB64_42
.LBB64_41:                              ;   in Loop: Header=BB64_12 Depth=1
	v_cvt_f32_i32_e32 v6, v15
	s_waitcnt vmcnt(0)
	v_cvt_f32_f16_e32 v7, v24
	v_add_u32_e32 v0, 3, v0
	v_add_f32_e32 v6, v12, v6
	v_add_f32_e32 v6, v6, v7
	v_cvt_f16_f32_e32 v8, v6
	v_lshl_add_u64 v[6:7], v[0:1], 1, s[24:25]
	global_store_short v[6:7], v8, off
.LBB64_42:                              ;   in Loop: Header=BB64_12 Depth=1
	s_or_b64 exec, exec, s[36:37]
	v_add_u32_e32 v30, s44, v30
	v_add_u32_e32 v0, 4, v30
	v_cmp_gt_u32_e32 vcc, s23, v30
	v_cmp_le_u32_e64 s[6:7], s23, v0
	s_and_b64 s[6:7], vcc, s[6:7]
	s_and_saveexec_b64 s[8:9], s[6:7]
	s_cbranch_execz .LBB64_10
; %bb.43:                               ;   in Loop: Header=BB64_12 Depth=1
	v_cmp_ne_u32_e32 vcc, s45, v30
	s_and_saveexec_b64 s[10:11], vcc
	s_cbranch_execz .LBB64_9
; %bb.44:                               ;   in Loop: Header=BB64_12 Depth=1
	v_subrev_u32_e32 v0, s45, v30
	v_cmp_lt_u32_e32 vcc, 1, v0
	s_mov_b64 s[36:37], 0
	s_mov_b64 s[38:39], 0
	v_cndmask_b32_e32 v0, 1, v0, vcc
.LBB64_45:                              ;   Parent Loop BB64_12 Depth=1
                                        ; =>  This Inner Loop Header: Depth=2
	s_cmp_lg_u32 s38, 3
	s_cselect_b64 vcc, -1, 0
	s_cmp_lg_u32 s38, 2
	v_cndmask_b32_e32 v5, 0, v5, vcc
	s_cselect_b64 vcc, -1, 0
	s_cmp_lg_u32 s38, 1
	v_cndmask_b32_e32 v4, 0, v4, vcc
	s_cselect_b64 vcc, -1, 0
	s_cmp_lg_u32 s38, 0
	v_cndmask_b32_e32 v3, 0, v3, vcc
	s_cselect_b64 vcc, -1, 0
	s_add_u32 s38, s38, 1
	s_addc_u32 s39, s39, 0
	v_cmp_eq_u32_e64 s[6:7], s38, v0
	s_or_b64 s[36:37], s[6:7], s[36:37]
	v_cndmask_b32_e32 v2, 0, v2, vcc
	s_andn2_b64 exec, exec, s[36:37]
	s_cbranch_execnz .LBB64_45
; %bb.46:                               ;   in Loop: Header=BB64_12 Depth=1
	s_or_b64 exec, exec, s[36:37]
	s_branch .LBB64_9
.LBB64_47:                              ;   in Loop: Header=BB64_12 Depth=1
	v_cvt_f32_i32_e32 v14, v14
	s_waitcnt vmcnt(7)
	v_cvt_f32_f16_e32 v31, v31
	v_add_f32_e32 v11, v11, v14
	v_add_f32_e32 v11, v11, v31
	v_cvt_f16_f32_e32 v11, v11
	v_mov_b32_e32 v31, v1
	v_lshl_add_u64 v[32:33], v[30:31], 1, s[24:25]
	global_store_short v[32:33], v11, off
	s_or_b64 exec, exec, s[6:7]
	v_cmp_ne_u32_e64 s[6:7], 0, v3
	s_and_saveexec_b64 s[8:9], s[6:7]
	s_cbranch_execz .LBB64_35
.LBB64_48:                              ;   in Loop: Header=BB64_12 Depth=1
	v_cvt_f32_i32_e32 v11, v16
	s_waitcnt vmcnt(6)
	v_cvt_f32_f16_e32 v14, v29
	v_mov_b32_e32 v31, v1
	v_lshl_add_u64 v[32:33], v[30:31], 1, s[30:31]
	v_add_f32_e32 v7, v7, v11
	v_add_f32_e32 v7, v7, v14
	v_cvt_f16_f32_e32 v7, v7
	global_store_short v[32:33], v7, off
	s_or_b64 exec, exec, s[8:9]
	v_cmp_ne_u32_e64 s[8:9], 0, v4
	s_and_saveexec_b64 s[10:11], s[8:9]
	s_cbranch_execz .LBB64_36
.LBB64_49:                              ;   in Loop: Header=BB64_12 Depth=1
	v_cvt_f32_i32_e32 v7, v18
	s_waitcnt vmcnt(5)
	v_cvt_f32_f16_e32 v11, v28
	v_add_f32_e32 v7, v9, v7
	v_add_f32_e32 v7, v7, v11
	v_cvt_f16_f32_e32 v7, v7
	v_mov_b32_e32 v9, v1
	v_lshl_add_u64 v[8:9], v[8:9], 1, s[24:25]
	global_store_short v[8:9], v7, off
	s_or_b64 exec, exec, s[10:11]
	v_cmp_ne_u32_e64 s[10:11], 0, v5
	s_and_saveexec_b64 s[38:39], s[10:11]
	s_cbranch_execz .LBB64_37
.LBB64_50:                              ;   in Loop: Header=BB64_12 Depth=1
	v_cvt_f32_i32_e32 v7, v13
	s_waitcnt vmcnt(4)
	v_cvt_f32_f16_e32 v0, v0
	v_add_f32_e32 v7, v10, v7
	v_add_f32_e32 v0, v7, v0
	v_cvt_f16_f32_e32 v0, v0
	v_mov_b32_e32 v7, v1
	v_lshl_add_u64 v[6:7], v[6:7], 1, s[24:25]
	global_store_short v[6:7], v0, off
	s_or_b64 exec, exec, s[38:39]
	v_add_u32_e32 v0, s23, v30
	s_and_saveexec_b64 s[38:39], vcc
	s_cbranch_execz .LBB64_38
.LBB64_51:                              ;   in Loop: Header=BB64_12 Depth=1
	v_cvt_f32_i32_e32 v6, v23
	s_waitcnt vmcnt(3)
	v_cvt_f32_f16_e32 v7, v27
	v_add_f32_e32 v6, v21, v6
	v_add_f32_e32 v6, v6, v7
	v_cvt_f16_f32_e32 v8, v6
	v_lshl_add_u64 v[6:7], v[0:1], 1, s[24:25]
	global_store_short v[6:7], v8, off
	s_or_b64 exec, exec, s[38:39]
	s_and_saveexec_b64 s[38:39], s[6:7]
	s_cbranch_execz .LBB64_39
.LBB64_52:                              ;   in Loop: Header=BB64_12 Depth=1
	v_cvt_f32_i32_e32 v6, v22
	s_waitcnt vmcnt(2)
	v_cvt_f32_f16_e32 v7, v26
	v_add_f32_e32 v6, v20, v6
	v_add_f32_e32 v6, v6, v7
	v_cvt_f16_f32_e32 v8, v6
	v_add_u32_e32 v6, 1, v0
	v_mov_b32_e32 v7, v1
	v_lshl_add_u64 v[6:7], v[6:7], 1, s[24:25]
	global_store_short v[6:7], v8, off
	s_or_b64 exec, exec, s[38:39]
	s_and_saveexec_b64 s[6:7], s[8:9]
	s_cbranch_execz .LBB64_40
.LBB64_53:                              ;   in Loop: Header=BB64_12 Depth=1
	v_cvt_f32_i32_e32 v6, v19
	s_waitcnt vmcnt(1)
	v_cvt_f32_f16_e32 v7, v25
	v_add_f32_e32 v6, v17, v6
	v_add_f32_e32 v6, v6, v7
	v_cvt_f16_f32_e32 v8, v6
	v_add_u32_e32 v6, 2, v0
	v_mov_b32_e32 v7, v1
	v_lshl_add_u64 v[6:7], v[6:7], 1, s[24:25]
	global_store_short v[6:7], v8, off
	s_or_b64 exec, exec, s[6:7]
	s_and_b64 exec, exec, s[10:11]
	s_cbranch_execnz .LBB64_41
	s_branch .LBB64_42
.LBB64_54:
	s_endpgm
	.section	.rodata,"a",@progbits
	.p2align	6, 0x0
	.amdhsa_kernel _Z16wvSplitK_hf_big_I6__halfLi64ELi4ELi16ELi8ELi1ELi2EEviiiiiiPKT_S3_S3_PS1_ii
		.amdhsa_group_segment_fixed_size 65536
		.amdhsa_private_segment_fixed_size 0
		.amdhsa_kernarg_size 64
		.amdhsa_user_sgpr_count 2
		.amdhsa_user_sgpr_dispatch_ptr 0
		.amdhsa_user_sgpr_queue_ptr 0
		.amdhsa_user_sgpr_kernarg_segment_ptr 1
		.amdhsa_user_sgpr_dispatch_id 0
		.amdhsa_user_sgpr_kernarg_preload_length 0
		.amdhsa_user_sgpr_kernarg_preload_offset 0
		.amdhsa_user_sgpr_private_segment_size 0
		.amdhsa_uses_dynamic_stack 0
		.amdhsa_enable_private_segment 0
		.amdhsa_system_sgpr_workgroup_id_x 1
		.amdhsa_system_sgpr_workgroup_id_y 0
		.amdhsa_system_sgpr_workgroup_id_z 0
		.amdhsa_system_sgpr_workgroup_info 0
		.amdhsa_system_vgpr_workitem_id 1
		.amdhsa_next_free_vgpr 54
		.amdhsa_next_free_sgpr 50
		.amdhsa_accum_offset 56
		.amdhsa_reserve_vcc 1
		.amdhsa_float_round_mode_32 0
		.amdhsa_float_round_mode_16_64 0
		.amdhsa_float_denorm_mode_32 3
		.amdhsa_float_denorm_mode_16_64 3
		.amdhsa_dx10_clamp 1
		.amdhsa_ieee_mode 1
		.amdhsa_fp16_overflow 0
		.amdhsa_tg_split 0
		.amdhsa_exception_fp_ieee_invalid_op 0
		.amdhsa_exception_fp_denorm_src 0
		.amdhsa_exception_fp_ieee_div_zero 0
		.amdhsa_exception_fp_ieee_overflow 0
		.amdhsa_exception_fp_ieee_underflow 0
		.amdhsa_exception_fp_ieee_inexact 0
		.amdhsa_exception_int_div_zero 0
	.end_amdhsa_kernel
	.section	.text._Z16wvSplitK_hf_big_I6__halfLi64ELi4ELi16ELi8ELi1ELi2EEviiiiiiPKT_S3_S3_PS1_ii,"axG",@progbits,_Z16wvSplitK_hf_big_I6__halfLi64ELi4ELi16ELi8ELi1ELi2EEviiiiiiPKT_S3_S3_PS1_ii,comdat
.Lfunc_end64:
	.size	_Z16wvSplitK_hf_big_I6__halfLi64ELi4ELi16ELi8ELi1ELi2EEviiiiiiPKT_S3_S3_PS1_ii, .Lfunc_end64-_Z16wvSplitK_hf_big_I6__halfLi64ELi4ELi16ELi8ELi1ELi2EEviiiiiiPKT_S3_S3_PS1_ii
                                        ; -- End function
	.section	.AMDGPU.csdata,"",@progbits
; Kernel info:
; codeLenInByte = 3516
; NumSgprs: 56
; NumVgprs: 54
; NumAgprs: 0
; TotalNumVgprs: 54
; ScratchSize: 0
; MemoryBound: 0
; FloatMode: 240
; IeeeMode: 1
; LDSByteSize: 65536 bytes/workgroup (compile time only)
; SGPRBlocks: 6
; VGPRBlocks: 6
; NumSGPRsForWavesPerEU: 56
; NumVGPRsForWavesPerEU: 54
; AccumOffset: 56
; Occupancy: 4
; WaveLimiterHint : 0
; COMPUTE_PGM_RSRC2:SCRATCH_EN: 0
; COMPUTE_PGM_RSRC2:USER_SGPR: 2
; COMPUTE_PGM_RSRC2:TRAP_HANDLER: 0
; COMPUTE_PGM_RSRC2:TGID_X_EN: 1
; COMPUTE_PGM_RSRC2:TGID_Y_EN: 0
; COMPUTE_PGM_RSRC2:TGID_Z_EN: 0
; COMPUTE_PGM_RSRC2:TIDIG_COMP_CNT: 1
; COMPUTE_PGM_RSRC3_GFX90A:ACCUM_OFFSET: 13
; COMPUTE_PGM_RSRC3_GFX90A:TG_SPLIT: 0
	.section	.text._Z16wvSplitK_hf_sml_I6__halfLi64ELi4ELi16ELi8ELi2ELi2EEviiiiiiPKT_S3_S3_PS1_ii,"axG",@progbits,_Z16wvSplitK_hf_sml_I6__halfLi64ELi4ELi16ELi8ELi2ELi2EEviiiiiiPKT_S3_S3_PS1_ii,comdat
	.protected	_Z16wvSplitK_hf_sml_I6__halfLi64ELi4ELi16ELi8ELi2ELi2EEviiiiiiPKT_S3_S3_PS1_ii ; -- Begin function _Z16wvSplitK_hf_sml_I6__halfLi64ELi4ELi16ELi8ELi2ELi2EEviiiiiiPKT_S3_S3_PS1_ii
	.globl	_Z16wvSplitK_hf_sml_I6__halfLi64ELi4ELi16ELi8ELi2ELi2EEviiiiiiPKT_S3_S3_PS1_ii
	.p2align	8
	.type	_Z16wvSplitK_hf_sml_I6__halfLi64ELi4ELi16ELi8ELi2ELi2EEviiiiiiPKT_S3_S3_PS1_ii,@function
_Z16wvSplitK_hf_sml_I6__halfLi64ELi4ELi16ELi8ELi2ELi2EEviiiiiiPKT_S3_S3_PS1_ii: ; @_Z16wvSplitK_hf_sml_I6__halfLi64ELi4ELi16ELi8ELi2ELi2EEviiiiiiPKT_S3_S3_PS1_ii
; %bb.0:
	s_load_dwordx4 s[4:7], s[0:1], 0x0
	s_load_dwordx2 s[8:9], s[0:1], 0x10
	s_load_dwordx2 s[10:11], s[0:1], 0x28
	v_and_b32_e32 v2, 0x3ff, v0
	v_bfe_u32 v3, v0, 10, 10
	v_lshlrev_b32_e32 v60, 3, v2
	s_waitcnt lgkmcnt(0)
	s_lshl_b32 s6, s6, 1
	v_lshl_add_u32 v4, v3, 9, v60
	s_min_u32 s3, s6, 0x8000
	v_cmp_gt_u32_e32 vcc, s3, v4
	s_and_saveexec_b64 s[12:13], vcc
	s_cbranch_execz .LBB65_3
; %bb.1:
	s_load_dwordx2 s[14:15], s[0:1], 0x20
	v_mov_b32_e32 v7, 0
	v_lshlrev_b32_e32 v6, 10, v3
	v_lshlrev_b32_e32 v8, 4, v2
	v_mov_b32_e32 v9, v7
	v_lshl_add_u64 v[0:1], v[6:7], 0, v[8:9]
	s_waitcnt lgkmcnt(0)
	v_lshl_add_u64 v[0:1], s[14:15], 0, v[0:1]
	v_add_u32_e32 v5, v6, v8
	s_mov_b64 s[14:15], 0
	s_mov_b64 s[16:17], 0x4000
.LBB65_2:                               ; =>This Inner Loop Header: Depth=1
	global_load_dwordx4 v[6:9], v[0:1], off
	v_add_u32_e32 v4, 0x2000, v4
	v_cmp_le_u32_e32 vcc, s3, v4
	v_lshl_add_u64 v[0:1], v[0:1], 0, s[16:17]
	s_or_b64 s[14:15], vcc, s[14:15]
	s_waitcnt vmcnt(0)
	ds_write_b128 v5, v[6:9]
	v_add_u32_e32 v5, 0x4000, v5
	s_andn2_b64 exec, exec, s[14:15]
	s_cbranch_execnz .LBB65_2
.LBB65_3:
	s_or_b64 exec, exec, s[12:13]
	s_load_dwordx2 s[16:17], s[0:1], 0x38
	s_waitcnt lgkmcnt(0)
	s_barrier
	v_cmp_gt_u32_e32 vcc, s16, v3
	s_and_saveexec_b64 s[12:13], vcc
	s_cbranch_execz .LBB65_20
; %bb.4:
	s_mul_i32 s2, s2, s16
	v_add_lshl_u32 v48, s2, v3, 2
	v_cmp_gt_u32_e32 vcc, s7, v48
	s_and_b64 exec, exec, vcc
	s_cbranch_execz .LBB65_20
; %bb.5:
	v_cvt_f32_u32_e32 v0, s8
	s_cmp_lg_u32 s4, 0
	s_cselect_b64 s[2:3], -1, 0
	s_add_i32 s24, s4, -8
	v_rcp_iflag_f32_e32 v0, v0
	s_add_i32 s25, s7, -1
	s_mul_i32 s20, s16, s17
	s_cmp_lg_u64 s[10:11], 0
	v_mul_f32_e32 v0, 0x4f7ffffe, v0
	v_cvt_u32_f32_e32 v0, v0
	s_cselect_b64 s[18:19], -1, 0
	s_lshl_b32 s26, s20, 2
	s_sub_i32 s20, 0, s8
	s_abs_i32 s9, s9
	v_mul_lo_u32 v1, s20, v0
	s_sub_i32 s20, 1, s9
	s_cmp_lt_u32 s9, 2
	s_load_dwordx2 s[12:13], s[0:1], 0x18
	s_load_dwordx2 s[14:15], s[0:1], 0x30
	s_cselect_b32 s20, s20, 1
	s_sub_i32 s21, s20, s9
	v_mul_hi_u32 v1, v0, v1
	s_cmp_ge_u32 s20, s9
	v_add_u32_e32 v61, v0, v1
	s_cselect_b32 s9, s21, s20
	v_cndmask_b32_e64 v0, 0, 1, s[2:3]
	v_cmp_eq_u32_e64 s[0:1], 63, v2
	s_mov_b64 s[16:17], 0
	v_mov_b32_e32 v51, 0
	s_mul_i32 s9, s9, s8
	v_lshlrev_b32_e32 v62, 4, v2
	v_cmp_ne_u32_e64 s[2:3], 1, v0
	s_branch .LBB65_8
.LBB65_6:                               ;   in Loop: Header=BB65_8 Depth=1
	v_cvt_f32_i32_e32 v2, v2
	v_cvt_f32_i32_e32 v4, v4
	;; [unrolled: 1-line block ×4, first 2 shown]
	v_add_f32_e32 v0, v0, v2
	v_cvt_f32_i32_e32 v2, v15
	v_add_f32_e32 v1, v1, v4
	v_add_f32_e32 v4, v5, v7
	v_add_f32_e32 v3, v3, v6
	v_add_f32_e32 v5, v8, v2
	s_waitcnt vmcnt(7)
	v_cvt_f32_f16_e32 v8, v23
	v_cvt_f32_i32_e32 v2, v14
	v_cvt_f32_i32_e32 v6, v13
	v_add_u32_e32 v50, s7, v48
	v_add_f32_e32 v0, v0, v8
	v_add_f32_e32 v9, v9, v2
	;; [unrolled: 1-line block ×3, first 2 shown]
	s_waitcnt vmcnt(6)
	v_cvt_f32_f16_e32 v2, v22
	s_waitcnt vmcnt(5)
	v_cvt_f32_f16_e32 v8, v21
	v_cvt_f16_f32_e32 v10, v0
	s_waitcnt vmcnt(4)
	v_cvt_f32_f16_e32 v0, v20
	v_add_f32_e32 v1, v1, v2
	v_add_f32_e32 v2, v3, v8
	v_cvt_f16_f32_e32 v2, v2
	v_add_f32_e32 v0, v4, v0
	v_cvt_f16_f32_e32 v3, v0
	v_cvt_f16_f32_e32 v4, v1
	s_waitcnt vmcnt(3)
	v_cvt_f32_f16_e32 v8, v19
	s_waitcnt lgkmcnt(0)
	v_lshl_add_u64 v[0:1], v[48:49], 1, s[14:15]
	v_pack_b32_f16 v3, v2, v3
	v_pack_b32_f16 v2, v10, v4
	global_store_dwordx2 v[0:1], v[2:3], off
	v_add_f32_e32 v0, v5, v8
	v_cvt_f16_f32_e32 v2, v0
	s_waitcnt vmcnt(3)
	v_cvt_f32_f16_e32 v3, v18
	v_lshl_add_u64 v[0:1], v[50:51], 1, s[14:15]
	v_cvt_f32_i32_e32 v7, v12
	global_store_short v[0:1], v2, off
	v_add_f32_e32 v0, v9, v3
	v_cvt_f16_f32_e32 v2, v0
	s_waitcnt vmcnt(3)
	v_cvt_f32_f16_e32 v3, v17
	v_add_u32_e32 v0, 1, v50
	v_mov_b32_e32 v1, v51
	v_lshl_add_u64 v[0:1], v[0:1], 1, s[14:15]
	global_store_short v[0:1], v2, off
	v_add_f32_e32 v0, v6, v3
	s_waitcnt vmcnt(3)
	v_cvt_f32_f16_e32 v3, v16
	v_add_f32_e32 v7, v11, v7
	v_cvt_f16_f32_e32 v2, v0
	v_add_u32_e32 v0, 2, v50
	v_add_f32_e32 v3, v7, v3
	v_cvt_f16_f32_e32 v3, v3
	v_mov_b32_e32 v1, v51
	v_lshl_add_u64 v[0:1], v[0:1], 1, s[14:15]
	v_add_u32_e32 v50, 3, v50
	global_store_short v[0:1], v2, off
	v_lshl_add_u64 v[0:1], v[50:51], 1, s[14:15]
	global_store_short v[0:1], v3, off
.LBB65_7:                               ;   in Loop: Header=BB65_8 Depth=1
	s_or_b64 exec, exec, s[20:21]
	v_add_u32_e32 v48, s26, v48
	v_cmp_le_u32_e32 vcc, s7, v48
	s_or_b64 s[16:17], vcc, s[16:17]
	s_andn2_b64 exec, exec, s[16:17]
	s_cbranch_execz .LBB65_20
.LBB65_8:                               ; =>This Loop Header: Depth=1
                                        ;     Child Loop BB65_12 Depth 2
	s_mov_b32 s27, 0
	s_and_b64 vcc, exec, s[2:3]
	v_mov_b32_e32 v69, v51
	v_mov_b32_e32 v68, v51
	;; [unrolled: 1-line block ×8, first 2 shown]
	s_cbranch_vccnz .LBB65_15
; %bb.9:                                ;   in Loop: Header=BB65_8 Depth=1
	v_min_u32_e32 v0, s25, v48
	v_mul_lo_u32 v50, v0, s5
	v_or_b32_e32 v0, 1, v48
	v_or_b32_e32 v2, 2, v48
	;; [unrolled: 1-line block ×3, first 2 shown]
	v_min_u32_e32 v0, s25, v0
	v_min_u32_e32 v2, s25, v2
	v_min_u32_e32 v4, s25, v4
	v_mul_lo_u32 v0, v0, s5
	v_mov_b32_e32 v1, v51
	v_mul_lo_u32 v2, v2, s5
	v_mov_b32_e32 v3, v51
	;; [unrolled: 2-line block ×3, first 2 shown]
	v_mov_b32_e32 v49, 0
	v_lshlrev_b64 v[52:53], 1, v[50:51]
	v_lshlrev_b64 v[54:55], 1, v[0:1]
	;; [unrolled: 1-line block ×4, first 2 shown]
	v_mov_b32_e32 v70, v62
	v_mov_b32_e32 v63, 0
	v_mov_b32_e32 v64, 0
	v_mov_b32_e32 v65, 0
	v_mov_b32_e32 v66, 0
	v_mov_b32_e32 v67, 0
	v_mov_b32_e32 v68, 0
	v_mov_b32_e32 v69, 0
	s_branch .LBB65_12
.LBB65_10:                              ;   in Loop: Header=BB65_12 Depth=2
	s_or_b64 exec, exec, s[22:23]
.LBB65_11:                              ;   in Loop: Header=BB65_12 Depth=2
	s_or_b64 exec, exec, s[20:21]
	s_waitcnt vmcnt(7) lgkmcnt(1)
	;;#ASMSTART
	v_dot2c_f32_f16 v69, v44, v36
	;;#ASMEND
	s_waitcnt vmcnt(6)
	;;#ASMSTART
	v_dot2c_f32_f16 v68, v44, v32
	;;#ASMEND
	s_waitcnt vmcnt(5)
	;; [unrolled: 4-line block ×3, first 2 shown]
	;;#ASMSTART
	v_dot2c_f32_f16 v66, v44, v24
	;;#ASMEND
	s_waitcnt lgkmcnt(0)
	;;#ASMSTART
	v_dot2c_f32_f16 v65, v40, v36
	;;#ASMEND
	;;#ASMSTART
	v_dot2c_f32_f16 v64, v40, v32
	;;#ASMEND
	;;#ASMSTART
	v_dot2c_f32_f16 v63, v40, v28
	;;#ASMEND
	;;#ASMSTART
	v_dot2c_f32_f16 v49, v40, v24
	;;#ASMEND
	;;#ASMSTART
	v_dot2c_f32_f16 v69, v45, v37
	;;#ASMEND
	;;#ASMSTART
	v_dot2c_f32_f16 v68, v45, v33
	;;#ASMEND
	;;#ASMSTART
	v_dot2c_f32_f16 v67, v45, v29
	;;#ASMEND
	;;#ASMSTART
	v_dot2c_f32_f16 v66, v45, v25
	;;#ASMEND
	s_nop 0
	;;#ASMSTART
	v_dot2c_f32_f16 v65, v41, v37
	;;#ASMEND
	;;#ASMSTART
	v_dot2c_f32_f16 v64, v41, v33
	;;#ASMEND
	;;#ASMSTART
	v_dot2c_f32_f16 v63, v41, v29
	;;#ASMEND
	;;#ASMSTART
	v_dot2c_f32_f16 v49, v41, v25
	;;#ASMEND
	;;#ASMSTART
	v_dot2c_f32_f16 v69, v46, v38
	;;#ASMEND
	;;#ASMSTART
	v_dot2c_f32_f16 v68, v46, v34
	;;#ASMEND
	;;#ASMSTART
	v_dot2c_f32_f16 v67, v46, v30
	;;#ASMEND
	;;#ASMSTART
	v_dot2c_f32_f16 v66, v46, v26
	;;#ASMEND
	s_nop 0
	;; [unrolled: 25-line block ×3, first 2 shown]
	;;#ASMSTART
	v_dot2c_f32_f16 v65, v43, v39
	;;#ASMEND
	;;#ASMSTART
	v_dot2c_f32_f16 v64, v43, v35
	;;#ASMEND
	;; [unrolled: 3-line block ×4, first 2 shown]
	s_waitcnt vmcnt(3)
	;;#ASMSTART
	v_dot2c_f32_f16 v69, v20, v16
	;;#ASMEND
	s_waitcnt vmcnt(2)
	;;#ASMSTART
	v_dot2c_f32_f16 v68, v20, v8
	;;#ASMEND
	;; [unrolled: 4-line block ×4, first 2 shown]
	;;#ASMSTART
	v_dot2c_f32_f16 v65, v12, v16
	;;#ASMEND
	;;#ASMSTART
	v_dot2c_f32_f16 v64, v12, v8
	;;#ASMEND
	;;#ASMSTART
	v_dot2c_f32_f16 v63, v12, v4
	;;#ASMEND
	;;#ASMSTART
	v_dot2c_f32_f16 v49, v12, v0
	;;#ASMEND
	;;#ASMSTART
	v_dot2c_f32_f16 v69, v21, v17
	;;#ASMEND
	;;#ASMSTART
	v_dot2c_f32_f16 v68, v21, v9
	;;#ASMEND
	;;#ASMSTART
	v_dot2c_f32_f16 v67, v21, v5
	;;#ASMEND
	s_nop 0
	;;#ASMSTART
	v_dot2c_f32_f16 v66, v21, v1
	;;#ASMEND
	;;#ASMSTART
	v_dot2c_f32_f16 v65, v13, v17
	;;#ASMEND
	;;#ASMSTART
	v_dot2c_f32_f16 v64, v13, v9
	;;#ASMEND
	;;#ASMSTART
	v_dot2c_f32_f16 v63, v13, v5
	;;#ASMEND
	;;#ASMSTART
	v_dot2c_f32_f16 v49, v13, v1
	;;#ASMEND
	s_addk_i32 s27, 0x400
	;;#ASMSTART
	v_dot2c_f32_f16 v69, v22, v18
	;;#ASMEND
	;;#ASMSTART
	v_dot2c_f32_f16 v68, v22, v10
	;;#ASMEND
	;; [unrolled: 3-line block ×8, first 2 shown]
	s_cmp_ge_u32 s27, s4
	v_add_u32_e32 v70, 0x800, v70
	;;#ASMSTART
	v_dot2c_f32_f16 v69, v23, v19
	;;#ASMEND
	;;#ASMSTART
	v_dot2c_f32_f16 v68, v23, v11
	;;#ASMEND
	;; [unrolled: 3-line block ×8, first 2 shown]
	s_cbranch_scc1 .LBB65_15
.LBB65_12:                              ;   Parent Loop BB65_8 Depth=1
                                        ; =>  This Inner Loop Header: Depth=2
	v_add_u32_e32 v20, s27, v60
	v_min_u32_e32 v50, s24, v20
	s_waitcnt lgkmcnt(0)
	v_lshl_add_u64 v[0:1], v[50:51], 1, s[12:13]
	v_lshl_add_u64 v[2:3], v[0:1], 0, v[52:53]
	v_add_u32_e32 v71, 0x200, v20
	v_lshl_add_u64 v[4:5], v[0:1], 0, v[54:55]
	global_load_dwordx4 v[36:39], v[2:3], off nt
	global_load_dwordx4 v[32:35], v[4:5], off nt
	v_lshl_add_u64 v[2:3], v[0:1], 0, v[56:57]
	v_lshl_add_u64 v[0:1], v[0:1], 0, v[58:59]
	v_min_u32_e32 v50, s24, v71
	global_load_dwordx4 v[28:31], v[2:3], off nt
	global_load_dwordx4 v[24:27], v[0:1], off nt
	v_lshl_add_u64 v[0:1], v[50:51], 1, s[12:13]
	v_lshl_add_u64 v[2:3], v[0:1], 0, v[52:53]
	;; [unrolled: 1-line block ×4, first 2 shown]
	global_load_dwordx4 v[16:19], v[2:3], off nt
	global_load_dwordx4 v[8:11], v[4:5], off nt
	v_lshl_add_u64 v[14:15], v[0:1], 0, v[58:59]
	global_load_dwordx4 v[4:7], v[12:13], off nt
	global_load_dwordx4 v[0:3], v[14:15], off nt
	v_cmp_gt_u32_e32 vcc, s4, v20
	v_mov_b32_e32 v44, 0
	v_mov_b32_e32 v45, 0
	;; [unrolled: 1-line block ×16, first 2 shown]
	s_and_saveexec_b64 s[20:21], vcc
	s_cbranch_execz .LBB65_11
; %bb.13:                               ;   in Loop: Header=BB65_12 Depth=2
	v_add_u32_e32 v50, s6, v70
	ds_read_b128 v[44:47], v70
	ds_read_b128 v[40:43], v50
	v_cmp_gt_u32_e32 vcc, s4, v71
	v_mov_b32_e32 v15, 0
	v_mov_b32_e32 v14, 0
	;; [unrolled: 1-line block ×8, first 2 shown]
	s_and_saveexec_b64 s[22:23], vcc
	s_cbranch_execz .LBB65_10
; %bb.14:                               ;   in Loop: Header=BB65_12 Depth=2
	ds_read_b128 v[20:23], v70 offset:1024
	ds_read_b128 v[12:15], v50 offset:1024
	s_branch .LBB65_10
.LBB65_15:                              ;   in Loop: Header=BB65_8 Depth=1
	; sched_barrier mask(0x00000000)
	v_cvt_i32_f32_e32 v0, v69
	v_cvt_i32_f32_e32 v1, v68
	;; [unrolled: 1-line block ×4, first 2 shown]
	v_cvt_f32_i32_dpp v0, v0 row_shr:8 row_mask:0xf bank_mask:0xf bound_ctrl:1
	v_cvt_f32_i32_dpp v1, v1 row_shr:8 row_mask:0xf bank_mask:0xf bound_ctrl:1
	;; [unrolled: 1-line block ×4, first 2 shown]
	v_add_f32_e32 v0, v69, v0
	v_cvt_i32_f32_e32 v4, v0
	v_add_f32_e32 v1, v68, v1
	v_cvt_i32_f32_e32 v5, v1
	v_add_f32_e32 v2, v67, v2
	v_cvt_f32_i32_dpp v4, v4 row_shr:4 row_mask:0xf bank_mask:0xf bound_ctrl:1
	v_cvt_i32_f32_e32 v6, v2
	v_cvt_f32_i32_dpp v5, v5 row_shr:4 row_mask:0xf bank_mask:0xf bound_ctrl:1
	v_add_f32_e32 v3, v66, v3
	v_add_f32_e32 v0, v0, v4
	v_cvt_i32_f32_e32 v4, v0
	v_add_f32_e32 v1, v1, v5
	v_cvt_i32_f32_e32 v5, v1
	v_cvt_f32_i32_dpp v6, v6 row_shr:4 row_mask:0xf bank_mask:0xf bound_ctrl:1
	v_cvt_f32_i32_dpp v4, v4 row_shr:2 row_mask:0xf bank_mask:0xf bound_ctrl:1
	v_cvt_i32_f32_e32 v7, v3
	v_cvt_f32_i32_dpp v5, v5 row_shr:2 row_mask:0xf bank_mask:0xf bound_ctrl:1
	v_add_f32_e32 v2, v2, v6
	v_add_f32_e32 v0, v0, v4
	v_cvt_i32_f32_e32 v4, v0
	v_add_f32_e32 v1, v1, v5
	v_cvt_i32_f32_e32 v5, v1
	v_cvt_i32_f32_e32 v6, v2
	v_cvt_f32_i32_dpp v4, v4 row_shr:1 row_mask:0xf bank_mask:0xf bound_ctrl:1
	v_cvt_f32_i32_dpp v7, v7 row_shr:4 row_mask:0xf bank_mask:0xf bound_ctrl:1
	;; [unrolled: 1-line block ×4, first 2 shown]
	v_add_f32_e32 v0, v0, v4
	v_cvt_i32_f32_e32 v4, v0
	v_add_f32_e32 v1, v1, v5
	v_add_f32_e32 v6, v2, v6
	;; [unrolled: 1-line block ×3, first 2 shown]
	v_cvt_f32_i32_dpp v2, v4 row_bcast:15 row_mask:0xf bank_mask:0xf bound_ctrl:1
	v_cvt_i32_f32_e32 v4, v1
	v_cvt_i32_f32_e32 v7, v3
	;; [unrolled: 1-line block ×3, first 2 shown]
	v_add_f32_e32 v0, v0, v2
	v_cvt_f32_i32_dpp v4, v4 row_bcast:15 row_mask:0xf bank_mask:0xf bound_ctrl:1
	v_cvt_f32_i32_dpp v7, v7 row_shr:2 row_mask:0xf bank_mask:0xf bound_ctrl:1
	v_cvt_f32_i32_dpp v5, v5 row_shr:1 row_mask:0xf bank_mask:0xf bound_ctrl:1
	v_cvt_i32_f32_e32 v2, v0
	v_add_f32_e32 v1, v1, v4
	v_cvt_i32_f32_e32 v4, v65
	v_add_f32_e32 v3, v3, v7
	v_add_f32_e32 v5, v6, v5
	v_cvt_i32_f32_e32 v6, v3
	v_cvt_f32_i32_dpp v4, v4 row_shr:8 row_mask:0xf bank_mask:0xf bound_ctrl:1
	v_cvt_i32_f32_e32 v7, v5
	v_cvt_i32_f32_e32 v8, v1
	v_cvt_f32_i32_dpp v6, v6 row_shr:1 row_mask:0xf bank_mask:0xf bound_ctrl:1
	v_add_f32_e32 v9, v65, v4
	v_cvt_i32_f32_e32 v10, v9
	v_cvt_f32_i32_dpp v7, v7 row_bcast:15 row_mask:0xf bank_mask:0xf bound_ctrl:1
	v_add_f32_e32 v6, v3, v6
	v_mov_b32_dpp v4, v8 row_bcast:31 row_mask:0xf bank_mask:0xf bound_ctrl:1
	v_cvt_f32_i32_dpp v8, v10 row_shr:4 row_mask:0xf bank_mask:0xf bound_ctrl:1
	v_cvt_i32_f32_e32 v11, v6
	v_add_f32_e32 v3, v5, v7
	v_cvt_i32_f32_e32 v7, v64
	v_add_f32_e32 v8, v9, v8
	v_cvt_f32_i32_dpp v5, v11 row_bcast:15 row_mask:0xf bank_mask:0xf bound_ctrl:1
	v_cvt_i32_f32_e32 v9, v8
	v_cvt_f32_i32_dpp v7, v7 row_shr:8 row_mask:0xf bank_mask:0xf bound_ctrl:1
	v_cvt_i32_f32_e32 v10, v3
	v_add_f32_e32 v5, v6, v5
	v_cvt_f32_i32_dpp v6, v9 row_shr:2 row_mask:0xf bank_mask:0xf bound_ctrl:1
	v_add_f32_e32 v11, v64, v7
	v_cvt_i32_f32_e32 v7, v11
	v_cvt_i32_f32_e32 v9, v5
	v_add_f32_e32 v8, v8, v6
	v_cvt_i32_f32_e32 v12, v8
	v_mov_b32_dpp v6, v10 row_bcast:31 row_mask:0xf bank_mask:0xf bound_ctrl:1
	v_cvt_f32_i32_dpp v10, v7 row_shr:4 row_mask:0xf bank_mask:0xf bound_ctrl:1
	v_mov_b32_dpp v7, v9 row_bcast:31 row_mask:0xf bank_mask:0xf bound_ctrl:1
	v_cvt_f32_i32_dpp v9, v12 row_shr:1 row_mask:0xf bank_mask:0xf bound_ctrl:1
	v_cvt_i32_f32_e32 v12, v63
	v_add_f32_e32 v10, v11, v10
	v_cvt_i32_f32_e32 v11, v49
	v_add_f32_e32 v8, v8, v9
	v_cvt_f32_i32_dpp v12, v12 row_shr:8 row_mask:0xf bank_mask:0xf bound_ctrl:1
	v_cvt_i32_f32_e32 v13, v10
	v_cvt_f32_i32_dpp v9, v11 row_shr:8 row_mask:0xf bank_mask:0xf bound_ctrl:1
	v_cvt_i32_f32_e32 v15, v8
	v_add_f32_e32 v12, v63, v12
	v_cvt_f32_i32_dpp v11, v13 row_shr:2 row_mask:0xf bank_mask:0xf bound_ctrl:1
	v_add_f32_e32 v9, v49, v9
	v_cvt_i32_f32_e32 v13, v12
	v_cvt_i32_f32_e32 v14, v9
	v_add_f32_e32 v10, v10, v11
	v_cvt_f32_i32_dpp v15, v15 row_bcast:15 row_mask:0xf bank_mask:0xf bound_ctrl:1
	v_cvt_f32_i32_dpp v13, v13 row_shr:4 row_mask:0xf bank_mask:0xf bound_ctrl:1
	v_cvt_f32_i32_dpp v11, v14 row_shr:4 row_mask:0xf bank_mask:0xf bound_ctrl:1
	v_cvt_i32_f32_e32 v14, v10
	v_add_f32_e32 v8, v8, v15
	v_add_f32_e32 v12, v12, v13
	;; [unrolled: 1-line block ×3, first 2 shown]
	v_cvt_i32_f32_e32 v13, v12
	v_cvt_i32_f32_e32 v11, v9
	v_cvt_f32_i32_dpp v14, v14 row_shr:1 row_mask:0xf bank_mask:0xf bound_ctrl:1
	v_cvt_i32_f32_e32 v16, v8
	v_cvt_f32_i32_dpp v13, v13 row_shr:2 row_mask:0xf bank_mask:0xf bound_ctrl:1
	v_cvt_f32_i32_dpp v11, v11 row_shr:2 row_mask:0xf bank_mask:0xf bound_ctrl:1
	v_add_f32_e32 v10, v10, v14
	v_cvt_i32_f32_e32 v14, v10
	v_add_f32_e32 v12, v12, v13
	v_add_f32_e32 v9, v9, v11
	v_cvt_i32_f32_e32 v13, v12
	v_cvt_i32_f32_e32 v11, v9
	v_cvt_f32_i32_dpp v14, v14 row_bcast:15 row_mask:0xf bank_mask:0xf bound_ctrl:1
	v_mov_b32_dpp v2, v2 row_bcast:31 row_mask:0xf bank_mask:0xf bound_ctrl:1
	v_cvt_f32_i32_dpp v13, v13 row_shr:1 row_mask:0xf bank_mask:0xf bound_ctrl:1
	v_cvt_f32_i32_dpp v11, v11 row_shr:1 row_mask:0xf bank_mask:0xf bound_ctrl:1
	v_add_f32_e32 v12, v12, v13
	v_add_f32_e32 v11, v9, v11
	v_cvt_i32_f32_e32 v13, v12
	v_cvt_i32_f32_e32 v15, v11
	v_add_f32_e32 v9, v10, v14
	v_cvt_i32_f32_e32 v17, v9
	v_cvt_f32_i32_dpp v13, v13 row_bcast:15 row_mask:0xf bank_mask:0xf bound_ctrl:1
	v_cvt_f32_i32_dpp v14, v15 row_bcast:15 row_mask:0xf bank_mask:0xf bound_ctrl:1
	v_mov_b32_dpp v15, v16 row_bcast:31 row_mask:0xf bank_mask:0xf bound_ctrl:1
	v_add_f32_e32 v10, v12, v13
	v_add_f32_e32 v11, v11, v14
	v_cvt_i32_f32_e32 v12, v10
	v_cvt_i32_f32_e32 v18, v11
	v_mov_b32_dpp v14, v17 row_bcast:31 row_mask:0xf bank_mask:0xf bound_ctrl:1
	v_mov_b32_dpp v13, v12 row_bcast:31 row_mask:0xf bank_mask:0xf bound_ctrl:1
	;; [unrolled: 1-line block ×3, first 2 shown]
	s_and_saveexec_b64 s[20:21], s[0:1]
	s_cbranch_execz .LBB65_7
; %bb.16:                               ;   in Loop: Header=BB65_8 Depth=1
	s_and_b64 vcc, exec, s[18:19]
	s_cbranch_vccz .LBB65_18
; %bb.17:                               ;   in Loop: Header=BB65_8 Depth=1
	v_mul_hi_u32 v16, v48, v61
	v_mul_lo_u32 v16, v16, s8
	v_sub_u32_e32 v16, v48, v16
	v_subrev_u32_e32 v17, s8, v16
	v_cmp_le_u32_e32 vcc, s8, v16
	v_mov_b32_e32 v19, v51
	v_mov_b32_e32 v21, v51
	v_cndmask_b32_e32 v16, v16, v17, vcc
	v_subrev_u32_e32 v17, s8, v16
	v_cmp_le_u32_e32 vcc, s8, v16
	v_mov_b32_e32 v49, v51
	s_nop 0
	v_cndmask_b32_e32 v50, v16, v17, vcc
	v_or_b32_e32 v16, 1, v48
	v_mul_hi_u32 v17, v16, v61
	v_mul_lo_u32 v17, v17, s8
	v_sub_u32_e32 v16, v16, v17
	v_subrev_u32_e32 v17, s8, v16
	v_cmp_le_u32_e32 vcc, s8, v16
	v_lshl_add_u64 v[24:25], v[50:51], 1, s[10:11]
	v_add_u32_e32 v50, s9, v50
	v_cndmask_b32_e32 v16, v16, v17, vcc
	v_subrev_u32_e32 v17, s8, v16
	v_cmp_le_u32_e32 vcc, s8, v16
	v_lshl_add_u64 v[32:33], v[50:51], 1, s[10:11]
	s_nop 0
	v_cndmask_b32_e32 v16, v16, v17, vcc
	v_mov_b32_e32 v17, v51
	v_lshl_add_u64 v[26:27], v[16:17], 1, s[10:11]
	v_or_b32_e32 v17, 2, v48
	v_mul_hi_u32 v18, v17, v61
	v_mul_lo_u32 v18, v18, s8
	v_sub_u32_e32 v17, v17, v18
	v_subrev_u32_e32 v18, s8, v17
	v_cmp_le_u32_e32 vcc, s8, v17
	v_add_u32_e32 v50, s9, v16
	v_lshl_add_u64 v[34:35], v[50:51], 1, s[10:11]
	v_cndmask_b32_e32 v17, v17, v18, vcc
	v_subrev_u32_e32 v18, s8, v17
	v_cmp_le_u32_e32 vcc, s8, v17
	s_nop 1
	v_cndmask_b32_e32 v18, v17, v18, vcc
	v_or_b32_e32 v17, 3, v48
	v_lshl_add_u64 v[28:29], v[18:19], 1, s[10:11]
	v_mul_hi_u32 v19, v17, v61
	v_mul_lo_u32 v19, v19, s8
	v_sub_u32_e32 v17, v17, v19
	v_subrev_u32_e32 v19, s8, v17
	v_cmp_le_u32_e32 vcc, s8, v17
	v_add_u32_e32 v50, s9, v18
	v_lshl_add_u64 v[36:37], v[50:51], 1, s[10:11]
	v_cndmask_b32_e32 v17, v17, v19, vcc
	v_subrev_u32_e32 v19, s8, v17
	v_cmp_le_u32_e32 vcc, s8, v17
	s_nop 1
	v_cndmask_b32_e32 v20, v17, v19, vcc
	v_add_u32_e32 v50, s9, v20
	v_lshl_add_u64 v[30:31], v[20:21], 1, s[10:11]
	v_lshl_add_u64 v[38:39], v[50:51], 1, s[10:11]
	global_load_ushort v23, v[24:25], off
	global_load_ushort v22, v[26:27], off
	;; [unrolled: 1-line block ×8, first 2 shown]
	s_cbranch_execnz .LBB65_6
	s_branch .LBB65_19
.LBB65_18:                              ;   in Loop: Header=BB65_8 Depth=1
                                        ; implicit-def: $vgpr16
                                        ; implicit-def: $vgpr17
                                        ; implicit-def: $vgpr18
                                        ; implicit-def: $vgpr19
                                        ; implicit-def: $vgpr20
                                        ; implicit-def: $vgpr21
                                        ; implicit-def: $vgpr22
                                        ; implicit-def: $vgpr23
.LBB65_19:                              ;   in Loop: Header=BB65_8 Depth=1
	v_mov_b32_e32 v49, v51
	s_waitcnt vmcnt(7)
	v_mov_b32_e32 v23, 0
	s_waitcnt vmcnt(6)
	;; [unrolled: 2-line block ×8, first 2 shown]
	v_mov_b32_e32 v16, 0
	s_branch .LBB65_6
.LBB65_20:
	s_endpgm
	.section	.rodata,"a",@progbits
	.p2align	6, 0x0
	.amdhsa_kernel _Z16wvSplitK_hf_sml_I6__halfLi64ELi4ELi16ELi8ELi2ELi2EEviiiiiiPKT_S3_S3_PS1_ii
		.amdhsa_group_segment_fixed_size 65536
		.amdhsa_private_segment_fixed_size 0
		.amdhsa_kernarg_size 64
		.amdhsa_user_sgpr_count 2
		.amdhsa_user_sgpr_dispatch_ptr 0
		.amdhsa_user_sgpr_queue_ptr 0
		.amdhsa_user_sgpr_kernarg_segment_ptr 1
		.amdhsa_user_sgpr_dispatch_id 0
		.amdhsa_user_sgpr_kernarg_preload_length 0
		.amdhsa_user_sgpr_kernarg_preload_offset 0
		.amdhsa_user_sgpr_private_segment_size 0
		.amdhsa_uses_dynamic_stack 0
		.amdhsa_enable_private_segment 0
		.amdhsa_system_sgpr_workgroup_id_x 1
		.amdhsa_system_sgpr_workgroup_id_y 0
		.amdhsa_system_sgpr_workgroup_id_z 0
		.amdhsa_system_sgpr_workgroup_info 0
		.amdhsa_system_vgpr_workitem_id 1
		.amdhsa_next_free_vgpr 72
		.amdhsa_next_free_sgpr 28
		.amdhsa_accum_offset 72
		.amdhsa_reserve_vcc 1
		.amdhsa_float_round_mode_32 0
		.amdhsa_float_round_mode_16_64 0
		.amdhsa_float_denorm_mode_32 3
		.amdhsa_float_denorm_mode_16_64 3
		.amdhsa_dx10_clamp 1
		.amdhsa_ieee_mode 1
		.amdhsa_fp16_overflow 0
		.amdhsa_tg_split 0
		.amdhsa_exception_fp_ieee_invalid_op 0
		.amdhsa_exception_fp_denorm_src 0
		.amdhsa_exception_fp_ieee_div_zero 0
		.amdhsa_exception_fp_ieee_overflow 0
		.amdhsa_exception_fp_ieee_underflow 0
		.amdhsa_exception_fp_ieee_inexact 0
		.amdhsa_exception_int_div_zero 0
	.end_amdhsa_kernel
	.section	.text._Z16wvSplitK_hf_sml_I6__halfLi64ELi4ELi16ELi8ELi2ELi2EEviiiiiiPKT_S3_S3_PS1_ii,"axG",@progbits,_Z16wvSplitK_hf_sml_I6__halfLi64ELi4ELi16ELi8ELi2ELi2EEviiiiiiPKT_S3_S3_PS1_ii,comdat
.Lfunc_end65:
	.size	_Z16wvSplitK_hf_sml_I6__halfLi64ELi4ELi16ELi8ELi2ELi2EEviiiiiiPKT_S3_S3_PS1_ii, .Lfunc_end65-_Z16wvSplitK_hf_sml_I6__halfLi64ELi4ELi16ELi8ELi2ELi2EEviiiiiiPKT_S3_S3_PS1_ii
                                        ; -- End function
	.section	.AMDGPU.csdata,"",@progbits
; Kernel info:
; codeLenInByte = 3068
; NumSgprs: 34
; NumVgprs: 72
; NumAgprs: 0
; TotalNumVgprs: 72
; ScratchSize: 0
; MemoryBound: 0
; FloatMode: 240
; IeeeMode: 1
; LDSByteSize: 65536 bytes/workgroup (compile time only)
; SGPRBlocks: 4
; VGPRBlocks: 8
; NumSGPRsForWavesPerEU: 34
; NumVGPRsForWavesPerEU: 72
; AccumOffset: 72
; Occupancy: 4
; WaveLimiterHint : 0
; COMPUTE_PGM_RSRC2:SCRATCH_EN: 0
; COMPUTE_PGM_RSRC2:USER_SGPR: 2
; COMPUTE_PGM_RSRC2:TRAP_HANDLER: 0
; COMPUTE_PGM_RSRC2:TGID_X_EN: 1
; COMPUTE_PGM_RSRC2:TGID_Y_EN: 0
; COMPUTE_PGM_RSRC2:TGID_Z_EN: 0
; COMPUTE_PGM_RSRC2:TIDIG_COMP_CNT: 1
; COMPUTE_PGM_RSRC3_GFX90A:ACCUM_OFFSET: 17
; COMPUTE_PGM_RSRC3_GFX90A:TG_SPLIT: 0
	.section	.text._Z12wvSplitK_hf_I6__halfLi64ELi4ELi16ELi8ELi2ELi2EEviiiiiiPKT_S3_S3_PS1_ii,"axG",@progbits,_Z12wvSplitK_hf_I6__halfLi64ELi4ELi16ELi8ELi2ELi2EEviiiiiiPKT_S3_S3_PS1_ii,comdat
	.protected	_Z12wvSplitK_hf_I6__halfLi64ELi4ELi16ELi8ELi2ELi2EEviiiiiiPKT_S3_S3_PS1_ii ; -- Begin function _Z12wvSplitK_hf_I6__halfLi64ELi4ELi16ELi8ELi2ELi2EEviiiiiiPKT_S3_S3_PS1_ii
	.globl	_Z12wvSplitK_hf_I6__halfLi64ELi4ELi16ELi8ELi2ELi2EEviiiiiiPKT_S3_S3_PS1_ii
	.p2align	8
	.type	_Z12wvSplitK_hf_I6__halfLi64ELi4ELi16ELi8ELi2ELi2EEviiiiiiPKT_S3_S3_PS1_ii,@function
_Z12wvSplitK_hf_I6__halfLi64ELi4ELi16ELi8ELi2ELi2EEviiiiiiPKT_S3_S3_PS1_ii: ; @_Z12wvSplitK_hf_I6__halfLi64ELi4ELi16ELi8ELi2ELi2EEviiiiiiPKT_S3_S3_PS1_ii
; %bb.0:
	s_load_dwordx2 s[8:9], s[0:1], 0x38
	s_load_dwordx4 s[12:15], s[0:1], 0x0
	s_load_dwordx2 s[10:11], s[0:1], 0x10
	v_bfe_u32 v7, v0, 10, 10
	s_mov_b32 s4, 1
	s_waitcnt lgkmcnt(0)
	s_mul_i32 s2, s2, s8
	v_add_lshl_u32 v54, s2, v7, 2
	v_add_u32_e32 v1, 4, v54
	s_mov_b32 s5, s4
	v_cmp_gt_u32_e32 vcc, s15, v54
	v_cmp_le_u32_e64 s[2:3], s15, v1
	s_mov_b32 s6, s4
	s_mov_b32 s7, s4
	v_mov_b64_e32 v[2:3], s[4:5]
	s_and_b64 s[16:17], vcc, s[2:3]
	v_mov_b64_e32 v[4:5], s[6:7]
	s_and_saveexec_b64 s[2:3], s[16:17]
	s_cbranch_execz .LBB66_6
; %bb.1:
	s_add_i32 s22, s15, -4
	v_mov_b64_e32 v[2:3], s[4:5]
	v_cmp_ne_u32_e32 vcc, s22, v54
	v_mov_b64_e32 v[4:5], s[6:7]
	s_and_saveexec_b64 s[16:17], vcc
	s_cbranch_execz .LBB66_5
; %bb.2:
	v_subrev_u32_e32 v1, s22, v54
	v_cmp_lt_u32_e32 vcc, 1, v1
	s_mov_b64 s[18:19], 0
	s_mov_b64 s[20:21], 0
	v_cndmask_b32_e32 v6, 1, v1, vcc
	s_mov_b32 s5, s4
	s_mov_b32 s6, s4
	;; [unrolled: 1-line block ×3, first 2 shown]
.LBB66_3:                               ; =>This Inner Loop Header: Depth=1
	s_cmp_lg_u32 s20, 3
	s_cselect_b32 s7, s7, 0
	s_cmp_lg_u32 s20, 2
	s_cselect_b32 s6, s6, 0
	;; [unrolled: 2-line block ×4, first 2 shown]
	s_add_u32 s20, s20, 1
	s_addc_u32 s21, s21, 0
	v_cmp_eq_u32_e32 vcc, s20, v6
	v_mov_b64_e32 v[2:3], s[4:5]
	s_or_b64 s[18:19], vcc, s[18:19]
	v_mov_b64_e32 v[4:5], s[6:7]
	s_andn2_b64 exec, exec, s[18:19]
	s_cbranch_execnz .LBB66_3
; %bb.4:
	s_or_b64 exec, exec, s[18:19]
	v_mov_b32_e32 v54, s22
.LBB66_5:
	s_or_b64 exec, exec, s[16:17]
.LBB66_6:
	s_or_b64 exec, exec, s[2:3]
	s_load_dwordx4 s[16:19], s[0:1], 0x20
	v_and_b32_e32 v6, 0x3ff, v0
	v_lshlrev_b32_e32 v74, 3, v6
	s_lshl_b32 s2, s14, 1
	v_lshl_add_u32 v8, v7, 9, v74
	s_min_u32 s20, s2, 0x8000
	v_cmp_gt_u32_e32 vcc, s20, v8
	s_and_saveexec_b64 s[2:3], vcc
	s_cbranch_execz .LBB66_9
; %bb.7:
	v_mov_b32_e32 v11, 0
	v_lshlrev_b32_e32 v10, 10, v7
	v_lshlrev_b32_e32 v12, 4, v6
	v_mov_b32_e32 v13, v11
	v_lshl_add_u64 v[0:1], v[10:11], 0, v[12:13]
	s_waitcnt lgkmcnt(0)
	v_lshl_add_u64 v[0:1], s[16:17], 0, v[0:1]
	v_add_u32_e32 v9, v10, v12
	s_mov_b64 s[4:5], 0
	s_mov_b64 s[6:7], 0x4000
.LBB66_8:                               ; =>This Inner Loop Header: Depth=1
	global_load_dwordx4 v[10:13], v[0:1], off
	v_add_u32_e32 v8, 0x2000, v8
	v_cmp_le_u32_e32 vcc, s20, v8
	v_lshl_add_u64 v[0:1], v[0:1], 0, s[6:7]
	s_or_b64 s[4:5], vcc, s[4:5]
	s_waitcnt vmcnt(0)
	ds_write_b128 v9, v[10:13]
	v_add_u32_e32 v9, 0x4000, v9
	s_andn2_b64 exec, exec, s[4:5]
	s_cbranch_execnz .LBB66_8
.LBB66_9:
	s_or_b64 exec, exec, s[2:3]
	v_cmp_gt_u32_e32 vcc, s8, v7
	v_cmp_gt_u32_e64 s[2:3], s15, v54
	s_and_b64 s[2:3], vcc, s[2:3]
	s_waitcnt lgkmcnt(0)
	s_barrier
	s_and_saveexec_b64 s[4:5], s[2:3]
	s_cbranch_execz .LBB66_60
; %bb.10:
	v_cvt_f32_u32_e32 v0, s10
	s_cmp_lg_u32 s12, 0
	s_cselect_b64 s[2:3], -1, 0
	s_add_i32 s33, s12, -8
	v_rcp_iflag_f32_e32 v0, v0
	s_add_i32 s36, s15, -1
	s_mul_i32 s4, s8, s9
	s_cmp_lg_u64 s[18:19], 0
	v_mul_f32_e32 v0, 0x4f7ffffe, v0
	v_cvt_u32_f32_e32 v0, v0
	s_cselect_b64 s[26:27], -1, 0
	s_lshl_b32 s37, s4, 2
	s_sub_i32 s4, 0, s10
	v_mul_lo_u32 v1, s4, v0
	s_abs_i32 s4, s11
	s_add_i32 s38, s15, -4
	s_sub_i32 s5, 1, s4
	s_cmp_lt_u32 s4, 2
	s_load_dwordx2 s[20:21], s[0:1], 0x18
	s_load_dwordx2 s[22:23], s[0:1], 0x30
	s_cselect_b32 s5, s5, 1
	s_sub_i32 s6, s5, s4
	v_mul_hi_u32 v1, v0, v1
	s_cmp_ge_u32 s5, s4
	v_add_u32_e32 v75, v0, v1
	s_cselect_b32 s11, s6, s5
	v_cndmask_b32_e64 v0, 0, 1, s[2:3]
	v_cmp_eq_u32_e64 s[0:1], 63, v6
	s_mov_b64 s[24:25], 0
	v_mov_b32_e32 v1, 0
	s_mul_i32 s11, s11, s10
	v_cmp_ne_u32_e64 s[2:3], 1, v0
	s_movk_i32 s39, 0x7fff
	s_mov_b32 s28, 0
	s_branch .LBB66_13
.LBB66_11:                              ;   in Loop: Header=BB66_13 Depth=1
	s_or_b64 exec, exec, s[8:9]
	v_mov_b32_e32 v54, s38
.LBB66_12:                              ;   in Loop: Header=BB66_13 Depth=1
	s_or_b64 exec, exec, s[6:7]
	v_cmp_le_u32_e32 vcc, s15, v54
	s_or_b64 s[24:25], vcc, s[24:25]
	s_andn2_b64 exec, exec, s[24:25]
	s_cbranch_execz .LBB66_60
.LBB66_13:                              ; =>This Loop Header: Depth=1
                                        ;     Child Loop BB66_18 Depth 2
                                        ;     Child Loop BB66_51 Depth 2
	s_and_b64 vcc, exec, s[2:3]
	v_add_u32_e32 v60, 1, v54
	v_add_u32_e32 v58, 2, v54
	;; [unrolled: 1-line block ×3, first 2 shown]
	v_mov_b32_e32 v79, v1
	v_mov_b32_e32 v78, v1
	v_mov_b32_e32 v77, v1
	v_mov_b32_e32 v76, v1
	v_mov_b32_e32 v61, v1
	v_mov_b32_e32 v59, v1
	v_mov_b32_e32 v57, v1
	v_mov_b32_e32 v55, v1
	s_cbranch_vccnz .LBB66_36
; %bb.14:                               ;   in Loop: Header=BB66_13 Depth=1
	v_min_u32_e32 v0, s36, v54
	v_min_u32_e32 v6, s36, v60
	;; [unrolled: 1-line block ×4, first 2 shown]
	v_mul_lo_u32 v0, v0, s13
	v_mul_lo_u32 v6, v6, s13
	v_mov_b32_e32 v7, v1
	v_mul_lo_u32 v8, v8, s13
	v_mov_b32_e32 v9, v1
	;; [unrolled: 2-line block ×3, first 2 shown]
	v_mov_b32_e32 v55, 0
	v_lshlrev_b64 v[62:63], 1, v[0:1]
	v_lshlrev_b64 v[64:65], 1, v[6:7]
	;; [unrolled: 1-line block ×4, first 2 shown]
	v_mov_b32_e32 v57, 0
	v_mov_b32_e32 v59, 0
	v_mov_b32_e32 v61, 0
	v_mov_b32_e32 v76, 0
	v_mov_b32_e32 v77, 0
	v_mov_b32_e32 v78, 0
	v_mov_b32_e32 v79, 0
	s_mov_b32 s30, s28
	s_branch .LBB66_18
.LBB66_15:                              ;   in Loop: Header=BB66_18 Depth=2
	s_or_b64 exec, exec, s[8:9]
.LBB66_16:                              ;   in Loop: Header=BB66_18 Depth=2
	s_or_b64 exec, exec, s[6:7]
.LBB66_17:                              ;   in Loop: Header=BB66_18 Depth=2
	s_or_b64 exec, exec, s[4:5]
	s_waitcnt vmcnt(0) lgkmcnt(0)
	;;#ASMSTART
	v_dot2c_f32_f16 v79, v46, v34
	;;#ASMEND
	;;#ASMSTART
	v_dot2c_f32_f16 v78, v46, v30
	;;#ASMEND
	;;#ASMSTART
	v_dot2c_f32_f16 v77, v46, v26
	;;#ASMEND
	;;#ASMSTART
	v_dot2c_f32_f16 v76, v46, v22
	;;#ASMEND
	;;#ASMSTART
	v_dot2c_f32_f16 v61, v38, v34
	;;#ASMEND
	;;#ASMSTART
	v_dot2c_f32_f16 v59, v38, v30
	;;#ASMEND
	;;#ASMSTART
	v_dot2c_f32_f16 v57, v38, v26
	;;#ASMEND
	;;#ASMSTART
	v_dot2c_f32_f16 v55, v38, v22
	;;#ASMEND
	s_nop 0
	;;#ASMSTART
	v_dot2c_f32_f16 v79, v47, v35
	;;#ASMEND
	;;#ASMSTART
	v_dot2c_f32_f16 v78, v47, v31
	;;#ASMEND
	;;#ASMSTART
	v_dot2c_f32_f16 v77, v47, v27
	;;#ASMEND
	;;#ASMSTART
	v_dot2c_f32_f16 v76, v47, v23
	;;#ASMEND
	;;#ASMSTART
	v_dot2c_f32_f16 v61, v39, v35
	;;#ASMEND
	;;#ASMSTART
	v_dot2c_f32_f16 v59, v39, v31
	;;#ASMEND
	;;#ASMSTART
	v_dot2c_f32_f16 v57, v39, v27
	;;#ASMEND
	;;#ASMSTART
	v_dot2c_f32_f16 v55, v39, v23
	;;#ASMEND
	s_nop 0
	;; [unrolled: 25-line block ×5, first 2 shown]
	;;#ASMSTART
	v_dot2c_f32_f16 v79, v51, v19
	;;#ASMEND
	;;#ASMSTART
	v_dot2c_f32_f16 v78, v51, v15
	;;#ASMEND
	;; [unrolled: 3-line block ×8, first 2 shown]
	s_addk_i32 s30, 0x400
	;;#ASMSTART
	v_dot2c_f32_f16 v79, v52, v20
	;;#ASMEND
	;;#ASMSTART
	v_dot2c_f32_f16 v78, v52, v16
	;;#ASMEND
	;; [unrolled: 3-line block ×8, first 2 shown]
	s_cmp_ge_u32 s30, s12
	;;#ASMSTART
	v_dot2c_f32_f16 v79, v53, v21
	;;#ASMEND
	;;#ASMSTART
	v_dot2c_f32_f16 v78, v53, v17
	;;#ASMEND
	;; [unrolled: 3-line block ×8, first 2 shown]
	s_cbranch_scc1 .LBB66_36
.LBB66_18:                              ;   Parent Loop BB66_13 Depth=1
                                        ; =>  This Inner Loop Header: Depth=2
	v_add_u32_e32 v72, s30, v74
	v_min_u32_e32 v0, s33, v72
	s_waitcnt lgkmcnt(0)
	v_lshl_add_u64 v[6:7], v[0:1], 1, s[20:21]
	v_lshl_add_u64 v[8:9], v[6:7], 0, v[62:63]
	v_add_u32_e32 v70, 0x200, v72
	v_lshl_add_u64 v[10:11], v[6:7], 0, v[64:65]
	global_load_dwordx4 v[34:37], v[8:9], off nt
	global_load_dwordx4 v[30:33], v[10:11], off nt
	v_lshl_add_u64 v[8:9], v[6:7], 0, v[66:67]
	v_lshl_add_u64 v[6:7], v[6:7], 0, v[68:69]
	v_min_u32_e32 v0, s33, v70
	global_load_dwordx4 v[26:29], v[8:9], off nt
	global_load_dwordx4 v[22:25], v[6:7], off nt
	v_lshl_add_u64 v[6:7], v[0:1], 1, s[20:21]
	v_lshl_add_u64 v[8:9], v[6:7], 0, v[62:63]
	;; [unrolled: 1-line block ×3, first 2 shown]
	global_load_dwordx4 v[18:21], v[8:9], off nt
	global_load_dwordx4 v[14:17], v[10:11], off nt
	v_lshl_add_u64 v[8:9], v[6:7], 0, v[66:67]
	v_lshl_add_u64 v[6:7], v[6:7], 0, v[68:69]
	global_load_dwordx4 v[10:13], v[8:9], off nt
	s_nop 0
	global_load_dwordx4 v[6:9], v[6:7], off nt
	s_mov_b32 s29, s28
	v_cmp_gt_u32_e32 vcc, s12, v72
	v_mov_b64_e32 v[52:53], s[28:29]
	v_mov_b32_e32 v45, 0
	v_mov_b32_e32 v44, 0
	;; [unrolled: 1-line block ×4, first 2 shown]
	v_mov_b64_e32 v[50:51], s[28:29]
	v_mov_b64_e32 v[40:41], s[28:29]
	;; [unrolled: 1-line block ×5, first 2 shown]
	s_and_saveexec_b64 s[4:5], vcc
	s_cbranch_execz .LBB66_17
; %bb.19:                               ;   in Loop: Header=BB66_18 Depth=2
	v_cmp_lt_u32_e32 vcc, s39, v72
                                        ; implicit-def: $vgpr48_vgpr49
	s_and_saveexec_b64 s[6:7], vcc
	s_xor_b64 s[6:7], exec, s[6:7]
	s_cbranch_execz .LBB66_21
; %bb.20:                               ;   in Loop: Header=BB66_18 Depth=2
	v_mov_b32_e32 v73, v1
	v_lshl_add_u64 v[38:39], v[72:73], 1, s[16:17]
	global_load_dwordx4 v[46:49], v[38:39], off
.LBB66_21:                              ;   in Loop: Header=BB66_18 Depth=2
	s_andn2_saveexec_b64 s[6:7], s[6:7]
	s_cbranch_execz .LBB66_23
; %bb.22:                               ;   in Loop: Header=BB66_18 Depth=2
	v_lshlrev_b32_e32 v0, 1, v72
	s_waitcnt vmcnt(0)
	ds_read_b128 v[46:49], v0
.LBB66_23:                              ;   in Loop: Header=BB66_18 Depth=2
	s_or_b64 exec, exec, s[6:7]
	v_add_u32_e32 v0, s14, v72
	v_cmp_lt_u32_e32 vcc, s39, v0
                                        ; implicit-def: $vgpr40_vgpr41
	s_and_saveexec_b64 s[6:7], vcc
	s_xor_b64 s[6:7], exec, s[6:7]
	s_cbranch_execz .LBB66_25
; %bb.24:                               ;   in Loop: Header=BB66_18 Depth=2
	v_lshl_add_u64 v[38:39], v[0:1], 1, s[16:17]
	global_load_dwordx4 v[38:41], v[38:39], off
.LBB66_25:                              ;   in Loop: Header=BB66_18 Depth=2
	s_andn2_saveexec_b64 s[6:7], s[6:7]
	s_cbranch_execz .LBB66_27
; %bb.26:                               ;   in Loop: Header=BB66_18 Depth=2
	s_waitcnt vmcnt(0)
	v_lshlrev_b32_e32 v38, 1, v0
	ds_read_b128 v[38:41], v38
.LBB66_27:                              ;   in Loop: Header=BB66_18 Depth=2
	s_or_b64 exec, exec, s[6:7]
	s_mov_b32 s29, s28
	v_cmp_gt_u32_e32 vcc, s12, v70
	v_mov_b32_e32 v45, 0
	v_mov_b64_e32 v[52:53], s[28:29]
	v_mov_b32_e32 v44, 0
	v_mov_b32_e32 v43, 0
	;; [unrolled: 1-line block ×3, first 2 shown]
	v_mov_b64_e32 v[50:51], s[28:29]
	s_and_saveexec_b64 s[6:7], vcc
	s_cbranch_execz .LBB66_16
; %bb.28:                               ;   in Loop: Header=BB66_18 Depth=2
	v_cmp_lt_u32_e32 vcc, s39, v70
                                        ; implicit-def: $vgpr52_vgpr53
	s_and_saveexec_b64 s[8:9], vcc
	s_xor_b64 s[8:9], exec, s[8:9]
	s_cbranch_execz .LBB66_30
; %bb.29:                               ;   in Loop: Header=BB66_18 Depth=2
	v_mov_b32_e32 v71, v1
	v_lshl_add_u64 v[42:43], v[70:71], 1, s[16:17]
	global_load_dwordx4 v[50:53], v[42:43], off
                                        ; implicit-def: $vgpr72
.LBB66_30:                              ;   in Loop: Header=BB66_18 Depth=2
	s_andn2_saveexec_b64 s[8:9], s[8:9]
	s_cbranch_execz .LBB66_32
; %bb.31:                               ;   in Loop: Header=BB66_18 Depth=2
	v_lshlrev_b32_e32 v42, 1, v72
	s_waitcnt vmcnt(0)
	ds_read_b128 v[50:53], v42 offset:1024
.LBB66_32:                              ;   in Loop: Header=BB66_18 Depth=2
	s_or_b64 exec, exec, s[8:9]
	v_add_u32_e32 v42, s14, v70
	v_cmp_lt_u32_e32 vcc, s39, v42
                                        ; implicit-def: $vgpr45
	s_and_saveexec_b64 s[8:9], vcc
	s_xor_b64 s[8:9], exec, s[8:9]
	s_cbranch_execz .LBB66_34
; %bb.33:                               ;   in Loop: Header=BB66_18 Depth=2
	v_mov_b32_e32 v43, v1
	v_lshl_add_u64 v[42:43], v[42:43], 1, s[16:17]
	global_load_dwordx4 v[42:45], v[42:43], off
.LBB66_34:                              ;   in Loop: Header=BB66_18 Depth=2
	s_andn2_saveexec_b64 s[8:9], s[8:9]
	s_cbranch_execz .LBB66_15
; %bb.35:                               ;   in Loop: Header=BB66_18 Depth=2
	v_lshlrev_b32_e32 v0, 1, v0
	s_waitcnt vmcnt(0)
	ds_read_b128 v[42:45], v0 offset:1024
	s_branch .LBB66_15
.LBB66_36:                              ;   in Loop: Header=BB66_13 Depth=1
	v_cvt_i32_f32_e32 v0, v79
	v_cvt_i32_f32_e32 v6, v78
	;; [unrolled: 1-line block ×4, first 2 shown]
	v_cvt_f32_i32_dpp v0, v0 row_shr:8 row_mask:0xf bank_mask:0xf bound_ctrl:1
	v_cvt_f32_i32_dpp v6, v6 row_shr:8 row_mask:0xf bank_mask:0xf bound_ctrl:1
	;; [unrolled: 1-line block ×4, first 2 shown]
	v_add_f32_e32 v0, v79, v0
	v_cvt_i32_f32_e32 v9, v0
	v_add_f32_e32 v6, v78, v6
	v_cvt_i32_f32_e32 v10, v6
	v_add_f32_e32 v7, v77, v7
	v_cvt_f32_i32_dpp v9, v9 row_shr:4 row_mask:0xf bank_mask:0xf bound_ctrl:1
	v_cvt_i32_f32_e32 v11, v7
	v_cvt_f32_i32_dpp v10, v10 row_shr:4 row_mask:0xf bank_mask:0xf bound_ctrl:1
	v_add_f32_e32 v8, v76, v8
	v_add_f32_e32 v0, v0, v9
	v_cvt_i32_f32_e32 v9, v0
	v_add_f32_e32 v6, v6, v10
	v_cvt_i32_f32_e32 v10, v6
	v_cvt_f32_i32_dpp v11, v11 row_shr:4 row_mask:0xf bank_mask:0xf bound_ctrl:1
	v_cvt_f32_i32_dpp v9, v9 row_shr:2 row_mask:0xf bank_mask:0xf bound_ctrl:1
	v_cvt_i32_f32_e32 v12, v8
	v_cvt_f32_i32_dpp v10, v10 row_shr:2 row_mask:0xf bank_mask:0xf bound_ctrl:1
	v_add_f32_e32 v7, v7, v11
	v_add_f32_e32 v0, v0, v9
	v_cvt_i32_f32_e32 v9, v0
	v_cvt_i32_f32_e32 v11, v7
	v_add_f32_e32 v6, v6, v10
	v_cvt_i32_f32_e32 v10, v6
	v_cvt_f32_i32_dpp v9, v9 row_shr:1 row_mask:0xf bank_mask:0xf bound_ctrl:1
	v_cvt_f32_i32_dpp v12, v12 row_shr:4 row_mask:0xf bank_mask:0xf bound_ctrl:1
	;; [unrolled: 1-line block ×4, first 2 shown]
	v_add_f32_e32 v0, v0, v9
	v_cvt_i32_f32_e32 v9, v0
	v_add_f32_e32 v8, v8, v12
	v_add_f32_e32 v7, v7, v11
	v_cvt_i32_f32_e32 v12, v8
	v_cvt_f32_i32_dpp v9, v9 row_bcast:15 row_mask:0xf bank_mask:0xf bound_ctrl:1
	v_add_f32_e32 v6, v6, v10
	v_cvt_i32_f32_e32 v11, v7
	v_cvt_i32_f32_e32 v10, v6
	v_add_f32_e32 v9, v0, v9
	v_cvt_i32_f32_e32 v0, v9
	v_cvt_f32_i32_dpp v11, v11 row_shr:1 row_mask:0xf bank_mask:0xf bound_ctrl:1
	v_cvt_f32_i32_dpp v13, v12 row_shr:2 row_mask:0xf bank_mask:0xf bound_ctrl:1
	v_cvt_f32_i32_dpp v10, v10 row_bcast:15 row_mask:0xf bank_mask:0xf bound_ctrl:1
	v_mov_b32_dpp v12, v0 row_bcast:31 row_mask:0xf bank_mask:0xf bound_ctrl:1
	v_add_f32_e32 v0, v7, v11
	v_cvt_i32_f32_e32 v7, v61
	v_add_f32_e32 v8, v8, v13
	v_add_f32_e32 v6, v6, v10
	v_cvt_i32_f32_e32 v10, v8
	v_cvt_f32_i32_dpp v7, v7 row_shr:8 row_mask:0xf bank_mask:0xf bound_ctrl:1
	v_cvt_i32_f32_e32 v11, v0
	v_cvt_i32_f32_e32 v13, v6
	v_cvt_f32_i32_dpp v10, v10 row_shr:1 row_mask:0xf bank_mask:0xf bound_ctrl:1
	v_add_f32_e32 v15, v61, v7
	v_cvt_i32_f32_e32 v7, v15
	v_cvt_f32_i32_dpp v11, v11 row_bcast:15 row_mask:0xf bank_mask:0xf bound_ctrl:1
	v_add_f32_e32 v8, v8, v10
	v_cvt_i32_f32_e32 v10, v8
	v_mov_b32_dpp v14, v13 row_bcast:31 row_mask:0xf bank_mask:0xf bound_ctrl:1
	v_cvt_f32_i32_dpp v13, v7 row_shr:4 row_mask:0xf bank_mask:0xf bound_ctrl:1
	v_add_f32_e32 v7, v0, v11
	v_cvt_f32_i32_dpp v0, v10 row_bcast:15 row_mask:0xf bank_mask:0xf bound_ctrl:1
	v_cvt_i32_f32_e32 v10, v59
	v_add_f32_e32 v11, v15, v13
	v_cvt_i32_f32_e32 v13, v11
	v_add_f32_e32 v8, v8, v0
	v_cvt_f32_i32_dpp v10, v10 row_shr:8 row_mask:0xf bank_mask:0xf bound_ctrl:1
	v_cvt_i32_f32_e32 v15, v7
	v_cvt_f32_i32_dpp v0, v13 row_shr:2 row_mask:0xf bank_mask:0xf bound_ctrl:1
	v_cvt_i32_f32_e32 v13, v8
	v_add_f32_e32 v10, v59, v10
	v_cvt_i32_f32_e32 v17, v10
	v_add_f32_e32 v0, v11, v0
	v_cvt_i32_f32_e32 v18, v0
	v_mov_b32_dpp v16, v15 row_bcast:31 row_mask:0xf bank_mask:0xf bound_ctrl:1
	v_cvt_f32_i32_dpp v15, v17 row_shr:4 row_mask:0xf bank_mask:0xf bound_ctrl:1
	v_mov_b32_dpp v11, v13 row_bcast:31 row_mask:0xf bank_mask:0xf bound_ctrl:1
	v_cvt_f32_i32_dpp v13, v18 row_shr:1 row_mask:0xf bank_mask:0xf bound_ctrl:1
	v_cvt_i32_f32_e32 v17, v57
	v_add_f32_e32 v10, v10, v15
	v_cvt_i32_f32_e32 v15, v55
	v_add_f32_e32 v0, v0, v13
	v_cvt_f32_i32_dpp v17, v17 row_shr:8 row_mask:0xf bank_mask:0xf bound_ctrl:1
	v_cvt_i32_f32_e32 v18, v10
	v_cvt_f32_i32_dpp v13, v15 row_shr:8 row_mask:0xf bank_mask:0xf bound_ctrl:1
	v_cvt_i32_f32_e32 v20, v0
	v_add_f32_e32 v17, v57, v17
	v_cvt_f32_i32_dpp v15, v18 row_shr:2 row_mask:0xf bank_mask:0xf bound_ctrl:1
	v_add_f32_e32 v13, v55, v13
	v_cvt_i32_f32_e32 v18, v17
	v_cvt_i32_f32_e32 v19, v13
	v_add_f32_e32 v10, v10, v15
	v_cvt_f32_i32_dpp v20, v20 row_bcast:15 row_mask:0xf bank_mask:0xf bound_ctrl:1
	v_cvt_f32_i32_dpp v18, v18 row_shr:4 row_mask:0xf bank_mask:0xf bound_ctrl:1
	v_cvt_f32_i32_dpp v15, v19 row_shr:4 row_mask:0xf bank_mask:0xf bound_ctrl:1
	v_cvt_i32_f32_e32 v19, v10
	v_add_f32_e32 v17, v17, v18
	v_add_f32_e32 v13, v13, v15
	v_cvt_i32_f32_e32 v18, v17
	v_cvt_i32_f32_e32 v15, v13
	v_cvt_f32_i32_dpp v19, v19 row_shr:1 row_mask:0xf bank_mask:0xf bound_ctrl:1
	v_cvt_f32_i32_dpp v18, v18 row_shr:2 row_mask:0xf bank_mask:0xf bound_ctrl:1
	;; [unrolled: 1-line block ×3, first 2 shown]
	v_add_f32_e32 v10, v10, v19
	v_add_f32_e32 v19, v0, v20
	;; [unrolled: 1-line block ×4, first 2 shown]
	v_cvt_i32_f32_e32 v18, v17
	v_cvt_i32_f32_e32 v15, v13
	;; [unrolled: 1-line block ×4, first 2 shown]
	v_cvt_f32_i32_dpp v18, v18 row_shr:1 row_mask:0xf bank_mask:0xf bound_ctrl:1
	v_cvt_f32_i32_dpp v0, v15 row_shr:1 row_mask:0xf bank_mask:0xf bound_ctrl:1
	v_cvt_f32_i32_dpp v15, v21 row_bcast:15 row_mask:0xf bank_mask:0xf bound_ctrl:1
	v_add_f32_e32 v17, v17, v18
	v_add_f32_e32 v0, v13, v0
	v_cvt_i32_f32_e32 v18, v17
	v_cvt_i32_f32_e32 v13, v0
	s_nop 0
	v_cvt_f32_i32_dpp v21, v18 row_bcast:15 row_mask:0xf bank_mask:0xf bound_ctrl:1
	v_add_f32_e32 v18, v10, v15
	v_cvt_f32_i32_dpp v10, v13 row_bcast:15 row_mask:0xf bank_mask:0xf bound_ctrl:1
	v_cvt_i32_f32_e32 v13, v18
	v_add_f32_e32 v15, v17, v21
	v_cvt_i32_f32_e32 v17, v15
	v_add_f32_e32 v10, v0, v10
	v_cvt_i32_f32_e32 v0, v10
	v_mov_b32_dpp v21, v20 row_bcast:31 row_mask:0xf bank_mask:0xf bound_ctrl:1
	v_mov_b32_dpp v20, v13 row_bcast:31 row_mask:0xf bank_mask:0xf bound_ctrl:1
	;; [unrolled: 1-line block ×4, first 2 shown]
	s_and_saveexec_b64 s[30:31], s[0:1]
	s_cbranch_execz .LBB66_48
; %bb.37:                               ;   in Loop: Header=BB66_13 Depth=1
	s_andn2_b64 vcc, exec, s[26:27]
	v_mov_b32_e32 v28, 0
	v_mov_b32_e32 v27, 0
	;; [unrolled: 1-line block ×4, first 2 shown]
	s_waitcnt vmcnt(3)
	v_mov_b32_e32 v25, 0
	s_waitcnt vmcnt(2)
	v_mov_b32_e32 v24, 0
	;; [unrolled: 2-line block ×4, first 2 shown]
	s_cbranch_vccnz .LBB66_39
; %bb.38:                               ;   in Loop: Header=BB66_13 Depth=1
	v_mul_hi_u32 v0, v54, v75
	v_mul_lo_u32 v0, v0, s10
	v_sub_u32_e32 v0, v54, v0
	v_subrev_u32_e32 v22, s10, v0
	v_cmp_le_u32_e32 vcc, s10, v0
	v_mov_b32_e32 v25, v1
	v_mov_b32_e32 v27, v1
	v_cndmask_b32_e32 v0, v0, v22, vcc
	v_subrev_u32_e32 v22, s10, v0
	v_cmp_le_u32_e32 vcc, s10, v0
	s_nop 1
	v_cndmask_b32_e32 v0, v0, v22, vcc
	v_mul_hi_u32 v22, v60, v75
	v_mul_lo_u32 v22, v22, s10
	v_sub_u32_e32 v22, v60, v22
	v_subrev_u32_e32 v23, s10, v22
	v_cmp_le_u32_e32 vcc, s10, v22
	v_lshl_add_u64 v[30:31], v[0:1], 1, s[18:19]
	v_add_u32_e32 v0, s11, v0
	v_cndmask_b32_e32 v22, v22, v23, vcc
	v_subrev_u32_e32 v23, s10, v22
	v_cmp_le_u32_e32 vcc, s10, v22
	v_lshl_add_u64 v[38:39], v[0:1], 1, s[18:19]
	s_nop 0
	v_cndmask_b32_e32 v22, v22, v23, vcc
	v_mov_b32_e32 v23, v1
	v_lshl_add_u64 v[32:33], v[22:23], 1, s[18:19]
	v_mul_hi_u32 v23, v58, v75
	v_mul_lo_u32 v23, v23, s10
	v_sub_u32_e32 v23, v58, v23
	v_subrev_u32_e32 v24, s10, v23
	v_cmp_le_u32_e32 vcc, s10, v23
	v_add_u32_e32 v0, s11, v22
	v_lshl_add_u64 v[40:41], v[0:1], 1, s[18:19]
	v_cndmask_b32_e32 v23, v23, v24, vcc
	v_subrev_u32_e32 v24, s10, v23
	v_cmp_le_u32_e32 vcc, s10, v23
	s_nop 1
	v_cndmask_b32_e32 v24, v23, v24, vcc
	v_mul_hi_u32 v23, v56, v75
	v_mul_lo_u32 v23, v23, s10
	v_sub_u32_e32 v23, v56, v23
	v_lshl_add_u64 v[34:35], v[24:25], 1, s[18:19]
	v_subrev_u32_e32 v25, s10, v23
	v_cmp_le_u32_e32 vcc, s10, v23
	v_add_u32_e32 v0, s11, v24
	v_lshl_add_u64 v[42:43], v[0:1], 1, s[18:19]
	v_cndmask_b32_e32 v23, v23, v25, vcc
	v_subrev_u32_e32 v25, s10, v23
	v_cmp_le_u32_e32 vcc, s10, v23
	s_nop 1
	v_cndmask_b32_e32 v26, v23, v25, vcc
	v_add_u32_e32 v0, s11, v26
	v_lshl_add_u64 v[36:37], v[26:27], 1, s[18:19]
	v_lshl_add_u64 v[44:45], v[0:1], 1, s[18:19]
	global_load_ushort v28, v[30:31], off
	global_load_ushort v27, v[32:33], off
	;; [unrolled: 1-line block ×8, first 2 shown]
.LBB66_39:                              ;   in Loop: Header=BB66_13 Depth=1
	v_cmp_ne_u32_e32 vcc, 0, v2
	s_and_saveexec_b64 s[4:5], vcc
	s_cbranch_execnz .LBB66_53
; %bb.40:                               ;   in Loop: Header=BB66_13 Depth=1
	s_or_b64 exec, exec, s[4:5]
	v_cmp_ne_u32_e64 s[4:5], 0, v3
	s_and_saveexec_b64 s[6:7], s[4:5]
	s_cbranch_execnz .LBB66_54
.LBB66_41:                              ;   in Loop: Header=BB66_13 Depth=1
	s_or_b64 exec, exec, s[6:7]
	v_cmp_ne_u32_e64 s[6:7], 0, v4
	s_and_saveexec_b64 s[8:9], s[6:7]
	s_cbranch_execnz .LBB66_55
.LBB66_42:                              ;   in Loop: Header=BB66_13 Depth=1
	s_or_b64 exec, exec, s[8:9]
	v_cmp_ne_u32_e64 s[8:9], 0, v5
	s_and_saveexec_b64 s[34:35], s[8:9]
	s_cbranch_execnz .LBB66_56
.LBB66_43:                              ;   in Loop: Header=BB66_13 Depth=1
	s_or_b64 exec, exec, s[34:35]
	s_waitcnt vmcnt(4)
	v_add_u32_e32 v0, s15, v54
	s_and_saveexec_b64 s[34:35], vcc
	s_cbranch_execnz .LBB66_57
.LBB66_44:                              ;   in Loop: Header=BB66_13 Depth=1
	s_or_b64 exec, exec, s[34:35]
	s_and_saveexec_b64 s[34:35], s[4:5]
	s_cbranch_execnz .LBB66_58
.LBB66_45:                              ;   in Loop: Header=BB66_13 Depth=1
	s_or_b64 exec, exec, s[34:35]
	s_and_saveexec_b64 s[4:5], s[6:7]
	s_cbranch_execnz .LBB66_59
.LBB66_46:                              ;   in Loop: Header=BB66_13 Depth=1
	s_or_b64 exec, exec, s[4:5]
	s_and_b64 exec, exec, s[8:9]
	s_cbranch_execz .LBB66_48
.LBB66_47:                              ;   in Loop: Header=BB66_13 Depth=1
	v_cvt_f32_i32_e32 v6, v13
	s_waitcnt vmcnt(0)
	v_cvt_f32_f16_e32 v7, v22
	v_add_u32_e32 v0, 3, v0
	v_add_f32_e32 v6, v10, v6
	v_add_f32_e32 v6, v6, v7
	v_cvt_f16_f32_e32 v8, v6
	s_waitcnt lgkmcnt(0)
	v_lshl_add_u64 v[6:7], v[0:1], 1, s[22:23]
	global_store_short v[6:7], v8, off
.LBB66_48:                              ;   in Loop: Header=BB66_13 Depth=1
	s_or_b64 exec, exec, s[30:31]
	v_add_u32_e32 v54, s37, v54
	v_add_u32_e32 v0, 4, v54
	v_cmp_gt_u32_e32 vcc, s15, v54
	v_cmp_le_u32_e64 s[4:5], s15, v0
	s_and_b64 s[4:5], vcc, s[4:5]
	s_and_saveexec_b64 s[6:7], s[4:5]
	s_cbranch_execz .LBB66_12
; %bb.49:                               ;   in Loop: Header=BB66_13 Depth=1
	v_cmp_ne_u32_e32 vcc, s38, v54
	s_and_saveexec_b64 s[8:9], vcc
	s_cbranch_execz .LBB66_11
; %bb.50:                               ;   in Loop: Header=BB66_13 Depth=1
	v_subrev_u32_e32 v0, s38, v54
	v_cmp_lt_u32_e32 vcc, 1, v0
	s_mov_b64 s[30:31], 0
	s_mov_b64 s[34:35], 0
	v_cndmask_b32_e32 v0, 1, v0, vcc
.LBB66_51:                              ;   Parent Loop BB66_13 Depth=1
                                        ; =>  This Inner Loop Header: Depth=2
	s_cmp_lg_u32 s34, 3
	s_cselect_b64 vcc, -1, 0
	s_cmp_lg_u32 s34, 2
	v_cndmask_b32_e32 v5, 0, v5, vcc
	s_cselect_b64 vcc, -1, 0
	s_cmp_lg_u32 s34, 1
	v_cndmask_b32_e32 v4, 0, v4, vcc
	;; [unrolled: 3-line block ×3, first 2 shown]
	s_cselect_b64 vcc, -1, 0
	s_add_u32 s34, s34, 1
	s_addc_u32 s35, s35, 0
	v_cmp_eq_u32_e64 s[4:5], s34, v0
	s_or_b64 s[30:31], s[4:5], s[30:31]
	v_cndmask_b32_e32 v2, 0, v2, vcc
	s_andn2_b64 exec, exec, s[30:31]
	s_cbranch_execnz .LBB66_51
; %bb.52:                               ;   in Loop: Header=BB66_13 Depth=1
	s_or_b64 exec, exec, s[30:31]
	s_branch .LBB66_11
.LBB66_53:                              ;   in Loop: Header=BB66_13 Depth=1
	v_cvt_f32_i32_e32 v12, v12
	s_waitcnt vmcnt(7)
	v_cvt_f32_f16_e32 v28, v28
	v_mov_b32_e32 v55, v1
	v_add_f32_e32 v9, v9, v12
	v_add_f32_e32 v9, v9, v28
	v_cvt_f16_f32_e32 v9, v9
	s_waitcnt lgkmcnt(0)
	v_lshl_add_u64 v[28:29], v[54:55], 1, s[22:23]
	global_store_short v[28:29], v9, off
	s_or_b64 exec, exec, s[4:5]
	v_cmp_ne_u32_e64 s[4:5], 0, v3
	s_and_saveexec_b64 s[6:7], s[4:5]
	s_cbranch_execz .LBB66_41
.LBB66_54:                              ;   in Loop: Header=BB66_13 Depth=1
	v_cvt_f32_i32_e32 v9, v14
	s_waitcnt vmcnt(6)
	v_cvt_f32_f16_e32 v12, v27
	v_mov_b32_e32 v61, v1
	s_waitcnt lgkmcnt(0)
	v_lshl_add_u64 v[28:29], v[60:61], 1, s[22:23]
	v_add_f32_e32 v6, v6, v9
	v_add_f32_e32 v6, v6, v12
	v_cvt_f16_f32_e32 v6, v6
	global_store_short v[28:29], v6, off
	s_or_b64 exec, exec, s[6:7]
	v_cmp_ne_u32_e64 s[6:7], 0, v4
	s_and_saveexec_b64 s[8:9], s[6:7]
	s_cbranch_execz .LBB66_42
.LBB66_55:                              ;   in Loop: Header=BB66_13 Depth=1
	v_cvt_f32_i32_e32 v6, v16
	s_waitcnt vmcnt(5)
	v_cvt_f32_f16_e32 v9, v26
	v_mov_b32_e32 v59, v1
	v_add_f32_e32 v6, v7, v6
	v_add_f32_e32 v6, v6, v9
	v_cvt_f16_f32_e32 v9, v6
	s_waitcnt lgkmcnt(0)
	v_lshl_add_u64 v[6:7], v[58:59], 1, s[22:23]
	global_store_short v[6:7], v9, off
	s_or_b64 exec, exec, s[8:9]
	v_cmp_ne_u32_e64 s[8:9], 0, v5
	s_and_saveexec_b64 s[34:35], s[8:9]
	s_cbranch_execz .LBB66_43
.LBB66_56:                              ;   in Loop: Header=BB66_13 Depth=1
	v_cvt_f32_i32_e32 v6, v11
	s_waitcnt vmcnt(4)
	v_cvt_f32_f16_e32 v0, v0
	v_mov_b32_e32 v57, v1
	v_add_f32_e32 v6, v8, v6
	v_add_f32_e32 v0, v6, v0
	v_cvt_f16_f32_e32 v0, v0
	s_waitcnt lgkmcnt(0)
	v_lshl_add_u64 v[6:7], v[56:57], 1, s[22:23]
	global_store_short v[6:7], v0, off
	s_or_b64 exec, exec, s[34:35]
	v_add_u32_e32 v0, s15, v54
	s_and_saveexec_b64 s[34:35], vcc
	s_cbranch_execz .LBB66_44
.LBB66_57:                              ;   in Loop: Header=BB66_13 Depth=1
	v_cvt_f32_i32_e32 v6, v21
	s_waitcnt vmcnt(3)
	v_cvt_f32_f16_e32 v7, v25
	v_add_f32_e32 v6, v19, v6
	v_add_f32_e32 v6, v6, v7
	v_cvt_f16_f32_e32 v8, v6
	s_waitcnt lgkmcnt(0)
	v_lshl_add_u64 v[6:7], v[0:1], 1, s[22:23]
	global_store_short v[6:7], v8, off
	s_or_b64 exec, exec, s[34:35]
	s_and_saveexec_b64 s[34:35], s[4:5]
	s_cbranch_execz .LBB66_45
.LBB66_58:                              ;   in Loop: Header=BB66_13 Depth=1
	v_cvt_f32_i32_e32 v6, v20
	s_waitcnt vmcnt(2)
	v_cvt_f32_f16_e32 v7, v24
	v_add_f32_e32 v6, v18, v6
	v_add_f32_e32 v6, v6, v7
	v_cvt_f16_f32_e32 v8, v6
	v_add_u32_e32 v6, 1, v0
	v_mov_b32_e32 v7, v1
	s_waitcnt lgkmcnt(0)
	v_lshl_add_u64 v[6:7], v[6:7], 1, s[22:23]
	global_store_short v[6:7], v8, off
	s_or_b64 exec, exec, s[34:35]
	s_and_saveexec_b64 s[4:5], s[6:7]
	s_cbranch_execz .LBB66_46
.LBB66_59:                              ;   in Loop: Header=BB66_13 Depth=1
	v_cvt_f32_i32_e32 v6, v17
	s_waitcnt vmcnt(1)
	v_cvt_f32_f16_e32 v7, v23
	v_add_f32_e32 v6, v15, v6
	v_add_f32_e32 v6, v6, v7
	v_cvt_f16_f32_e32 v8, v6
	v_add_u32_e32 v6, 2, v0
	v_mov_b32_e32 v7, v1
	s_waitcnt lgkmcnt(0)
	v_lshl_add_u64 v[6:7], v[6:7], 1, s[22:23]
	global_store_short v[6:7], v8, off
	s_or_b64 exec, exec, s[4:5]
	s_and_b64 exec, exec, s[8:9]
	s_cbranch_execnz .LBB66_47
	s_branch .LBB66_48
.LBB66_60:
	s_endpgm
	.section	.rodata,"a",@progbits
	.p2align	6, 0x0
	.amdhsa_kernel _Z12wvSplitK_hf_I6__halfLi64ELi4ELi16ELi8ELi2ELi2EEviiiiiiPKT_S3_S3_PS1_ii
		.amdhsa_group_segment_fixed_size 65536
		.amdhsa_private_segment_fixed_size 0
		.amdhsa_kernarg_size 64
		.amdhsa_user_sgpr_count 2
		.amdhsa_user_sgpr_dispatch_ptr 0
		.amdhsa_user_sgpr_queue_ptr 0
		.amdhsa_user_sgpr_kernarg_segment_ptr 1
		.amdhsa_user_sgpr_dispatch_id 0
		.amdhsa_user_sgpr_kernarg_preload_length 0
		.amdhsa_user_sgpr_kernarg_preload_offset 0
		.amdhsa_user_sgpr_private_segment_size 0
		.amdhsa_uses_dynamic_stack 0
		.amdhsa_enable_private_segment 0
		.amdhsa_system_sgpr_workgroup_id_x 1
		.amdhsa_system_sgpr_workgroup_id_y 0
		.amdhsa_system_sgpr_workgroup_id_z 0
		.amdhsa_system_sgpr_workgroup_info 0
		.amdhsa_system_vgpr_workitem_id 1
		.amdhsa_next_free_vgpr 80
		.amdhsa_next_free_sgpr 40
		.amdhsa_accum_offset 80
		.amdhsa_reserve_vcc 1
		.amdhsa_float_round_mode_32 0
		.amdhsa_float_round_mode_16_64 0
		.amdhsa_float_denorm_mode_32 3
		.amdhsa_float_denorm_mode_16_64 3
		.amdhsa_dx10_clamp 1
		.amdhsa_ieee_mode 1
		.amdhsa_fp16_overflow 0
		.amdhsa_tg_split 0
		.amdhsa_exception_fp_ieee_invalid_op 0
		.amdhsa_exception_fp_denorm_src 0
		.amdhsa_exception_fp_ieee_div_zero 0
		.amdhsa_exception_fp_ieee_overflow 0
		.amdhsa_exception_fp_ieee_underflow 0
		.amdhsa_exception_fp_ieee_inexact 0
		.amdhsa_exception_int_div_zero 0
	.end_amdhsa_kernel
	.section	.text._Z12wvSplitK_hf_I6__halfLi64ELi4ELi16ELi8ELi2ELi2EEviiiiiiPKT_S3_S3_PS1_ii,"axG",@progbits,_Z12wvSplitK_hf_I6__halfLi64ELi4ELi16ELi8ELi2ELi2EEviiiiiiPKT_S3_S3_PS1_ii,comdat
.Lfunc_end66:
	.size	_Z12wvSplitK_hf_I6__halfLi64ELi4ELi16ELi8ELi2ELi2EEviiiiiiPKT_S3_S3_PS1_ii, .Lfunc_end66-_Z12wvSplitK_hf_I6__halfLi64ELi4ELi16ELi8ELi2ELi2EEviiiiiiPKT_S3_S3_PS1_ii
                                        ; -- End function
	.section	.AMDGPU.csdata,"",@progbits
; Kernel info:
; codeLenInByte = 3848
; NumSgprs: 46
; NumVgprs: 80
; NumAgprs: 0
; TotalNumVgprs: 80
; ScratchSize: 0
; MemoryBound: 1
; FloatMode: 240
; IeeeMode: 1
; LDSByteSize: 65536 bytes/workgroup (compile time only)
; SGPRBlocks: 5
; VGPRBlocks: 9
; NumSGPRsForWavesPerEU: 46
; NumVGPRsForWavesPerEU: 80
; AccumOffset: 80
; Occupancy: 4
; WaveLimiterHint : 0
; COMPUTE_PGM_RSRC2:SCRATCH_EN: 0
; COMPUTE_PGM_RSRC2:USER_SGPR: 2
; COMPUTE_PGM_RSRC2:TRAP_HANDLER: 0
; COMPUTE_PGM_RSRC2:TGID_X_EN: 1
; COMPUTE_PGM_RSRC2:TGID_Y_EN: 0
; COMPUTE_PGM_RSRC2:TGID_Z_EN: 0
; COMPUTE_PGM_RSRC2:TIDIG_COMP_CNT: 1
; COMPUTE_PGM_RSRC3_GFX90A:ACCUM_OFFSET: 19
; COMPUTE_PGM_RSRC3_GFX90A:TG_SPLIT: 0
	.section	.text._Z16wvSplitK_hf_big_I6__halfLi64ELi4ELi16ELi8ELi2ELi2EEviiiiiiPKT_S3_S3_PS1_ii,"axG",@progbits,_Z16wvSplitK_hf_big_I6__halfLi64ELi4ELi16ELi8ELi2ELi2EEviiiiiiPKT_S3_S3_PS1_ii,comdat
	.protected	_Z16wvSplitK_hf_big_I6__halfLi64ELi4ELi16ELi8ELi2ELi2EEviiiiiiPKT_S3_S3_PS1_ii ; -- Begin function _Z16wvSplitK_hf_big_I6__halfLi64ELi4ELi16ELi8ELi2ELi2EEviiiiiiPKT_S3_S3_PS1_ii
	.globl	_Z16wvSplitK_hf_big_I6__halfLi64ELi4ELi16ELi8ELi2ELi2EEviiiiiiPKT_S3_S3_PS1_ii
	.p2align	8
	.type	_Z16wvSplitK_hf_big_I6__halfLi64ELi4ELi16ELi8ELi2ELi2EEviiiiiiPKT_S3_S3_PS1_ii,@function
_Z16wvSplitK_hf_big_I6__halfLi64ELi4ELi16ELi8ELi2ELi2EEviiiiiiPKT_S3_S3_PS1_ii: ; @_Z16wvSplitK_hf_big_I6__halfLi64ELi4ELi16ELi8ELi2ELi2EEviiiiiiPKT_S3_S3_PS1_ii
; %bb.0:
	s_load_dwordx2 s[8:9], s[0:1], 0x38
	v_bfe_u32 v7, v0, 10, 10
	s_waitcnt lgkmcnt(0)
	v_cmp_gt_u32_e32 vcc, s8, v7
	s_and_saveexec_b64 s[4:5], vcc
	s_cbranch_execz .LBB67_56
; %bb.1:
	s_load_dwordx4 s[20:23], s[0:1], 0x0
	s_mul_i32 s2, s2, s8
	v_add_lshl_u32 v54, s2, v7, 2
	s_mov_b32 s4, 1
	v_add_u32_e32 v1, 4, v54
	s_mov_b32 s5, s4
	s_waitcnt lgkmcnt(0)
	v_cmp_gt_u32_e32 vcc, s23, v54
	v_cmp_le_u32_e64 s[2:3], s23, v1
	s_mov_b32 s6, s4
	s_mov_b32 s7, s4
	v_mov_b64_e32 v[2:3], s[4:5]
	s_and_b64 s[10:11], vcc, s[2:3]
	v_mov_b64_e32 v[4:5], s[6:7]
	s_and_saveexec_b64 s[2:3], s[10:11]
	s_cbranch_execz .LBB67_7
; %bb.2:
	s_add_i32 s16, s23, -4
	v_mov_b64_e32 v[2:3], s[4:5]
	v_cmp_ne_u32_e32 vcc, s16, v54
	v_mov_b64_e32 v[4:5], s[6:7]
	s_and_saveexec_b64 s[10:11], vcc
	s_cbranch_execz .LBB67_6
; %bb.3:
	v_subrev_u32_e32 v1, s16, v54
	v_cmp_lt_u32_e32 vcc, 1, v1
	s_mov_b64 s[12:13], 0
	s_mov_b64 s[14:15], 0
	v_cndmask_b32_e32 v6, 1, v1, vcc
	s_mov_b32 s5, s4
	s_mov_b32 s6, s4
	;; [unrolled: 1-line block ×3, first 2 shown]
.LBB67_4:                               ; =>This Inner Loop Header: Depth=1
	s_cmp_lg_u32 s14, 3
	s_cselect_b32 s7, s7, 0
	s_cmp_lg_u32 s14, 2
	s_cselect_b32 s6, s6, 0
	;; [unrolled: 2-line block ×4, first 2 shown]
	s_add_u32 s14, s14, 1
	s_addc_u32 s15, s15, 0
	v_cmp_eq_u32_e32 vcc, s14, v6
	v_mov_b64_e32 v[2:3], s[4:5]
	s_or_b64 s[12:13], vcc, s[12:13]
	v_mov_b64_e32 v[4:5], s[6:7]
	s_andn2_b64 exec, exec, s[12:13]
	s_cbranch_execnz .LBB67_4
; %bb.5:
	s_or_b64 exec, exec, s[12:13]
	v_mov_b32_e32 v54, s16
.LBB67_6:
	s_or_b64 exec, exec, s[10:11]
.LBB67_7:
	s_or_b64 exec, exec, s[2:3]
	s_lshl_b32 s2, s8, 2
	s_abs_i32 s3, s2
	v_cvt_f32_u32_e32 v1, s3
	s_sub_i32 s6, 0, s3
	s_abs_i32 s5, s23
	s_ashr_i32 s4, s23, 31
	v_rcp_iflag_f32_e32 v1, v1
	s_nop 0
	v_mul_f32_e32 v1, 0x4f7ffffe, v1
	v_cvt_u32_f32_e32 v1, v1
	s_nop 0
	v_readfirstlane_b32 s7, v1
	s_mul_i32 s6, s6, s7
	s_mul_hi_u32 s6, s7, s6
	s_add_i32 s7, s7, s6
	s_mul_hi_u32 s6, s5, s7
	s_mul_i32 s6, s6, s3
	s_sub_i32 s5, s5, s6
	s_sub_i32 s6, s5, s3
	s_cmp_ge_u32 s5, s3
	s_cselect_b32 s5, s6, s5
	s_sub_i32 s6, s5, s3
	s_cmp_ge_u32 s5, s3
	s_cselect_b32 s3, s6, s5
	s_xor_b32 s3, s3, s4
	s_sub_i32 s3, s3, s4
	s_add_i32 s2, s2, s23
	s_sub_i32 s2, s2, s3
	s_cmp_eq_u32 s3, 0
	s_cselect_b32 s33, s23, s2
	v_cmp_gt_u32_e32 vcc, s33, v54
	s_and_b64 exec, exec, vcc
	s_cbranch_execz .LBB67_56
; %bb.8:
	s_load_dwordx8 s[12:19], s[0:1], 0x10
	s_min_u32 s40, s22, 0x4000
	s_cmp_lg_u32 s20, 0
	s_load_dwordx2 s[24:25], s[0:1], 0x30
	s_cselect_b64 s[2:3], -1, 0
	s_waitcnt lgkmcnt(0)
	v_cvt_f32_u32_e32 v1, s12
	s_cmp_lg_u32 s22, 0
	s_mul_i32 s0, s9, s8
	s_cselect_b64 s[4:5], -1, 0
	v_rcp_iflag_f32_e32 v1, v1
	s_lshl_b32 s41, s8, 9
	s_add_i32 s42, s20, -8
	s_add_i32 s43, s23, -1
	v_mul_f32_e32 v1, 0x4f7ffffe, v1
	v_cvt_u32_f32_e32 v1, v1
	s_lshl_b32 s44, s0, 2
	s_cmp_lg_u64 s[18:19], 0
	s_cselect_b64 s[28:29], -1, 0
	s_sub_i32 s6, 0, s12
	v_mul_lo_u32 v6, s6, v1
	s_abs_i32 s6, s13
	s_add_i32 s45, s23, -4
	s_sub_i32 s7, 1, s6
	s_cmp_lt_u32 s6, 2
	v_and_b32_e32 v0, 0x3ff, v0
	s_cselect_b32 s7, s7, 1
	v_lshlrev_b32_e32 v64, 3, v0
	v_cmp_eq_u32_e64 s[0:1], 63, v0
	s_sub_i32 s9, s7, s6
	v_lshlrev_b32_e32 v0, 4, v0
	s_cmp_ge_u32 s7, s6
	v_lshl_add_u32 v66, v7, 10, v0
	v_cndmask_b32_e64 v0, 0, 1, s[2:3]
	v_mul_hi_u32 v6, v1, v6
	s_cselect_b32 s13, s9, s7
	s_add_u32 s30, s24, 2
	v_lshl_add_u32 v67, v7, 9, v64
	v_cmp_ne_u32_e64 s[2:3], 1, v0
	v_cndmask_b32_e64 v0, 0, 1, s[4:5]
	s_mov_b64 s[26:27], 0
	v_add_u32_e32 v65, v1, v6
	v_mov_b32_e32 v1, 0
	s_mul_i32 s13, s13, s12
	s_addc_u32 s31, s25, 0
	s_lshl_b32 s46, s40, 1
	s_lshl_b32 s47, s8, 10
	v_add_u32_e32 v68, s22, v67
	v_cmp_ne_u32_e64 s[4:5], 1, v0
	s_branch .LBB67_12
.LBB67_9:                               ;   in Loop: Header=BB67_12 Depth=1
	s_or_b64 exec, exec, s[10:11]
	v_mov_b32_e32 v54, s45
.LBB67_10:                              ;   in Loop: Header=BB67_12 Depth=1
	s_or_b64 exec, exec, s[8:9]
.LBB67_11:                              ;   in Loop: Header=BB67_12 Depth=1
	s_or_b64 exec, exec, s[34:35]
	v_cmp_le_u32_e32 vcc, s33, v54
	s_or_b64 s[26:27], vcc, s[26:27]
	s_andn2_b64 exec, exec, s[26:27]
	s_cbranch_execz .LBB67_56
.LBB67_12:                              ; =>This Loop Header: Depth=1
                                        ;     Child Loop BB67_17 Depth 2
                                        ;       Child Loop BB67_22 Depth 3
                                        ;     Child Loop BB67_47 Depth 2
	s_mov_b32 s36, 0
	s_and_b64 vcc, exec, s[2:3]
	v_mov_b32_e32 v75, v1
	v_mov_b32_e32 v74, v1
	;; [unrolled: 1-line block ×8, first 2 shown]
	s_cbranch_vccnz .LBB67_29
; %bb.13:                               ;   in Loop: Header=BB67_12 Depth=1
	v_add_u32_e32 v6, 1, v54
	v_add_u32_e32 v8, 2, v54
	v_add_u32_e32 v10, 3, v54
	v_min_u32_e32 v0, s43, v54
	v_min_u32_e32 v6, s43, v6
	;; [unrolled: 1-line block ×4, first 2 shown]
	v_mul_lo_u32 v0, v0, s21
	v_mul_lo_u32 v6, v6, s21
	v_mov_b32_e32 v7, v1
	v_mul_lo_u32 v8, v8, s21
	v_mov_b32_e32 v9, v1
	;; [unrolled: 2-line block ×3, first 2 shown]
	v_cmp_gt_u32_e64 s[6:7], s23, v54
	v_mov_b32_e32 v55, 0
	v_lshlrev_b64 v[56:57], 1, v[0:1]
	v_lshlrev_b64 v[58:59], 1, v[6:7]
	;; [unrolled: 1-line block ×4, first 2 shown]
	v_mov_b32_e32 v69, 0
	v_mov_b32_e32 v70, 0
	;; [unrolled: 1-line block ×7, first 2 shown]
	s_mov_b32 s37, 0
	s_branch .LBB67_17
.LBB67_14:                              ;   in Loop: Header=BB67_17 Depth=2
	s_or_b64 exec, exec, s[34:35]
.LBB67_15:                              ;   in Loop: Header=BB67_17 Depth=2
	s_or_b64 exec, exec, s[10:11]
	s_waitcnt vmcnt(7) lgkmcnt(1)
	;;#ASMSTART
	v_dot2c_f32_f16 v75, v50, v46
	;;#ASMEND
	s_waitcnt vmcnt(6)
	;;#ASMSTART
	v_dot2c_f32_f16 v74, v50, v38
	;;#ASMEND
	s_waitcnt vmcnt(5)
	;;#ASMSTART
	v_dot2c_f32_f16 v73, v50, v34
	;;#ASMEND
	s_waitcnt vmcnt(4)
	;;#ASMSTART
	v_dot2c_f32_f16 v72, v50, v30
	;;#ASMEND
	s_waitcnt lgkmcnt(0)
	;;#ASMSTART
	v_dot2c_f32_f16 v71, v42, v46
	;;#ASMEND
	;;#ASMSTART
	v_dot2c_f32_f16 v70, v42, v38
	;;#ASMEND
	;;#ASMSTART
	v_dot2c_f32_f16 v69, v42, v34
	;;#ASMEND
	;;#ASMSTART
	v_dot2c_f32_f16 v55, v42, v30
	;;#ASMEND
	;;#ASMSTART
	v_dot2c_f32_f16 v75, v51, v47
	;;#ASMEND
	;;#ASMSTART
	v_dot2c_f32_f16 v74, v51, v39
	;;#ASMEND
	;;#ASMSTART
	v_dot2c_f32_f16 v73, v51, v35
	;;#ASMEND
	;;#ASMSTART
	v_dot2c_f32_f16 v72, v51, v31
	;;#ASMEND
	s_nop 0
	;;#ASMSTART
	v_dot2c_f32_f16 v71, v43, v47
	;;#ASMEND
	;;#ASMSTART
	v_dot2c_f32_f16 v70, v43, v39
	;;#ASMEND
	;;#ASMSTART
	v_dot2c_f32_f16 v69, v43, v35
	;;#ASMEND
	;;#ASMSTART
	v_dot2c_f32_f16 v55, v43, v31
	;;#ASMEND
	;;#ASMSTART
	v_dot2c_f32_f16 v75, v52, v48
	;;#ASMEND
	;;#ASMSTART
	v_dot2c_f32_f16 v74, v52, v40
	;;#ASMEND
	;;#ASMSTART
	v_dot2c_f32_f16 v73, v52, v36
	;;#ASMEND
	;;#ASMSTART
	v_dot2c_f32_f16 v72, v52, v32
	;;#ASMEND
	s_nop 0
	;; [unrolled: 25-line block ×3, first 2 shown]
	;;#ASMSTART
	v_dot2c_f32_f16 v71, v45, v49
	;;#ASMEND
	;;#ASMSTART
	v_dot2c_f32_f16 v70, v45, v41
	;;#ASMEND
	;; [unrolled: 3-line block ×4, first 2 shown]
	s_waitcnt vmcnt(3)
	;;#ASMSTART
	v_dot2c_f32_f16 v75, v26, v22
	;;#ASMEND
	s_waitcnt vmcnt(2)
	;;#ASMSTART
	v_dot2c_f32_f16 v74, v26, v14
	;;#ASMEND
	;; [unrolled: 4-line block ×4, first 2 shown]
	;;#ASMSTART
	v_dot2c_f32_f16 v71, v18, v22
	;;#ASMEND
	;;#ASMSTART
	v_dot2c_f32_f16 v70, v18, v14
	;;#ASMEND
	;;#ASMSTART
	v_dot2c_f32_f16 v69, v18, v10
	;;#ASMEND
	;;#ASMSTART
	v_dot2c_f32_f16 v55, v18, v6
	;;#ASMEND
	;;#ASMSTART
	v_dot2c_f32_f16 v75, v27, v23
	;;#ASMEND
	;;#ASMSTART
	v_dot2c_f32_f16 v74, v27, v15
	;;#ASMEND
	;;#ASMSTART
	v_dot2c_f32_f16 v73, v27, v11
	;;#ASMEND
	s_nop 0
	;;#ASMSTART
	v_dot2c_f32_f16 v72, v27, v7
	;;#ASMEND
	;;#ASMSTART
	v_dot2c_f32_f16 v71, v19, v23
	;;#ASMEND
	;;#ASMSTART
	v_dot2c_f32_f16 v70, v19, v15
	;;#ASMEND
	;;#ASMSTART
	v_dot2c_f32_f16 v69, v19, v11
	;;#ASMEND
	;;#ASMSTART
	v_dot2c_f32_f16 v55, v19, v7
	;;#ASMEND
	;;#ASMSTART
	v_dot2c_f32_f16 v75, v28, v24
	;;#ASMEND
	;;#ASMSTART
	v_dot2c_f32_f16 v74, v28, v16
	;;#ASMEND
	;;#ASMSTART
	v_dot2c_f32_f16 v73, v28, v12
	;;#ASMEND
	s_nop 0
	;;#ASMSTART
	v_dot2c_f32_f16 v72, v28, v8
	;;#ASMEND
	;; [unrolled: 25-line block ×3, first 2 shown]
	;;#ASMSTART
	v_dot2c_f32_f16 v71, v21, v25
	;;#ASMEND
	;;#ASMSTART
	v_dot2c_f32_f16 v70, v21, v17
	;;#ASMEND
	;; [unrolled: 3-line block ×4, first 2 shown]
.LBB67_16:                              ;   in Loop: Header=BB67_17 Depth=2
	s_or_b64 exec, exec, s[8:9]
	s_addk_i32 s37, 0x400
	s_cmp_ge_u32 s37, s20
	s_cbranch_scc1 .LBB67_29
.LBB67_17:                              ;   Parent Loop BB67_12 Depth=1
                                        ; =>  This Loop Header: Depth=2
                                        ;       Child Loop BB67_22 Depth 3
	s_cmp_eq_u32 s37, 0
	s_cselect_b64 s[8:9], -1, 0
	s_add_i32 s10, s36, s40
	s_cmp_eq_u32 s37, s10
	s_cselect_b64 s[34:35], -1, 0
	s_or_b64 s[34:35], s[8:9], s[34:35]
	s_andn2_b64 vcc, exec, s[34:35]
	s_cbranch_vccz .LBB67_19
; %bb.18:                               ;   in Loop: Header=BB67_17 Depth=2
	s_and_saveexec_b64 s[8:9], s[6:7]
	s_cbranch_execz .LBB67_16
	s_branch .LBB67_26
.LBB67_19:                              ;   in Loop: Header=BB67_17 Depth=2
	s_and_b64 s[8:9], s[8:9], exec
	s_cselect_b32 s36, s36, s10
	s_and_b64 vcc, exec, s[4:5]
	s_barrier
	s_cbranch_vccnz .LBB67_25
; %bb.20:                               ;   in Loop: Header=BB67_17 Depth=2
	v_add_u32_e32 v6, s36, v68
	v_add_u32_e32 v7, s36, v67
	s_mov_b32 s38, 0
	s_mov_b64 s[10:11], 0
	v_mov_b32_e32 v8, v66
                                        ; implicit-def: $sgpr34_sgpr35
	s_branch .LBB67_22
.LBB67_21:                              ;   in Loop: Header=BB67_22 Depth=3
	s_or_b64 exec, exec, s[8:9]
	s_and_b64 s[8:9], exec, s[34:35]
	s_or_b64 s[10:11], s[8:9], s[10:11]
	s_andn2_b64 exec, exec, s[10:11]
	s_cbranch_execz .LBB67_24
.LBB67_22:                              ;   Parent Loop BB67_12 Depth=1
                                        ;     Parent Loop BB67_17 Depth=2
                                        ; =>    This Inner Loop Header: Depth=3
	v_add_u32_e32 v9, s38, v67
	v_add_u32_e32 v0, s38, v7
	v_cmp_gt_u32_e32 vcc, s22, v0
	v_cmp_gt_u32_e64 s[8:9], s40, v9
	s_and_b64 s[48:49], s[8:9], vcc
	s_or_b64 s[34:35], s[34:35], exec
	s_and_saveexec_b64 s[8:9], s[48:49]
	s_cbranch_execz .LBB67_21
; %bb.23:                               ;   in Loop: Header=BB67_22 Depth=3
	v_lshl_add_u64 v[10:11], v[0:1], 1, s[16:17]
	v_add_u32_e32 v0, s38, v6
	global_load_dwordx4 v[10:13], v[10:11], off
	v_lshl_add_u64 v[14:15], v[0:1], 1, s[16:17]
	global_load_dwordx4 v[14:17], v[14:15], off
	s_add_i32 s38, s38, s41
	s_cmp_ge_u32 s38, s40
	s_cselect_b64 s[48:49], -1, 0
	s_andn2_b64 s[34:35], s[34:35], exec
	s_and_b64 s[48:49], s[48:49], exec
	v_add_u32_e32 v0, s46, v8
	s_or_b64 s[34:35], s[34:35], s[48:49]
	s_waitcnt vmcnt(1)
	ds_write_b128 v8, v[10:13]
	v_add_u32_e32 v8, s47, v8
	s_waitcnt vmcnt(0)
	ds_write2_b64 v0, v[14:15], v[16:17] offset1:1
	s_branch .LBB67_21
.LBB67_24:                              ;   in Loop: Header=BB67_17 Depth=2
	s_or_b64 exec, exec, s[10:11]
.LBB67_25:                              ;   in Loop: Header=BB67_17 Depth=2
	s_waitcnt lgkmcnt(0)
	s_barrier
	s_and_saveexec_b64 s[8:9], s[6:7]
	s_cbranch_execz .LBB67_16
.LBB67_26:                              ;   in Loop: Header=BB67_17 Depth=2
	v_add_u32_e32 v76, s37, v64
	v_min_u32_e32 v0, s42, v76
	v_lshl_add_u64 v[6:7], v[0:1], 1, s[14:15]
	v_lshl_add_u64 v[8:9], v[6:7], 0, v[56:57]
	v_add_u32_e32 v77, 0x200, v76
	v_lshl_add_u64 v[10:11], v[6:7], 0, v[58:59]
	global_load_dwordx4 v[46:49], v[8:9], off nt
	global_load_dwordx4 v[38:41], v[10:11], off nt
	v_lshl_add_u64 v[8:9], v[6:7], 0, v[60:61]
	v_lshl_add_u64 v[6:7], v[6:7], 0, v[62:63]
	v_min_u32_e32 v0, s42, v77
	global_load_dwordx4 v[34:37], v[8:9], off nt
	global_load_dwordx4 v[30:33], v[6:7], off nt
	v_lshl_add_u64 v[6:7], v[0:1], 1, s[14:15]
	v_lshl_add_u64 v[8:9], v[6:7], 0, v[56:57]
	;; [unrolled: 1-line block ×3, first 2 shown]
	global_load_dwordx4 v[22:25], v[8:9], off nt
	global_load_dwordx4 v[14:17], v[10:11], off nt
	v_lshl_add_u64 v[8:9], v[6:7], 0, v[60:61]
	v_lshl_add_u64 v[6:7], v[6:7], 0, v[62:63]
	global_load_dwordx4 v[10:13], v[8:9], off nt
	s_nop 0
	global_load_dwordx4 v[6:9], v[6:7], off nt
	v_cmp_gt_u32_e32 vcc, s20, v76
	v_mov_b32_e32 v50, 0
	v_mov_b32_e32 v51, 0
	;; [unrolled: 1-line block ×8, first 2 shown]
	s_waitcnt vmcnt(10)
	v_mov_b32_e32 v26, 0
	v_mov_b32_e32 v27, 0
	;; [unrolled: 1-line block ×8, first 2 shown]
	s_and_saveexec_b64 s[10:11], vcc
	s_cbranch_execz .LBB67_15
; %bb.27:                               ;   in Loop: Header=BB67_17 Depth=2
	v_subrev_u32_e32 v0, s36, v76
	v_lshlrev_b32_e32 v76, 1, v0
	v_lshl_add_u32 v0, s40, 1, v76
	ds_read_b128 v[50:53], v76
	ds_read_b128 v[42:45], v0
	v_cmp_gt_u32_e32 vcc, s20, v77
	v_mov_b32_e32 v21, 0
	v_mov_b32_e32 v20, 0
	v_mov_b32_e32 v19, 0
	v_mov_b32_e32 v18, 0
	v_mov_b32_e32 v29, 0
	v_mov_b32_e32 v28, 0
	v_mov_b32_e32 v27, 0
	v_mov_b32_e32 v26, 0
	s_and_saveexec_b64 s[34:35], vcc
	s_cbranch_execz .LBB67_14
; %bb.28:                               ;   in Loop: Header=BB67_17 Depth=2
	ds_read_b128 v[26:29], v76 offset:1024
	ds_read_b128 v[18:21], v0 offset:1024
	s_branch .LBB67_14
.LBB67_29:                              ;   in Loop: Header=BB67_12 Depth=1
	v_cmp_le_u32_e32 vcc, s23, v54
	s_and_saveexec_b64 s[6:7], vcc
	s_xor_b64 s[6:7], exec, s[6:7]
; %bb.30:                               ;   in Loop: Header=BB67_12 Depth=1
	v_add_u32_e32 v54, s44, v54
                                        ; implicit-def: $vgpr75
                                        ; implicit-def: $vgpr74
                                        ; implicit-def: $vgpr73
                                        ; implicit-def: $vgpr72
                                        ; implicit-def: $vgpr71
                                        ; implicit-def: $vgpr70
                                        ; implicit-def: $vgpr69
                                        ; implicit-def: $vgpr55
; %bb.31:                               ;   in Loop: Header=BB67_12 Depth=1
	s_andn2_saveexec_b64 s[34:35], s[6:7]
	s_cbranch_execz .LBB67_11
; %bb.32:                               ;   in Loop: Header=BB67_12 Depth=1
	v_cvt_i32_f32_e32 v0, v75
	v_cvt_i32_f32_e32 v6, v74
	;; [unrolled: 1-line block ×4, first 2 shown]
	v_cvt_f32_i32_dpp v0, v0 row_shr:8 row_mask:0xf bank_mask:0xf bound_ctrl:1
	v_cvt_f32_i32_dpp v6, v6 row_shr:8 row_mask:0xf bank_mask:0xf bound_ctrl:1
	;; [unrolled: 1-line block ×4, first 2 shown]
	v_add_f32_e32 v0, v75, v0
	v_cvt_i32_f32_e32 v9, v0
	v_add_f32_e32 v6, v74, v6
	v_cvt_i32_f32_e32 v10, v6
	v_add_f32_e32 v7, v73, v7
	v_cvt_f32_i32_dpp v9, v9 row_shr:4 row_mask:0xf bank_mask:0xf bound_ctrl:1
	v_cvt_i32_f32_e32 v11, v7
	v_cvt_f32_i32_dpp v10, v10 row_shr:4 row_mask:0xf bank_mask:0xf bound_ctrl:1
	v_add_f32_e32 v8, v72, v8
	v_add_f32_e32 v0, v0, v9
	v_cvt_i32_f32_e32 v9, v0
	v_add_f32_e32 v6, v6, v10
	v_cvt_i32_f32_e32 v10, v6
	v_cvt_f32_i32_dpp v11, v11 row_shr:4 row_mask:0xf bank_mask:0xf bound_ctrl:1
	v_cvt_f32_i32_dpp v9, v9 row_shr:2 row_mask:0xf bank_mask:0xf bound_ctrl:1
	v_cvt_i32_f32_e32 v12, v8
	v_cvt_f32_i32_dpp v10, v10 row_shr:2 row_mask:0xf bank_mask:0xf bound_ctrl:1
	v_add_f32_e32 v7, v7, v11
	v_add_f32_e32 v0, v0, v9
	v_cvt_i32_f32_e32 v9, v0
	v_add_f32_e32 v6, v6, v10
	v_cvt_i32_f32_e32 v10, v6
	v_cvt_i32_f32_e32 v11, v7
	v_cvt_f32_i32_dpp v9, v9 row_shr:1 row_mask:0xf bank_mask:0xf bound_ctrl:1
	v_cvt_f32_i32_dpp v12, v12 row_shr:4 row_mask:0xf bank_mask:0xf bound_ctrl:1
	v_cvt_f32_i32_dpp v10, v10 row_shr:1 row_mask:0xf bank_mask:0xf bound_ctrl:1
	v_cvt_f32_i32_dpp v11, v11 row_shr:2 row_mask:0xf bank_mask:0xf bound_ctrl:1
	v_add_f32_e32 v0, v0, v9
	v_cvt_i32_f32_e32 v9, v0
	v_add_f32_e32 v6, v6, v10
	v_add_f32_e32 v13, v7, v11
	;; [unrolled: 1-line block ×3, first 2 shown]
	v_cvt_f32_i32_dpp v7, v9 row_bcast:15 row_mask:0xf bank_mask:0xf bound_ctrl:1
	v_cvt_i32_f32_e32 v9, v6
	v_cvt_i32_f32_e32 v12, v8
	v_cvt_i32_f32_e32 v10, v13
	v_add_f32_e32 v11, v0, v7
	v_cvt_f32_i32_dpp v7, v9 row_bcast:15 row_mask:0xf bank_mask:0xf bound_ctrl:1
	v_cvt_i32_f32_e32 v0, v11
	v_cvt_f32_i32_dpp v9, v10 row_shr:1 row_mask:0xf bank_mask:0xf bound_ctrl:1
	v_cvt_f32_i32_dpp v10, v12 row_shr:2 row_mask:0xf bank_mask:0xf bound_ctrl:1
	v_add_f32_e32 v7, v6, v7
	v_cvt_i32_f32_e32 v6, v71
	v_mov_b32_dpp v14, v0 row_bcast:31 row_mask:0xf bank_mask:0xf bound_ctrl:1
	v_add_f32_e32 v8, v8, v10
	v_add_f32_e32 v0, v13, v9
	v_cvt_f32_i32_dpp v6, v6 row_shr:8 row_mask:0xf bank_mask:0xf bound_ctrl:1
	v_cvt_i32_f32_e32 v9, v8
	v_cvt_i32_f32_e32 v10, v0
	;; [unrolled: 1-line block ×3, first 2 shown]
	v_add_f32_e32 v6, v71, v6
	v_cvt_f32_i32_dpp v9, v9 row_shr:1 row_mask:0xf bank_mask:0xf bound_ctrl:1
	v_cvt_i32_f32_e32 v13, v6
	v_cvt_f32_i32_dpp v10, v10 row_bcast:15 row_mask:0xf bank_mask:0xf bound_ctrl:1
	v_mov_b32_dpp v16, v12 row_bcast:31 row_mask:0xf bank_mask:0xf bound_ctrl:1
	v_add_f32_e32 v8, v8, v9
	v_cvt_f32_i32_dpp v12, v13 row_shr:4 row_mask:0xf bank_mask:0xf bound_ctrl:1
	v_cvt_i32_f32_e32 v15, v8
	v_add_f32_e32 v9, v0, v10
	v_cvt_i32_f32_e32 v10, v70
	v_add_f32_e32 v6, v6, v12
	v_cvt_f32_i32_dpp v0, v15 row_bcast:15 row_mask:0xf bank_mask:0xf bound_ctrl:1
	v_cvt_i32_f32_e32 v12, v6
	v_cvt_f32_i32_dpp v15, v10 row_shr:8 row_mask:0xf bank_mask:0xf bound_ctrl:1
	v_cvt_i32_f32_e32 v13, v9
	v_add_f32_e32 v10, v8, v0
	v_cvt_f32_i32_dpp v0, v12 row_shr:2 row_mask:0xf bank_mask:0xf bound_ctrl:1
	v_add_f32_e32 v12, v70, v15
	v_cvt_i32_f32_e32 v15, v12
	v_cvt_i32_f32_e32 v8, v10
	v_add_f32_e32 v0, v6, v0
	v_cvt_i32_f32_e32 v6, v0
	v_cvt_f32_i32_dpp v15, v15 row_shr:4 row_mask:0xf bank_mask:0xf bound_ctrl:1
	v_mov_b32_dpp v18, v13 row_bcast:31 row_mask:0xf bank_mask:0xf bound_ctrl:1
	v_mov_b32_dpp v13, v8 row_bcast:31 row_mask:0xf bank_mask:0xf bound_ctrl:1
	v_cvt_f32_i32_dpp v6, v6 row_shr:1 row_mask:0xf bank_mask:0xf bound_ctrl:1
	v_cvt_i32_f32_e32 v8, v69
	v_add_f32_e32 v12, v12, v15
	v_cvt_i32_f32_e32 v15, v55
	v_add_f32_e32 v0, v0, v6
	v_cvt_f32_i32_dpp v8, v8 row_shr:8 row_mask:0xf bank_mask:0xf bound_ctrl:1
	v_cvt_i32_f32_e32 v17, v12
	v_cvt_f32_i32_dpp v6, v15 row_shr:8 row_mask:0xf bank_mask:0xf bound_ctrl:1
	v_cvt_i32_f32_e32 v20, v0
	v_add_f32_e32 v8, v69, v8
	v_cvt_f32_i32_dpp v15, v17 row_shr:2 row_mask:0xf bank_mask:0xf bound_ctrl:1
	v_add_f32_e32 v6, v55, v6
	v_cvt_i32_f32_e32 v17, v8
	v_cvt_i32_f32_e32 v19, v6
	v_add_f32_e32 v12, v12, v15
	v_cvt_f32_i32_dpp v20, v20 row_bcast:15 row_mask:0xf bank_mask:0xf bound_ctrl:1
	v_cvt_f32_i32_dpp v17, v17 row_shr:4 row_mask:0xf bank_mask:0xf bound_ctrl:1
	v_cvt_f32_i32_dpp v15, v19 row_shr:4 row_mask:0xf bank_mask:0xf bound_ctrl:1
	v_cvt_i32_f32_e32 v19, v12
	v_add_f32_e32 v21, v0, v20
	v_add_f32_e32 v8, v8, v17
	;; [unrolled: 1-line block ×3, first 2 shown]
	v_cvt_i32_f32_e32 v17, v8
	v_cvt_i32_f32_e32 v15, v6
	v_cvt_f32_i32_dpp v19, v19 row_shr:1 row_mask:0xf bank_mask:0xf bound_ctrl:1
	v_cvt_f32_i32_dpp v17, v17 row_shr:2 row_mask:0xf bank_mask:0xf bound_ctrl:1
	;; [unrolled: 1-line block ×3, first 2 shown]
	v_add_f32_e32 v12, v12, v19
	v_cvt_i32_f32_e32 v19, v12
	v_add_f32_e32 v8, v8, v17
	v_add_f32_e32 v6, v6, v15
	v_cvt_i32_f32_e32 v17, v8
	v_cvt_i32_f32_e32 v15, v6
	s_nop 0
	v_cvt_f32_i32_dpp v17, v17 row_shr:1 row_mask:0xf bank_mask:0xf bound_ctrl:1
	v_cvt_f32_i32_dpp v0, v15 row_shr:1 row_mask:0xf bank_mask:0xf bound_ctrl:1
	v_cvt_f32_i32_dpp v15, v19 row_bcast:15 row_mask:0xf bank_mask:0xf bound_ctrl:1
	v_cvt_i32_f32_e32 v19, v21
	v_add_f32_e32 v8, v8, v17
	v_add_f32_e32 v0, v6, v0
	v_cvt_i32_f32_e32 v17, v8
	v_cvt_i32_f32_e32 v6, v0
	v_add_f32_e32 v20, v12, v15
	v_cvt_i32_f32_e32 v15, v20
	v_cvt_f32_i32_dpp v17, v17 row_bcast:15 row_mask:0xf bank_mask:0xf bound_ctrl:1
	v_cvt_f32_i32_dpp v6, v6 row_bcast:15 row_mask:0xf bank_mask:0xf bound_ctrl:1
	v_mov_b32_dpp v23, v19 row_bcast:31 row_mask:0xf bank_mask:0xf bound_ctrl:1
	v_mov_b32_dpp v22, v15 row_bcast:31 row_mask:0xf bank_mask:0xf bound_ctrl:1
	v_add_f32_e32 v17, v8, v17
	v_add_f32_e32 v12, v0, v6
	v_cvt_i32_f32_e32 v8, v17
	v_cvt_i32_f32_e32 v0, v12
	s_nop 0
	v_mov_b32_dpp v19, v8 row_bcast:31 row_mask:0xf bank_mask:0xf bound_ctrl:1
	v_mov_b32_dpp v15, v0 row_bcast:31 row_mask:0xf bank_mask:0xf bound_ctrl:1
	s_and_saveexec_b64 s[36:37], s[0:1]
	s_cbranch_execz .LBB67_44
; %bb.33:                               ;   in Loop: Header=BB67_12 Depth=1
	s_andn2_b64 vcc, exec, s[28:29]
	v_mov_b32_e32 v30, 0
	v_add_u32_e32 v8, 2, v54
	v_add_u32_e32 v6, 3, v54
	v_mov_b32_e32 v29, 0
	v_mov_b32_e32 v28, 0
	;; [unrolled: 1-line block ×3, first 2 shown]
	s_waitcnt vmcnt(3)
	v_mov_b32_e32 v27, 0
	s_waitcnt vmcnt(2)
	v_mov_b32_e32 v26, 0
	;; [unrolled: 2-line block ×4, first 2 shown]
	s_cbranch_vccnz .LBB67_35
; %bb.34:                               ;   in Loop: Header=BB67_12 Depth=1
	v_mul_hi_u32 v0, v54, v65
	v_mul_lo_u32 v0, v0, s12
	v_sub_u32_e32 v0, v54, v0
	v_subrev_u32_e32 v24, s12, v0
	v_cmp_le_u32_e32 vcc, s12, v0
	v_mov_b32_e32 v27, v1
	v_mov_b32_e32 v29, v1
	v_cndmask_b32_e32 v0, v0, v24, vcc
	v_subrev_u32_e32 v24, s12, v0
	v_cmp_le_u32_e32 vcc, s12, v0
	s_nop 1
	v_cndmask_b32_e32 v0, v0, v24, vcc
	v_add_u32_e32 v24, 1, v54
	v_mul_hi_u32 v25, v24, v65
	v_mul_lo_u32 v25, v25, s12
	v_sub_u32_e32 v24, v24, v25
	v_subrev_u32_e32 v25, s12, v24
	v_cmp_le_u32_e32 vcc, s12, v24
	v_lshl_add_u64 v[32:33], v[0:1], 1, s[18:19]
	v_add_u32_e32 v0, s13, v0
	v_cndmask_b32_e32 v24, v24, v25, vcc
	v_subrev_u32_e32 v25, s12, v24
	v_cmp_le_u32_e32 vcc, s12, v24
	v_lshl_add_u64 v[40:41], v[0:1], 1, s[18:19]
	s_nop 0
	v_cndmask_b32_e32 v24, v24, v25, vcc
	v_mov_b32_e32 v25, v1
	v_lshl_add_u64 v[34:35], v[24:25], 1, s[18:19]
	v_mul_hi_u32 v25, v8, v65
	v_mul_lo_u32 v25, v25, s12
	v_sub_u32_e32 v25, v8, v25
	v_subrev_u32_e32 v26, s12, v25
	v_cmp_le_u32_e32 vcc, s12, v25
	v_add_u32_e32 v0, s13, v24
	v_lshl_add_u64 v[42:43], v[0:1], 1, s[18:19]
	v_cndmask_b32_e32 v25, v25, v26, vcc
	v_subrev_u32_e32 v26, s12, v25
	v_cmp_le_u32_e32 vcc, s12, v25
	s_nop 1
	v_cndmask_b32_e32 v26, v25, v26, vcc
	v_mul_hi_u32 v25, v6, v65
	v_mul_lo_u32 v25, v25, s12
	v_sub_u32_e32 v25, v6, v25
	v_lshl_add_u64 v[36:37], v[26:27], 1, s[18:19]
	v_subrev_u32_e32 v27, s12, v25
	v_cmp_le_u32_e32 vcc, s12, v25
	v_add_u32_e32 v0, s13, v26
	v_lshl_add_u64 v[44:45], v[0:1], 1, s[18:19]
	v_cndmask_b32_e32 v25, v25, v27, vcc
	v_subrev_u32_e32 v27, s12, v25
	v_cmp_le_u32_e32 vcc, s12, v25
	s_nop 1
	v_cndmask_b32_e32 v28, v25, v27, vcc
	v_add_u32_e32 v0, s13, v28
	v_lshl_add_u64 v[38:39], v[28:29], 1, s[18:19]
	v_lshl_add_u64 v[46:47], v[0:1], 1, s[18:19]
	global_load_ushort v30, v[32:33], off
	global_load_ushort v29, v[34:35], off
	;; [unrolled: 1-line block ×8, first 2 shown]
.LBB67_35:                              ;   in Loop: Header=BB67_12 Depth=1
	v_cmp_ne_u32_e32 vcc, 0, v2
	s_and_saveexec_b64 s[6:7], vcc
	s_cbranch_execnz .LBB67_49
; %bb.36:                               ;   in Loop: Header=BB67_12 Depth=1
	s_or_b64 exec, exec, s[6:7]
	v_cmp_ne_u32_e64 s[6:7], 0, v3
	s_and_saveexec_b64 s[8:9], s[6:7]
	s_cbranch_execnz .LBB67_50
.LBB67_37:                              ;   in Loop: Header=BB67_12 Depth=1
	s_or_b64 exec, exec, s[8:9]
	v_cmp_ne_u32_e64 s[8:9], 0, v4
	s_and_saveexec_b64 s[10:11], s[8:9]
	s_cbranch_execnz .LBB67_51
.LBB67_38:                              ;   in Loop: Header=BB67_12 Depth=1
	s_or_b64 exec, exec, s[10:11]
	v_cmp_ne_u32_e64 s[10:11], 0, v5
	s_and_saveexec_b64 s[38:39], s[10:11]
	s_cbranch_execnz .LBB67_52
.LBB67_39:                              ;   in Loop: Header=BB67_12 Depth=1
	s_or_b64 exec, exec, s[38:39]
	s_waitcnt vmcnt(4)
	v_add_u32_e32 v0, s23, v54
	s_and_saveexec_b64 s[38:39], vcc
	s_cbranch_execnz .LBB67_53
.LBB67_40:                              ;   in Loop: Header=BB67_12 Depth=1
	s_or_b64 exec, exec, s[38:39]
	s_and_saveexec_b64 s[38:39], s[6:7]
	s_cbranch_execnz .LBB67_54
.LBB67_41:                              ;   in Loop: Header=BB67_12 Depth=1
	s_or_b64 exec, exec, s[38:39]
	s_and_saveexec_b64 s[6:7], s[8:9]
	s_cbranch_execnz .LBB67_55
.LBB67_42:                              ;   in Loop: Header=BB67_12 Depth=1
	s_or_b64 exec, exec, s[6:7]
	s_and_b64 exec, exec, s[10:11]
	s_cbranch_execz .LBB67_44
.LBB67_43:                              ;   in Loop: Header=BB67_12 Depth=1
	v_cvt_f32_i32_e32 v6, v15
	s_waitcnt vmcnt(0)
	v_cvt_f32_f16_e32 v7, v24
	v_add_u32_e32 v0, 3, v0
	v_add_f32_e32 v6, v12, v6
	v_add_f32_e32 v6, v6, v7
	v_cvt_f16_f32_e32 v8, v6
	v_lshl_add_u64 v[6:7], v[0:1], 1, s[24:25]
	global_store_short v[6:7], v8, off
.LBB67_44:                              ;   in Loop: Header=BB67_12 Depth=1
	s_or_b64 exec, exec, s[36:37]
	v_add_u32_e32 v54, s44, v54
	v_add_u32_e32 v0, 4, v54
	v_cmp_gt_u32_e32 vcc, s23, v54
	v_cmp_le_u32_e64 s[6:7], s23, v0
	s_and_b64 s[6:7], vcc, s[6:7]
	s_and_saveexec_b64 s[8:9], s[6:7]
	s_cbranch_execz .LBB67_10
; %bb.45:                               ;   in Loop: Header=BB67_12 Depth=1
	v_cmp_ne_u32_e32 vcc, s45, v54
	s_and_saveexec_b64 s[10:11], vcc
	s_cbranch_execz .LBB67_9
; %bb.46:                               ;   in Loop: Header=BB67_12 Depth=1
	v_subrev_u32_e32 v0, s45, v54
	v_cmp_lt_u32_e32 vcc, 1, v0
	s_mov_b64 s[36:37], 0
	s_mov_b64 s[38:39], 0
	v_cndmask_b32_e32 v0, 1, v0, vcc
.LBB67_47:                              ;   Parent Loop BB67_12 Depth=1
                                        ; =>  This Inner Loop Header: Depth=2
	s_cmp_lg_u32 s38, 3
	s_cselect_b64 vcc, -1, 0
	s_cmp_lg_u32 s38, 2
	v_cndmask_b32_e32 v5, 0, v5, vcc
	s_cselect_b64 vcc, -1, 0
	s_cmp_lg_u32 s38, 1
	v_cndmask_b32_e32 v4, 0, v4, vcc
	;; [unrolled: 3-line block ×3, first 2 shown]
	s_cselect_b64 vcc, -1, 0
	s_add_u32 s38, s38, 1
	s_addc_u32 s39, s39, 0
	v_cmp_eq_u32_e64 s[6:7], s38, v0
	s_or_b64 s[36:37], s[6:7], s[36:37]
	v_cndmask_b32_e32 v2, 0, v2, vcc
	s_andn2_b64 exec, exec, s[36:37]
	s_cbranch_execnz .LBB67_47
; %bb.48:                               ;   in Loop: Header=BB67_12 Depth=1
	s_or_b64 exec, exec, s[36:37]
	s_branch .LBB67_9
.LBB67_49:                              ;   in Loop: Header=BB67_12 Depth=1
	v_cvt_f32_i32_e32 v14, v14
	s_waitcnt vmcnt(7)
	v_cvt_f32_f16_e32 v30, v30
	v_mov_b32_e32 v55, v1
	v_add_f32_e32 v11, v11, v14
	v_add_f32_e32 v11, v11, v30
	v_cvt_f16_f32_e32 v11, v11
	v_lshl_add_u64 v[30:31], v[54:55], 1, s[24:25]
	global_store_short v[30:31], v11, off
	s_or_b64 exec, exec, s[6:7]
	v_cmp_ne_u32_e64 s[6:7], 0, v3
	s_and_saveexec_b64 s[8:9], s[6:7]
	s_cbranch_execz .LBB67_37
.LBB67_50:                              ;   in Loop: Header=BB67_12 Depth=1
	v_cvt_f32_i32_e32 v11, v16
	s_waitcnt vmcnt(6)
	v_cvt_f32_f16_e32 v14, v29
	v_mov_b32_e32 v55, v1
	v_lshl_add_u64 v[30:31], v[54:55], 1, s[30:31]
	v_add_f32_e32 v7, v7, v11
	v_add_f32_e32 v7, v7, v14
	v_cvt_f16_f32_e32 v7, v7
	global_store_short v[30:31], v7, off
	s_or_b64 exec, exec, s[8:9]
	v_cmp_ne_u32_e64 s[8:9], 0, v4
	s_and_saveexec_b64 s[10:11], s[8:9]
	s_cbranch_execz .LBB67_38
.LBB67_51:                              ;   in Loop: Header=BB67_12 Depth=1
	v_cvt_f32_i32_e32 v7, v18
	s_waitcnt vmcnt(5)
	v_cvt_f32_f16_e32 v11, v28
	v_add_f32_e32 v7, v9, v7
	v_add_f32_e32 v7, v7, v11
	v_cvt_f16_f32_e32 v7, v7
	v_mov_b32_e32 v9, v1
	v_lshl_add_u64 v[8:9], v[8:9], 1, s[24:25]
	global_store_short v[8:9], v7, off
	s_or_b64 exec, exec, s[10:11]
	v_cmp_ne_u32_e64 s[10:11], 0, v5
	s_and_saveexec_b64 s[38:39], s[10:11]
	s_cbranch_execz .LBB67_39
.LBB67_52:                              ;   in Loop: Header=BB67_12 Depth=1
	v_cvt_f32_i32_e32 v7, v13
	s_waitcnt vmcnt(4)
	v_cvt_f32_f16_e32 v0, v0
	v_add_f32_e32 v7, v10, v7
	v_add_f32_e32 v0, v7, v0
	v_cvt_f16_f32_e32 v0, v0
	v_mov_b32_e32 v7, v1
	v_lshl_add_u64 v[6:7], v[6:7], 1, s[24:25]
	global_store_short v[6:7], v0, off
	s_or_b64 exec, exec, s[38:39]
	v_add_u32_e32 v0, s23, v54
	s_and_saveexec_b64 s[38:39], vcc
	s_cbranch_execz .LBB67_40
.LBB67_53:                              ;   in Loop: Header=BB67_12 Depth=1
	v_cvt_f32_i32_e32 v6, v23
	s_waitcnt vmcnt(3)
	v_cvt_f32_f16_e32 v7, v27
	v_add_f32_e32 v6, v21, v6
	v_add_f32_e32 v6, v6, v7
	v_cvt_f16_f32_e32 v8, v6
	v_lshl_add_u64 v[6:7], v[0:1], 1, s[24:25]
	global_store_short v[6:7], v8, off
	s_or_b64 exec, exec, s[38:39]
	s_and_saveexec_b64 s[38:39], s[6:7]
	s_cbranch_execz .LBB67_41
.LBB67_54:                              ;   in Loop: Header=BB67_12 Depth=1
	v_cvt_f32_i32_e32 v6, v22
	s_waitcnt vmcnt(2)
	v_cvt_f32_f16_e32 v7, v26
	v_add_f32_e32 v6, v20, v6
	v_add_f32_e32 v6, v6, v7
	v_cvt_f16_f32_e32 v8, v6
	v_add_u32_e32 v6, 1, v0
	v_mov_b32_e32 v7, v1
	v_lshl_add_u64 v[6:7], v[6:7], 1, s[24:25]
	global_store_short v[6:7], v8, off
	s_or_b64 exec, exec, s[38:39]
	s_and_saveexec_b64 s[6:7], s[8:9]
	s_cbranch_execz .LBB67_42
.LBB67_55:                              ;   in Loop: Header=BB67_12 Depth=1
	v_cvt_f32_i32_e32 v6, v19
	s_waitcnt vmcnt(1)
	v_cvt_f32_f16_e32 v7, v25
	v_add_f32_e32 v6, v17, v6
	v_add_f32_e32 v6, v6, v7
	v_cvt_f16_f32_e32 v8, v6
	v_add_u32_e32 v6, 2, v0
	v_mov_b32_e32 v7, v1
	v_lshl_add_u64 v[6:7], v[6:7], 1, s[24:25]
	global_store_short v[6:7], v8, off
	s_or_b64 exec, exec, s[6:7]
	s_and_b64 exec, exec, s[10:11]
	s_cbranch_execnz .LBB67_43
	s_branch .LBB67_44
.LBB67_56:
	s_endpgm
	.section	.rodata,"a",@progbits
	.p2align	6, 0x0
	.amdhsa_kernel _Z16wvSplitK_hf_big_I6__halfLi64ELi4ELi16ELi8ELi2ELi2EEviiiiiiPKT_S3_S3_PS1_ii
		.amdhsa_group_segment_fixed_size 65536
		.amdhsa_private_segment_fixed_size 0
		.amdhsa_kernarg_size 64
		.amdhsa_user_sgpr_count 2
		.amdhsa_user_sgpr_dispatch_ptr 0
		.amdhsa_user_sgpr_queue_ptr 0
		.amdhsa_user_sgpr_kernarg_segment_ptr 1
		.amdhsa_user_sgpr_dispatch_id 0
		.amdhsa_user_sgpr_kernarg_preload_length 0
		.amdhsa_user_sgpr_kernarg_preload_offset 0
		.amdhsa_user_sgpr_private_segment_size 0
		.amdhsa_uses_dynamic_stack 0
		.amdhsa_enable_private_segment 0
		.amdhsa_system_sgpr_workgroup_id_x 1
		.amdhsa_system_sgpr_workgroup_id_y 0
		.amdhsa_system_sgpr_workgroup_id_z 0
		.amdhsa_system_sgpr_workgroup_info 0
		.amdhsa_system_vgpr_workitem_id 1
		.amdhsa_next_free_vgpr 78
		.amdhsa_next_free_sgpr 50
		.amdhsa_accum_offset 80
		.amdhsa_reserve_vcc 1
		.amdhsa_float_round_mode_32 0
		.amdhsa_float_round_mode_16_64 0
		.amdhsa_float_denorm_mode_32 3
		.amdhsa_float_denorm_mode_16_64 3
		.amdhsa_dx10_clamp 1
		.amdhsa_ieee_mode 1
		.amdhsa_fp16_overflow 0
		.amdhsa_tg_split 0
		.amdhsa_exception_fp_ieee_invalid_op 0
		.amdhsa_exception_fp_denorm_src 0
		.amdhsa_exception_fp_ieee_div_zero 0
		.amdhsa_exception_fp_ieee_overflow 0
		.amdhsa_exception_fp_ieee_underflow 0
		.amdhsa_exception_fp_ieee_inexact 0
		.amdhsa_exception_int_div_zero 0
	.end_amdhsa_kernel
	.section	.text._Z16wvSplitK_hf_big_I6__halfLi64ELi4ELi16ELi8ELi2ELi2EEviiiiiiPKT_S3_S3_PS1_ii,"axG",@progbits,_Z16wvSplitK_hf_big_I6__halfLi64ELi4ELi16ELi8ELi2ELi2EEviiiiiiPKT_S3_S3_PS1_ii,comdat
.Lfunc_end67:
	.size	_Z16wvSplitK_hf_big_I6__halfLi64ELi4ELi16ELi8ELi2ELi2EEviiiiiiPKT_S3_S3_PS1_ii, .Lfunc_end67-_Z16wvSplitK_hf_big_I6__halfLi64ELi4ELi16ELi8ELi2ELi2EEviiiiiiPKT_S3_S3_PS1_ii
                                        ; -- End function
	.section	.AMDGPU.csdata,"",@progbits
; Kernel info:
; codeLenInByte = 4012
; NumSgprs: 56
; NumVgprs: 78
; NumAgprs: 0
; TotalNumVgprs: 78
; ScratchSize: 0
; MemoryBound: 0
; FloatMode: 240
; IeeeMode: 1
; LDSByteSize: 65536 bytes/workgroup (compile time only)
; SGPRBlocks: 6
; VGPRBlocks: 9
; NumSGPRsForWavesPerEU: 56
; NumVGPRsForWavesPerEU: 78
; AccumOffset: 80
; Occupancy: 4
; WaveLimiterHint : 0
; COMPUTE_PGM_RSRC2:SCRATCH_EN: 0
; COMPUTE_PGM_RSRC2:USER_SGPR: 2
; COMPUTE_PGM_RSRC2:TRAP_HANDLER: 0
; COMPUTE_PGM_RSRC2:TGID_X_EN: 1
; COMPUTE_PGM_RSRC2:TGID_Y_EN: 0
; COMPUTE_PGM_RSRC2:TGID_Z_EN: 0
; COMPUTE_PGM_RSRC2:TIDIG_COMP_CNT: 1
; COMPUTE_PGM_RSRC3_GFX90A:ACCUM_OFFSET: 19
; COMPUTE_PGM_RSRC3_GFX90A:TG_SPLIT: 0
	.section	.text._Z16wvSplitK_hf_sml_I6__halfLi32ELi1ELi16ELi8ELi4ELi3EEviiiiiiPKT_S3_S3_PS1_ii,"axG",@progbits,_Z16wvSplitK_hf_sml_I6__halfLi32ELi1ELi16ELi8ELi4ELi3EEviiiiiiPKT_S3_S3_PS1_ii,comdat
	.protected	_Z16wvSplitK_hf_sml_I6__halfLi32ELi1ELi16ELi8ELi4ELi3EEviiiiiiPKT_S3_S3_PS1_ii ; -- Begin function _Z16wvSplitK_hf_sml_I6__halfLi32ELi1ELi16ELi8ELi4ELi3EEviiiiiiPKT_S3_S3_PS1_ii
	.globl	_Z16wvSplitK_hf_sml_I6__halfLi32ELi1ELi16ELi8ELi4ELi3EEviiiiiiPKT_S3_S3_PS1_ii
	.p2align	8
	.type	_Z16wvSplitK_hf_sml_I6__halfLi32ELi1ELi16ELi8ELi4ELi3EEviiiiiiPKT_S3_S3_PS1_ii,@function
_Z16wvSplitK_hf_sml_I6__halfLi32ELi1ELi16ELi8ELi4ELi3EEviiiiiiPKT_S3_S3_PS1_ii: ; @_Z16wvSplitK_hf_sml_I6__halfLi32ELi1ELi16ELi8ELi4ELi3EEviiiiiiPKT_S3_S3_PS1_ii
; %bb.0:
	s_load_dwordx4 s[4:7], s[0:1], 0x0
	v_and_b32_e32 v4, 0x3ff, v0
	v_bfe_u32 v5, v0, 10, 10
	v_lshlrev_b32_e32 v70, 3, v4
	v_lshl_add_u32 v6, v5, 8, v70
	s_waitcnt lgkmcnt(0)
	s_mul_i32 s3, s6, 3
	s_min_u32 s3, s3, 0x8000
	v_cmp_gt_u32_e32 vcc, s3, v6
	s_and_saveexec_b64 s[8:9], vcc
	s_cbranch_execz .LBB68_9
; %bb.1:
	s_load_dwordx2 s[10:11], s[0:1], 0x20
	v_lshlrev_b32_e32 v0, 1, v6
	v_add_u32_e32 v1, 0x1000, v6
	v_cmp_gt_u32_e32 vcc, s3, v1
	s_waitcnt lgkmcnt(0)
	global_load_dwordx4 v[8:11], v0, s[10:11]
	s_waitcnt vmcnt(0)
	ds_write_b128 v0, v[8:11]
	s_and_saveexec_b64 s[12:13], vcc
	s_xor_b64 s[12:13], exec, s[12:13]
	s_cbranch_execz .LBB68_9
; %bb.2:
	v_mov_b32_e32 v1, 0
	v_lshl_add_u64 v[2:3], s[10:11], 0, v[0:1]
	v_add_co_u32_e32 v8, vcc, 0x2000, v2
	v_add_u32_e32 v1, 0x2000, v6
	s_nop 0
	v_addc_co_u32_e32 v9, vcc, 0, v3, vcc
	global_load_dwordx4 v[8:11], v[8:9], off
	v_cmp_gt_u32_e32 vcc, s3, v1
	s_waitcnt vmcnt(0)
	ds_write_b128 v0, v[8:11] offset:8192
	s_and_saveexec_b64 s[10:11], vcc
	s_xor_b64 s[10:11], exec, s[10:11]
	s_cbranch_execz .LBB68_9
; %bb.3:
	v_add_co_u32_e32 v8, vcc, 0x4000, v2
	v_add_u32_e32 v1, 0x3000, v6
	s_nop 0
	v_addc_co_u32_e32 v9, vcc, 0, v3, vcc
	global_load_dwordx4 v[8:11], v[8:9], off
	v_cmp_gt_u32_e32 vcc, s3, v1
	s_waitcnt vmcnt(0)
	ds_write_b128 v0, v[8:11] offset:16384
	s_and_saveexec_b64 s[10:11], vcc
	s_xor_b64 s[10:11], exec, s[10:11]
	s_cbranch_execz .LBB68_9
; %bb.4:
	;; [unrolled: 12-line block ×6, first 2 shown]
	v_add_co_u32_e32 v2, vcc, 0xe000, v2
	s_nop 1
	v_addc_co_u32_e32 v3, vcc, 0, v3, vcc
	global_load_dwordx4 v[6:9], v[2:3], off
	s_waitcnt vmcnt(0)
	ds_write_b128 v0, v[6:9] offset:57344
.LBB68_9:
	s_or_b64 exec, exec, s[8:9]
	s_load_dwordx2 s[20:21], s[0:1], 0x38
	s_waitcnt lgkmcnt(0)
	s_barrier
	v_cmp_gt_u32_e32 vcc, s20, v5
	s_and_saveexec_b64 s[8:9], vcc
	s_cbranch_execz .LBB68_30
; %bb.10:
	s_load_dwordx2 s[12:13], s[0:1], 0x10
	s_mul_i32 s2, s2, s20
	v_add_u32_e32 v48, s2, v5
	v_cmp_gt_u32_e32 vcc, s7, v48
	s_and_b64 exec, exec, vcc
	s_cbranch_execz .LBB68_30
; %bb.11:
	s_load_dwordx4 s[8:11], s[0:1], 0x28
	s_load_dwordx2 s[14:15], s[0:1], 0x18
	s_cmp_lg_u32 s4, 0
	s_cselect_b64 s[2:3], -1, 0
	s_add_i32 s28, s4, -8
	s_add_i32 s29, s7, -1
	s_waitcnt lgkmcnt(0)
	s_cmp_lg_u64 s[8:9], 0
	s_cselect_b64 s[18:19], -1, 0
	s_abs_i32 s22, s13
	v_cvt_f32_u32_e32 v0, s12
	v_cvt_f32_u32_e32 v1, s22
	s_mul_i32 s13, s21, s20
	s_sub_i32 s20, 0, s12
	v_rcp_iflag_f32_e32 v0, v0
	v_rcp_iflag_f32_e32 v1, v1
	v_cmp_eq_u32_e64 s[0:1], 31, v4
	s_mov_b64 s[16:17], 0
	v_mul_f32_e32 v0, 0x4f7ffffe, v0
	v_mul_f32_e32 v1, 0x4f7ffffe, v1
	v_cvt_u32_f32_e32 v0, v0
	v_cvt_u32_f32_e32 v1, v1
	v_mov_b32_e32 v51, 0
	v_lshlrev_b32_e32 v72, 4, v4
	v_mul_lo_u32 v2, s20, v0
	s_sub_i32 s20, 0, s22
	v_readfirstlane_b32 s21, v1
	s_mul_i32 s20, s20, s21
	s_mul_hi_u32 s20, s21, s20
	s_add_i32 s21, s21, s20
	s_sub_i32 s20, 1, s22
	s_cmp_lt_u32 s22, 2
	s_cselect_b32 s20, s20, 1
	s_sub_i32 s23, s20, s22
	s_cmp_ge_u32 s20, s22
	s_cselect_b32 s30, s23, s20
	s_lshr_b32 s20, s21, 31
	s_mul_i32 s20, s20, s22
	s_sub_i32 s20, 2, s20
	s_sub_i32 s21, s20, s22
	s_cmp_ge_u32 s20, s22
	s_cselect_b32 s20, s21, s20
	s_sub_i32 s21, s20, s22
	v_mul_hi_u32 v2, v0, v2
	s_cmp_ge_u32 s20, s22
	v_add_u32_e32 v71, v0, v2
	s_cselect_b32 s31, s21, s20
	v_cndmask_b32_e64 v0, 0, 1, s[2:3]
	s_mul_i32 s30, s30, s12
	s_mul_i32 s31, s31, s12
	s_lshl_b32 s33, s6, 2
	s_lshl_b32 s6, s6, 1
	v_cmp_ne_u32_e64 s[2:3], 1, v0
	s_branch .LBB68_14
.LBB68_12:                              ;   in Loop: Header=BB68_14 Depth=1
	v_cvt_f32_i32_e32 v5, v5
	s_waitcnt vmcnt(2)
	v_cvt_f32_f16_e32 v8, v8
	v_cvt_f32_i32_e32 v4, v4
	v_cvt_f32_i32_e32 v3, v3
	v_add_f32_e32 v1, v1, v5
	v_add_f32_e32 v1, v1, v8
	;; [unrolled: 1-line block ×3, first 2 shown]
	v_cvt_f16_f32_e32 v4, v1
	s_waitcnt vmcnt(1)
	v_cvt_f32_f16_e32 v5, v7
	v_add_f32_e32 v3, v0, v3
	v_lshl_add_u64 v[0:1], v[48:49], 1, s[10:11]
	global_store_short v[0:1], v4, off
	v_add_f32_e32 v0, v2, v5
	s_waitcnt vmcnt(1)
	v_cvt_f32_f16_e32 v2, v6
	v_cvt_f16_f32_e32 v4, v0
	v_add_u32_e32 v50, s7, v48
	v_lshl_add_u64 v[0:1], v[50:51], 1, s[10:11]
	v_add_f32_e32 v2, v3, v2
	v_cvt_f16_f32_e32 v2, v2
	v_add_u32_e32 v50, s7, v50
	global_store_short v[0:1], v4, off
	v_lshl_add_u64 v[0:1], v[50:51], 1, s[10:11]
	global_store_short v[0:1], v2, off
.LBB68_13:                              ;   in Loop: Header=BB68_14 Depth=1
	s_or_b64 exec, exec, s[20:21]
	v_add_u32_e32 v48, s13, v48
	v_cmp_le_u32_e32 vcc, s7, v48
	s_or_b64 s[16:17], vcc, s[16:17]
	s_andn2_b64 exec, exec, s[16:17]
	s_cbranch_execz .LBB68_30
.LBB68_14:                              ; =>This Loop Header: Depth=1
                                        ;     Child Loop BB68_20 Depth 2
	s_mov_b32 s34, 0
	s_and_b64 vcc, exec, s[2:3]
	v_mov_b32_e32 v74, v51
	v_mov_b32_e32 v73, v51
	;; [unrolled: 1-line block ×3, first 2 shown]
	s_cbranch_vccnz .LBB68_25
; %bb.15:                               ;   in Loop: Header=BB68_14 Depth=1
	v_min_u32_e32 v0, s29, v48
	v_mul_lo_u32 v50, v0, s5
	v_lshl_add_u64 v[52:53], v[50:51], 1, s[14:15]
	v_mov_b32_e32 v49, 0
	v_mov_b32_e32 v75, v72
	v_mov_b32_e32 v73, 0
	v_mov_b32_e32 v74, 0
	s_branch .LBB68_20
.LBB68_16:                              ;   in Loop: Header=BB68_20 Depth=2
	s_or_b64 exec, exec, s[26:27]
.LBB68_17:                              ;   in Loop: Header=BB68_20 Depth=2
	s_or_b64 exec, exec, s[24:25]
.LBB68_18:                              ;   in Loop: Header=BB68_20 Depth=2
	s_or_b64 exec, exec, s[22:23]
.LBB68_19:                              ;   in Loop: Header=BB68_20 Depth=2
	s_or_b64 exec, exec, s[20:21]
	s_waitcnt vmcnt(3) lgkmcnt(1)
	;;#ASMSTART
	v_dot2c_f32_f16 v74, v24, v12
	;;#ASMEND
	;;#ASMSTART
	v_dot2c_f32_f16 v73, v20, v12
	;;#ASMEND
	;; [unrolled: 3-line block ×3, first 2 shown]
	s_addk_i32 s34, 0x400
	;;#ASMSTART
	v_dot2c_f32_f16 v74, v25, v13
	;;#ASMEND
	;;#ASMSTART
	v_dot2c_f32_f16 v73, v21, v13
	;;#ASMEND
	;; [unrolled: 3-line block ×3, first 2 shown]
	s_cmp_ge_u32 s34, s4
	;;#ASMSTART
	v_dot2c_f32_f16 v74, v26, v14
	;;#ASMEND
	;;#ASMSTART
	v_dot2c_f32_f16 v73, v22, v14
	;;#ASMEND
	s_waitcnt lgkmcnt(0)
	;;#ASMSTART
	v_dot2c_f32_f16 v49, v60, v14
	;;#ASMEND
	v_add_u32_e32 v75, 0x800, v75
	;;#ASMSTART
	v_dot2c_f32_f16 v74, v27, v15
	;;#ASMEND
	;;#ASMSTART
	v_dot2c_f32_f16 v73, v23, v15
	;;#ASMEND
	;;#ASMSTART
	v_dot2c_f32_f16 v49, v61, v15
	;;#ASMEND
	s_waitcnt vmcnt(2)
	;;#ASMSTART
	v_dot2c_f32_f16 v74, v44, v8
	;;#ASMEND
	;;#ASMSTART
	v_dot2c_f32_f16 v73, v36, v8
	;;#ASMEND
	;;#ASMSTART
	v_dot2c_f32_f16 v49, v68, v8
	;;#ASMEND
	s_nop 0
	;;#ASMSTART
	v_dot2c_f32_f16 v74, v45, v9
	;;#ASMEND
	;;#ASMSTART
	v_dot2c_f32_f16 v73, v37, v9
	;;#ASMEND
	;;#ASMSTART
	v_dot2c_f32_f16 v49, v69, v9
	;;#ASMEND
	s_nop 0
	;;#ASMSTART
	v_dot2c_f32_f16 v74, v46, v10
	;;#ASMEND
	;;#ASMSTART
	v_dot2c_f32_f16 v73, v38, v10
	;;#ASMEND
	;;#ASMSTART
	v_dot2c_f32_f16 v49, v66, v10
	;;#ASMEND
	s_nop 0
	;;#ASMSTART
	v_dot2c_f32_f16 v74, v47, v11
	;;#ASMEND
	;;#ASMSTART
	v_dot2c_f32_f16 v73, v39, v11
	;;#ASMEND
	;;#ASMSTART
	v_dot2c_f32_f16 v49, v67, v11
	;;#ASMEND
	s_waitcnt vmcnt(1)
	;;#ASMSTART
	v_dot2c_f32_f16 v74, v40, v4
	;;#ASMEND
	;;#ASMSTART
	v_dot2c_f32_f16 v73, v28, v4
	;;#ASMEND
	;;#ASMSTART
	v_dot2c_f32_f16 v49, v64, v4
	;;#ASMEND
	s_nop 0
	;;#ASMSTART
	v_dot2c_f32_f16 v74, v41, v5
	;;#ASMEND
	;;#ASMSTART
	v_dot2c_f32_f16 v73, v29, v5
	;;#ASMEND
	;;#ASMSTART
	v_dot2c_f32_f16 v49, v65, v5
	;;#ASMEND
	s_nop 0
	;;#ASMSTART
	v_dot2c_f32_f16 v74, v42, v6
	;;#ASMEND
	;;#ASMSTART
	v_dot2c_f32_f16 v73, v30, v6
	;;#ASMEND
	;;#ASMSTART
	v_dot2c_f32_f16 v49, v62, v6
	;;#ASMEND
	s_nop 0
	;; [unrolled: 40-line block ×3, first 2 shown]
	;;#ASMSTART
	v_dot2c_f32_f16 v74, v35, v3
	;;#ASMEND
	;;#ASMSTART
	v_dot2c_f32_f16 v73, v19, v3
	;;#ASMEND
	;; [unrolled: 3-line block ×3, first 2 shown]
	s_cbranch_scc1 .LBB68_25
.LBB68_20:                              ;   Parent Loop BB68_14 Depth=1
                                        ; =>  This Inner Loop Header: Depth=2
	v_add_u32_e32 v20, s34, v70
	v_min_u32_e32 v50, s28, v20
	v_add_u32_e32 v79, 0x100, v20
	v_lshl_add_u64 v[0:1], v[50:51], 1, v[52:53]
	v_min_u32_e32 v50, s28, v79
	v_add_u32_e32 v77, 0x200, v20
	v_lshl_add_u64 v[2:3], v[50:51], 1, v[52:53]
	;; [unrolled: 3-line block ×3, first 2 shown]
	v_min_u32_e32 v50, s28, v76
	global_load_dwordx4 v[12:15], v[0:1], off nt
	global_load_dwordx4 v[8:11], v[2:3], off nt
	v_lshl_add_u64 v[18:19], v[50:51], 1, v[52:53]
	global_load_dwordx4 v[4:7], v[16:17], off nt
	global_load_dwordx4 v[0:3], v[18:19], off nt
	v_cmp_gt_u32_e32 vcc, s4, v20
	v_mov_b32_e32 v27, 0
	v_mov_b32_e32 v24, 0
	v_mov_b32_e32 v25, 0
	v_mov_b32_e32 v26, 0
	v_mov_b32_e32 v20, 0
	v_mov_b32_e32 v21, 0
	v_mov_b32_e32 v22, 0
	v_mov_b32_e32 v23, 0
	v_mov_b32_e32 v58, 0
	v_mov_b32_e32 v59, 0
	v_mov_b32_e32 v60, 0
	v_mov_b32_e32 v61, 0
	v_mov_b32_e32 v44, 0
	v_mov_b32_e32 v45, 0
	v_mov_b32_e32 v46, 0
	v_mov_b32_e32 v47, 0
	v_mov_b32_e32 v36, 0
	v_mov_b32_e32 v37, 0
	v_mov_b32_e32 v38, 0
	v_mov_b32_e32 v39, 0
	v_mov_b32_e32 v68, 0
	v_mov_b32_e32 v69, 0
	v_mov_b32_e32 v66, 0
	v_mov_b32_e32 v67, 0
	v_mov_b32_e32 v40, 0
	v_mov_b32_e32 v41, 0
	v_mov_b32_e32 v42, 0
	v_mov_b32_e32 v43, 0
	v_mov_b32_e32 v28, 0
	v_mov_b32_e32 v29, 0
	v_mov_b32_e32 v30, 0
	v_mov_b32_e32 v31, 0
	v_mov_b32_e32 v64, 0
	v_mov_b32_e32 v65, 0
	v_mov_b32_e32 v62, 0
	v_mov_b32_e32 v63, 0
	v_mov_b32_e32 v32, 0
	v_mov_b32_e32 v33, 0
	v_mov_b32_e32 v34, 0
	v_mov_b32_e32 v35, 0
	v_mov_b32_e32 v16, 0
	v_mov_b32_e32 v17, 0
	v_mov_b32_e32 v18, 0
	v_mov_b32_e32 v19, 0
	v_mov_b32_e32 v56, 0
	v_mov_b32_e32 v57, 0
	v_mov_b32_e32 v54, 0
	v_mov_b32_e32 v55, 0
	s_and_saveexec_b64 s[20:21], vcc
	s_cbranch_execz .LBB68_19
; %bb.21:                               ;   in Loop: Header=BB68_20 Depth=2
	v_add_u32_e32 v50, s6, v75
	v_add_u32_e32 v78, s33, v75
	ds_read_b128 v[20:23], v50
	ds_read2_b32 v[58:59], v78 offset1:1
	ds_read_b128 v[24:27], v75
	ds_read2_b32 v[60:61], v78 offset0:2 offset1:3
	v_cmp_gt_u32_e32 vcc, s4, v79
	v_mov_b32_e32 v55, 0
	v_mov_b32_e32 v54, 0
	;; [unrolled: 1-line block ×36, first 2 shown]
	s_and_saveexec_b64 s[22:23], vcc
	s_cbranch_execz .LBB68_18
; %bb.22:                               ;   in Loop: Header=BB68_20 Depth=2
	ds_read_b128 v[36:39], v50 offset:512
	ds_read2_b32 v[68:69], v78 offset0:128 offset1:129
	ds_read_b128 v[44:47], v75 offset:512
	ds_read2_b32 v[66:67], v78 offset0:130 offset1:131
	v_cmp_gt_u32_e32 vcc, s4, v77
	v_mov_b32_e32 v55, 0
	v_mov_b32_e32 v54, 0
	v_mov_b32_e32 v57, 0
	v_mov_b32_e32 v56, 0
	v_mov_b32_e32 v19, 0
	v_mov_b32_e32 v18, 0
	v_mov_b32_e32 v17, 0
	v_mov_b32_e32 v16, 0
	v_mov_b32_e32 v35, 0
	v_mov_b32_e32 v34, 0
	v_mov_b32_e32 v33, 0
	v_mov_b32_e32 v32, 0
	v_mov_b32_e32 v63, 0
	v_mov_b32_e32 v62, 0
	v_mov_b32_e32 v65, 0
	v_mov_b32_e32 v64, 0
	v_mov_b32_e32 v31, 0
	v_mov_b32_e32 v30, 0
	v_mov_b32_e32 v29, 0
	v_mov_b32_e32 v28, 0
	v_mov_b32_e32 v43, 0
	v_mov_b32_e32 v42, 0
	v_mov_b32_e32 v41, 0
	v_mov_b32_e32 v40, 0
	s_and_saveexec_b64 s[24:25], vcc
	s_cbranch_execz .LBB68_17
; %bb.23:                               ;   in Loop: Header=BB68_20 Depth=2
	v_add_u32_e32 v16, 0x400, v78
	ds_read_b128 v[28:31], v50 offset:1024
	ds_read2_b32 v[64:65], v16 offset1:1
	v_add_u32_e32 v16, 0x408, v78
	ds_read_b128 v[40:43], v75 offset:1024
	ds_read2_b32 v[62:63], v16 offset1:1
	v_cmp_gt_u32_e32 vcc, s4, v76
	v_mov_b32_e32 v55, 0
	v_mov_b32_e32 v54, 0
	;; [unrolled: 1-line block ×12, first 2 shown]
	s_and_saveexec_b64 s[26:27], vcc
	s_cbranch_execz .LBB68_16
; %bb.24:                               ;   in Loop: Header=BB68_20 Depth=2
	v_add_u32_e32 v32, 0x600, v78
	ds_read_b128 v[16:19], v50 offset:1536
	ds_read2_b32 v[56:57], v32 offset1:1
	v_add_u32_e32 v50, 0x608, v78
	ds_read_b128 v[32:35], v75 offset:1536
	ds_read2_b32 v[54:55], v50 offset1:1
	s_branch .LBB68_16
.LBB68_25:                              ;   in Loop: Header=BB68_14 Depth=1
	; sched_barrier mask(0x00000000)
	v_cvt_i32_f32_e32 v0, v74
	v_cvt_i32_f32_e32 v1, v73
	v_cvt_i32_f32_e32 v2, v49
	v_cvt_f32_i32_dpp v0, v0 row_shr:8 row_mask:0xf bank_mask:0xf bound_ctrl:1
	v_cvt_f32_i32_dpp v1, v1 row_shr:8 row_mask:0xf bank_mask:0xf bound_ctrl:1
	v_cvt_f32_i32_dpp v2, v2 row_shr:8 row_mask:0xf bank_mask:0xf bound_ctrl:1
	v_add_f32_e32 v0, v74, v0
	v_add_f32_e32 v1, v73, v1
	v_add_f32_e32 v2, v49, v2
	v_cvt_i32_f32_e32 v3, v0
	v_cvt_i32_f32_e32 v4, v1
	v_cvt_i32_f32_e32 v5, v2
	v_cvt_f32_i32_dpp v3, v3 row_shr:4 row_mask:0xf bank_mask:0xf bound_ctrl:1
	v_cvt_f32_i32_dpp v4, v4 row_shr:4 row_mask:0xf bank_mask:0xf bound_ctrl:1
	v_cvt_f32_i32_dpp v5, v5 row_shr:4 row_mask:0xf bank_mask:0xf bound_ctrl:1
	v_add_f32_e32 v0, v0, v3
	v_add_f32_e32 v1, v1, v4
	v_add_f32_e32 v2, v2, v5
	;; [unrolled: 9-line block ×4, first 2 shown]
	v_cvt_i32_f32_e32 v1, v0
	v_cvt_i32_f32_e32 v2, v3
	;; [unrolled: 1-line block ×3, first 2 shown]
	v_cvt_f32_i32_dpp v1, v1 row_bcast:15 row_mask:0xf bank_mask:0xf bound_ctrl:1
	v_cvt_f32_i32_dpp v2, v2 row_bcast:15 row_mask:0xf bank_mask:0xf bound_ctrl:1
	;; [unrolled: 1-line block ×3, first 2 shown]
	v_add_f32_e32 v1, v0, v1
	v_add_f32_e32 v2, v3, v2
	;; [unrolled: 1-line block ×3, first 2 shown]
	v_cvt_i32_f32_e32 v3, v1
	v_cvt_i32_f32_e32 v4, v2
	;; [unrolled: 1-line block ×3, first 2 shown]
	v_mov_b32_dpp v5, v3 row_bcast:31 row_mask:0xf bank_mask:0xf bound_ctrl:1
	v_mov_b32_dpp v4, v4 row_bcast:31 row_mask:0xf bank_mask:0xf bound_ctrl:1
	;; [unrolled: 1-line block ×3, first 2 shown]
	s_and_saveexec_b64 s[20:21], s[0:1]
	s_cbranch_execz .LBB68_13
; %bb.26:                               ;   in Loop: Header=BB68_14 Depth=1
	s_and_b64 vcc, exec, s[18:19]
	s_cbranch_vccz .LBB68_28
; %bb.27:                               ;   in Loop: Header=BB68_14 Depth=1
	v_mul_hi_u32 v6, v48, v71
	v_mul_lo_u32 v6, v6, s12
	v_sub_u32_e32 v6, v48, v6
	v_subrev_u32_e32 v7, s12, v6
	v_cmp_le_u32_e32 vcc, s12, v6
	v_mov_b32_e32 v49, v51
	s_nop 0
	v_cndmask_b32_e32 v6, v6, v7, vcc
	v_subrev_u32_e32 v7, s12, v6
	v_cmp_le_u32_e32 vcc, s12, v6
	s_nop 1
	v_cndmask_b32_e32 v50, v6, v7, vcc
	v_lshl_add_u64 v[10:11], v[50:51], 1, s[8:9]
	v_add_u32_e32 v6, s30, v50
	v_mov_b32_e32 v7, v51
	v_add_u32_e32 v50, s31, v50
	v_lshl_add_u64 v[12:13], v[6:7], 1, s[8:9]
	v_lshl_add_u64 v[14:15], v[50:51], 1, s[8:9]
	global_load_ushort v8, v[10:11], off
	global_load_ushort v7, v[12:13], off
	;; [unrolled: 1-line block ×3, first 2 shown]
	s_cbranch_execnz .LBB68_12
	s_branch .LBB68_29
.LBB68_28:                              ;   in Loop: Header=BB68_14 Depth=1
                                        ; implicit-def: $vgpr6
                                        ; implicit-def: $vgpr7
                                        ; implicit-def: $vgpr8
.LBB68_29:                              ;   in Loop: Header=BB68_14 Depth=1
	v_mov_b32_e32 v49, v51
	s_waitcnt vmcnt(2)
	v_mov_b32_e32 v8, 0
	s_waitcnt vmcnt(1)
	;; [unrolled: 2-line block ×3, first 2 shown]
	v_mov_b32_e32 v6, 0
	s_branch .LBB68_12
.LBB68_30:
	s_endpgm
	.section	.rodata,"a",@progbits
	.p2align	6, 0x0
	.amdhsa_kernel _Z16wvSplitK_hf_sml_I6__halfLi32ELi1ELi16ELi8ELi4ELi3EEviiiiiiPKT_S3_S3_PS1_ii
		.amdhsa_group_segment_fixed_size 65536
		.amdhsa_private_segment_fixed_size 0
		.amdhsa_kernarg_size 64
		.amdhsa_user_sgpr_count 2
		.amdhsa_user_sgpr_dispatch_ptr 0
		.amdhsa_user_sgpr_queue_ptr 0
		.amdhsa_user_sgpr_kernarg_segment_ptr 1
		.amdhsa_user_sgpr_dispatch_id 0
		.amdhsa_user_sgpr_kernarg_preload_length 0
		.amdhsa_user_sgpr_kernarg_preload_offset 0
		.amdhsa_user_sgpr_private_segment_size 0
		.amdhsa_uses_dynamic_stack 0
		.amdhsa_enable_private_segment 0
		.amdhsa_system_sgpr_workgroup_id_x 1
		.amdhsa_system_sgpr_workgroup_id_y 0
		.amdhsa_system_sgpr_workgroup_id_z 0
		.amdhsa_system_sgpr_workgroup_info 0
		.amdhsa_system_vgpr_workitem_id 1
		.amdhsa_next_free_vgpr 80
		.amdhsa_next_free_sgpr 35
		.amdhsa_accum_offset 80
		.amdhsa_reserve_vcc 1
		.amdhsa_float_round_mode_32 0
		.amdhsa_float_round_mode_16_64 0
		.amdhsa_float_denorm_mode_32 3
		.amdhsa_float_denorm_mode_16_64 3
		.amdhsa_dx10_clamp 1
		.amdhsa_ieee_mode 1
		.amdhsa_fp16_overflow 0
		.amdhsa_tg_split 0
		.amdhsa_exception_fp_ieee_invalid_op 0
		.amdhsa_exception_fp_denorm_src 0
		.amdhsa_exception_fp_ieee_div_zero 0
		.amdhsa_exception_fp_ieee_overflow 0
		.amdhsa_exception_fp_ieee_underflow 0
		.amdhsa_exception_fp_ieee_inexact 0
		.amdhsa_exception_int_div_zero 0
	.end_amdhsa_kernel
	.section	.text._Z16wvSplitK_hf_sml_I6__halfLi32ELi1ELi16ELi8ELi4ELi3EEviiiiiiPKT_S3_S3_PS1_ii,"axG",@progbits,_Z16wvSplitK_hf_sml_I6__halfLi32ELi1ELi16ELi8ELi4ELi3EEviiiiiiPKT_S3_S3_PS1_ii,comdat
.Lfunc_end68:
	.size	_Z16wvSplitK_hf_sml_I6__halfLi32ELi1ELi16ELi8ELi4ELi3EEviiiiiiPKT_S3_S3_PS1_ii, .Lfunc_end68-_Z16wvSplitK_hf_sml_I6__halfLi32ELi1ELi16ELi8ELi4ELi3EEviiiiiiPKT_S3_S3_PS1_ii
                                        ; -- End function
	.section	.AMDGPU.csdata,"",@progbits
; Kernel info:
; codeLenInByte = 2796
; NumSgprs: 41
; NumVgprs: 80
; NumAgprs: 0
; TotalNumVgprs: 80
; ScratchSize: 0
; MemoryBound: 0
; FloatMode: 240
; IeeeMode: 1
; LDSByteSize: 65536 bytes/workgroup (compile time only)
; SGPRBlocks: 5
; VGPRBlocks: 9
; NumSGPRsForWavesPerEU: 41
; NumVGPRsForWavesPerEU: 80
; AccumOffset: 80
; Occupancy: 2
; WaveLimiterHint : 0
; COMPUTE_PGM_RSRC2:SCRATCH_EN: 0
; COMPUTE_PGM_RSRC2:USER_SGPR: 2
; COMPUTE_PGM_RSRC2:TRAP_HANDLER: 0
; COMPUTE_PGM_RSRC2:TGID_X_EN: 1
; COMPUTE_PGM_RSRC2:TGID_Y_EN: 0
; COMPUTE_PGM_RSRC2:TGID_Z_EN: 0
; COMPUTE_PGM_RSRC2:TIDIG_COMP_CNT: 1
; COMPUTE_PGM_RSRC3_GFX90A:ACCUM_OFFSET: 19
; COMPUTE_PGM_RSRC3_GFX90A:TG_SPLIT: 0
	.section	.text._Z12wvSplitK_hf_I6__halfLi32ELi1ELi16ELi8ELi4ELi3EEviiiiiiPKT_S3_S3_PS1_ii,"axG",@progbits,_Z12wvSplitK_hf_I6__halfLi32ELi1ELi16ELi8ELi4ELi3EEviiiiiiPKT_S3_S3_PS1_ii,comdat
	.protected	_Z12wvSplitK_hf_I6__halfLi32ELi1ELi16ELi8ELi4ELi3EEviiiiiiPKT_S3_S3_PS1_ii ; -- Begin function _Z12wvSplitK_hf_I6__halfLi32ELi1ELi16ELi8ELi4ELi3EEviiiiiiPKT_S3_S3_PS1_ii
	.globl	_Z12wvSplitK_hf_I6__halfLi32ELi1ELi16ELi8ELi4ELi3EEviiiiiiPKT_S3_S3_PS1_ii
	.p2align	8
	.type	_Z12wvSplitK_hf_I6__halfLi32ELi1ELi16ELi8ELi4ELi3EEviiiiiiPKT_S3_S3_PS1_ii,@function
_Z12wvSplitK_hf_I6__halfLi32ELi1ELi16ELi8ELi4ELi3EEviiiiiiPKT_S3_S3_PS1_ii: ; @_Z12wvSplitK_hf_I6__halfLi32ELi1ELi16ELi8ELi4ELi3EEviiiiiiPKT_S3_S3_PS1_ii
; %bb.0:
	s_load_dwordx2 s[4:5], s[0:1], 0x38
	s_load_dwordx2 s[16:17], s[0:1], 0x20
	s_load_dwordx4 s[8:11], s[0:1], 0x0
	s_load_dwordx2 s[18:19], s[0:1], 0x10
	v_bfe_u32 v5, v0, 10, 10
	s_waitcnt lgkmcnt(0)
	s_mul_i32 s2, s2, s4
	v_add_u32_e32 v64, s2, v5
	v_add_u32_e32 v1, 1, v64
	v_cmp_gt_u32_e32 vcc, s11, v64
	v_cmp_le_u32_e64 s[2:3], s11, v1
	s_and_b64 s[6:7], vcc, s[2:3]
	v_mov_b32_e32 v80, 1
	s_and_saveexec_b64 s[2:3], s[6:7]
; %bb.1:
	v_subrev_u32_e32 v1, s11, v64
	v_cmp_eq_u32_e32 vcc, -1, v1
	s_add_i32 s6, s11, -1
	v_mov_b32_e32 v64, s6
	v_cndmask_b32_e64 v80, 0, 1, vcc
; %bb.2:
	s_or_b64 exec, exec, s[2:3]
	v_and_b32_e32 v4, 0x3ff, v0
	v_lshlrev_b32_e32 v81, 3, v4
	s_mul_i32 s2, s10, 3
	v_lshl_add_u32 v6, v5, 8, v81
	s_min_u32 s6, s2, 0x8000
	v_cmp_gt_u32_e32 vcc, s6, v6
	s_and_saveexec_b64 s[2:3], vcc
	s_cbranch_execz .LBB69_11
; %bb.3:
	v_lshlrev_b32_e32 v0, 1, v6
	global_load_dwordx4 v[8:11], v0, s[16:17]
	v_add_u32_e32 v1, 0x1000, v6
	v_cmp_gt_u32_e32 vcc, s6, v1
	s_waitcnt vmcnt(0)
	ds_write_b128 v0, v[8:11]
	s_and_saveexec_b64 s[12:13], vcc
	s_xor_b64 s[12:13], exec, s[12:13]
	s_cbranch_execz .LBB69_11
; %bb.4:
	v_mov_b32_e32 v1, 0
	v_lshl_add_u64 v[2:3], s[16:17], 0, v[0:1]
	v_add_co_u32_e32 v8, vcc, 0x2000, v2
	v_add_u32_e32 v1, 0x2000, v6
	s_nop 0
	v_addc_co_u32_e32 v9, vcc, 0, v3, vcc
	global_load_dwordx4 v[8:11], v[8:9], off
	v_cmp_gt_u32_e32 vcc, s6, v1
	s_waitcnt vmcnt(0)
	ds_write_b128 v0, v[8:11] offset:8192
	s_and_saveexec_b64 s[12:13], vcc
	s_xor_b64 s[12:13], exec, s[12:13]
	s_cbranch_execz .LBB69_11
; %bb.5:
	v_add_co_u32_e32 v8, vcc, 0x4000, v2
	v_add_u32_e32 v1, 0x3000, v6
	s_nop 0
	v_addc_co_u32_e32 v9, vcc, 0, v3, vcc
	global_load_dwordx4 v[8:11], v[8:9], off
	v_cmp_gt_u32_e32 vcc, s6, v1
	s_waitcnt vmcnt(0)
	ds_write_b128 v0, v[8:11] offset:16384
	s_and_saveexec_b64 s[12:13], vcc
	s_xor_b64 s[12:13], exec, s[12:13]
	s_cbranch_execz .LBB69_11
; %bb.6:
	;; [unrolled: 12-line block ×6, first 2 shown]
	v_add_co_u32_e32 v2, vcc, 0xe000, v2
	s_nop 1
	v_addc_co_u32_e32 v3, vcc, 0, v3, vcc
	global_load_dwordx4 v[6:9], v[2:3], off
	s_waitcnt vmcnt(0)
	ds_write_b128 v0, v[6:9] offset:57344
.LBB69_11:
	s_or_b64 exec, exec, s[2:3]
	v_cmp_gt_u32_e32 vcc, s4, v5
	v_cmp_gt_u32_e64 s[2:3], s11, v64
	s_and_b64 s[2:3], vcc, s[2:3]
	s_waitcnt lgkmcnt(0)
	s_barrier
	s_and_saveexec_b64 s[6:7], s[2:3]
	s_cbranch_execz .LBB69_78
; %bb.12:
	s_load_dwordx4 s[12:15], s[0:1], 0x28
	s_load_dwordx2 s[20:21], s[0:1], 0x18
	s_cmp_lg_u32 s8, 0
	s_cselect_b64 s[2:3], -1, 0
	s_add_i32 s33, s8, -8
	s_add_i32 s36, s11, -1
	s_waitcnt lgkmcnt(0)
	s_cmp_lg_u64 s[12:13], 0
	s_cselect_b64 s[24:25], -1, 0
	s_mul_i32 s37, s5, s4
	s_abs_i32 s4, s19
	v_cvt_f32_u32_e32 v0, s18
	v_cvt_f32_u32_e32 v1, s4
	s_sub_i32 s5, 0, s18
	s_sub_i32 s38, s37, s11
	v_rcp_iflag_f32_e32 v0, v0
	v_rcp_iflag_f32_e32 v1, v1
	s_add_i32 s38, s38, 2
	s_lshl_b32 s19, s10, 1
	v_mul_f32_e32 v0, 0x4f7ffffe, v0
	v_mul_f32_e32 v1, 0x4f7ffffe, v1
	v_cvt_u32_f32_e32 v0, v0
	v_cvt_u32_f32_e32 v1, v1
	v_cmp_eq_u32_e64 s[0:1], 31, v4
	s_mov_b64 s[22:23], 0
	v_mul_lo_u32 v2, s5, v0
	s_sub_i32 s5, 0, s4
	v_readfirstlane_b32 s6, v1
	s_mul_i32 s5, s5, s6
	s_mul_hi_u32 s5, s6, s5
	s_add_i32 s6, s6, s5
	s_sub_i32 s5, 1, s4
	s_cmp_lt_u32 s4, 2
	s_cselect_b32 s5, s5, 1
	s_sub_i32 s7, s5, s4
	s_cmp_ge_u32 s5, s4
	s_cselect_b32 s39, s7, s5
	s_lshr_b32 s5, s6, 31
	s_mul_i32 s5, s5, s4
	s_sub_i32 s5, 2, s5
	s_sub_i32 s6, s5, s4
	s_cmp_ge_u32 s5, s4
	s_cselect_b32 s5, s6, s5
	s_sub_i32 s6, s5, s4
	v_mul_hi_u32 v2, v0, v2
	s_cmp_ge_u32 s5, s4
	v_add_u32_e32 v82, v0, v2
	s_cselect_b32 s40, s6, s5
	v_cndmask_b32_e64 v0, 0, 1, s[2:3]
	v_mov_b32_e32 v67, 0
	s_mul_i32 s39, s39, s18
	s_mul_i32 s40, s40, s18
	v_lshlrev_b32_e32 v83, 4, v4
	s_lshl_b32 s41, s10, 2
	v_add_u32_e32 v84, s19, v81
	v_add_u32_e32 v85, s10, v81
	v_cmp_ne_u32_e64 s[2:3], 1, v0
	s_movk_i32 s10, 0x7fff
	s_mov_b32 s26, 0
	s_branch .LBB69_14
.LBB69_13:                              ;   in Loop: Header=BB69_14 Depth=1
	s_or_b64 exec, exec, s[4:5]
	v_add_u32_e32 v0, s37, v64
	v_add_u32_e32 v1, 1, v0
	v_cmp_le_u32_e32 vcc, s11, v0
	v_cmp_gt_u32_e64 s[4:5], s11, v1
	v_add_u32_e32 v1, s38, v64
	v_cmp_eq_u32_e64 s[6:7], 1, v1
	v_mov_b32_e32 v1, s36
	s_or_b64 vcc, vcc, s[4:5]
	v_cndmask_b32_e32 v64, v1, v0, vcc
	v_cmp_le_u32_e64 s[4:5], s11, v64
	s_or_b64 vcc, vcc, s[6:7]
	s_or_b64 s[22:23], s[4:5], s[22:23]
	v_cndmask_b32_e32 v80, 0, v80, vcc
	s_andn2_b64 exec, exec, s[22:23]
	s_cbranch_execz .LBB69_78
.LBB69_14:                              ; =>This Loop Header: Depth=1
                                        ;     Child Loop BB69_21 Depth 2
	s_and_b64 vcc, exec, s[2:3]
	v_mov_b32_e32 v87, v67
	v_mov_b32_e32 v86, v67
	;; [unrolled: 1-line block ×3, first 2 shown]
	s_cbranch_vccnz .LBB69_73
; %bb.15:                               ;   in Loop: Header=BB69_14 Depth=1
	v_min_u32_e32 v0, s36, v64
	v_mul_lo_u32 v66, v0, s9
	v_lshl_add_u64 v[68:69], v[66:67], 1, s[20:21]
	v_mov_b32_e32 v65, 0
	v_mov_b32_e32 v88, v83
	;; [unrolled: 1-line block ×4, first 2 shown]
	s_mov_b32 s42, s26
	s_branch .LBB69_21
.LBB69_16:                              ;   in Loop: Header=BB69_21 Depth=2
	s_or_b64 exec, exec, s[34:35]
.LBB69_17:                              ;   in Loop: Header=BB69_21 Depth=2
	s_or_b64 exec, exec, s[30:31]
.LBB69_18:                              ;   in Loop: Header=BB69_21 Depth=2
	s_or_b64 exec, exec, s[28:29]
.LBB69_19:                              ;   in Loop: Header=BB69_21 Depth=2
	s_or_b64 exec, exec, s[6:7]
.LBB69_20:                              ;   in Loop: Header=BB69_21 Depth=2
	s_or_b64 exec, exec, s[4:5]
	s_waitcnt vmcnt(3)
	;;#ASMSTART
	v_dot2c_f32_f16 v87, v24, v12
	;;#ASMEND
	s_waitcnt vmcnt(0) lgkmcnt(0)
	;;#ASMSTART
	v_dot2c_f32_f16 v86, v20, v12
	;;#ASMEND
	;;#ASMSTART
	v_dot2c_f32_f16 v65, v16, v12
	;;#ASMEND
	s_addk_i32 s42, 0x400
	;;#ASMSTART
	v_dot2c_f32_f16 v87, v70, v13
	;;#ASMEND
	;;#ASMSTART
	v_dot2c_f32_f16 v86, v21, v13
	;;#ASMEND
	;; [unrolled: 3-line block ×3, first 2 shown]
	s_cmp_ge_u32 s42, s8
	;;#ASMSTART
	v_dot2c_f32_f16 v87, v71, v14
	;;#ASMEND
	;;#ASMSTART
	v_dot2c_f32_f16 v86, v22, v14
	;;#ASMEND
	;; [unrolled: 3-line block ×3, first 2 shown]
	v_add_u32_e32 v88, 0x800, v88
	;;#ASMSTART
	v_dot2c_f32_f16 v87, v27, v15
	;;#ASMEND
	;;#ASMSTART
	v_dot2c_f32_f16 v86, v23, v15
	;;#ASMEND
	;;#ASMSTART
	v_dot2c_f32_f16 v65, v19, v15
	;;#ASMEND
	s_nop 0
	;;#ASMSTART
	v_dot2c_f32_f16 v87, v36, v4
	;;#ASMEND
	;;#ASMSTART
	v_dot2c_f32_f16 v86, v32, v4
	;;#ASMEND
	;;#ASMSTART
	v_dot2c_f32_f16 v65, v28, v4
	;;#ASMEND
	s_nop 0
	;; [unrolled: 10-line block ×12, first 2 shown]
	;;#ASMSTART
	v_dot2c_f32_f16 v87, v63, v3
	;;#ASMEND
	;;#ASMSTART
	v_dot2c_f32_f16 v86, v55, v3
	;;#ASMEND
	;; [unrolled: 3-line block ×3, first 2 shown]
	s_cbranch_scc1 .LBB69_73
.LBB69_21:                              ;   Parent Loop BB69_14 Depth=1
                                        ; =>  This Inner Loop Header: Depth=2
	v_add_u32_e32 v26, s42, v81
	v_min_u32_e32 v66, s33, v26
	v_add_u32_e32 v78, 0x100, v26
	v_lshl_add_u64 v[0:1], v[66:67], 1, v[68:69]
	v_min_u32_e32 v66, s33, v78
	v_add_u32_e32 v76, 0x200, v26
	v_lshl_add_u64 v[2:3], v[66:67], 1, v[68:69]
	;; [unrolled: 3-line block ×3, first 2 shown]
	v_min_u32_e32 v66, s33, v72
	global_load_dwordx4 v[12:15], v[0:1], off nt
	global_load_dwordx4 v[4:7], v[2:3], off nt
	v_lshl_add_u64 v[18:19], v[66:67], 1, v[68:69]
	global_load_dwordx4 v[8:11], v[16:17], off nt
	global_load_dwordx4 v[0:3], v[18:19], off nt
	s_mov_b32 s27, s26
	v_cmp_gt_u32_e32 vcc, s8, v26
	v_mov_b64_e32 v[54:55], s[26:27]
	v_mov_b32_e32 v59, 0
	v_mov_b32_e32 v58, 0
	;; [unrolled: 1-line block ×4, first 2 shown]
	v_mov_b64_e32 v[52:53], s[26:27]
	v_mov_b64_e32 v[62:63], s[26:27]
	;; [unrolled: 1-line block ×20, first 2 shown]
	v_mov_b32_e32 v24, 0
	v_mov_b32_e32 v27, 0
	s_and_saveexec_b64 s[4:5], vcc
	s_cbranch_execz .LBB69_20
; %bb.22:                               ;   in Loop: Header=BB69_21 Depth=2
	v_cmp_lt_u32_e32 vcc, s10, v26
                                        ; implicit-def: $vgpr70_vgpr71
                                        ; implicit-def: $vgpr24
	s_and_saveexec_b64 s[6:7], vcc
	s_xor_b64 s[6:7], exec, s[6:7]
	s_cbranch_execz .LBB69_24
; %bb.23:                               ;   in Loop: Header=BB69_21 Depth=2
	v_mov_b32_e32 v27, v67
	v_lshl_add_u64 v[16:17], v[26:27], 1, s[16:17]
	global_load_dwordx4 v[24:27], v[16:17], off
	s_waitcnt vmcnt(0)
	v_mov_b32_e32 v70, v25
	v_mov_b32_e32 v71, v26
.LBB69_24:                              ;   in Loop: Header=BB69_21 Depth=2
	s_andn2_saveexec_b64 s[6:7], s[6:7]
	s_cbranch_execz .LBB69_26
; %bb.25:                               ;   in Loop: Header=BB69_21 Depth=2
	ds_read_b128 v[24:27], v88
	s_waitcnt lgkmcnt(0)
	v_mov_b32_e32 v70, v25
	v_mov_b32_e32 v71, v26
.LBB69_26:                              ;   in Loop: Header=BB69_21 Depth=2
	s_or_b64 exec, exec, s[6:7]
	v_add_u32_e32 v66, s42, v85
	v_cmp_lt_u32_e32 vcc, s10, v66
                                        ; implicit-def: $vgpr22_vgpr23
	s_and_saveexec_b64 s[6:7], vcc
	s_xor_b64 s[6:7], exec, s[6:7]
	s_cbranch_execz .LBB69_28
; %bb.27:                               ;   in Loop: Header=BB69_21 Depth=2
	v_lshl_add_u64 v[16:17], v[66:67], 1, s[16:17]
	global_load_dwordx4 v[20:23], v[16:17], off
.LBB69_28:                              ;   in Loop: Header=BB69_21 Depth=2
	s_andn2_saveexec_b64 s[6:7], s[6:7]
	s_cbranch_execz .LBB69_30
; %bb.29:                               ;   in Loop: Header=BB69_21 Depth=2
	v_add_u32_e32 v16, s19, v88
	s_waitcnt vmcnt(0)
	ds_read_b128 v[20:23], v16
.LBB69_30:                              ;   in Loop: Header=BB69_21 Depth=2
	s_or_b64 exec, exec, s[6:7]
	v_add_u32_e32 v74, s42, v84
	v_cmp_lt_u32_e32 vcc, s10, v74
                                        ; implicit-def: $vgpr18_vgpr19
	s_and_saveexec_b64 s[6:7], vcc
	s_xor_b64 s[6:7], exec, s[6:7]
	s_cbranch_execz .LBB69_32
; %bb.31:                               ;   in Loop: Header=BB69_21 Depth=2
	v_mov_b32_e32 v75, v67
	v_lshl_add_u64 v[16:17], v[74:75], 1, s[16:17]
	global_load_dwordx4 v[16:19], v[16:17], off
.LBB69_32:                              ;   in Loop: Header=BB69_21 Depth=2
	s_andn2_saveexec_b64 s[6:7], s[6:7]
	s_cbranch_execz .LBB69_34
; %bb.33:                               ;   in Loop: Header=BB69_21 Depth=2
	s_waitcnt vmcnt(0)
	v_add_u32_e32 v18, s41, v88
	ds_read2_b32 v[16:17], v18 offset1:1
	ds_read2_b32 v[18:19], v18 offset0:2 offset1:3
.LBB69_34:                              ;   in Loop: Header=BB69_21 Depth=2
	s_or_b64 exec, exec, s[6:7]
	s_mov_b32 s27, s26
	v_cmp_gt_u32_e32 vcc, s8, v78
	v_mov_b32_e32 v59, 0
	v_mov_b64_e32 v[54:55], s[26:27]
	v_mov_b32_e32 v58, 0
	v_mov_b32_e32 v57, 0
	;; [unrolled: 1-line block ×3, first 2 shown]
	v_mov_b64_e32 v[52:53], s[26:27]
	v_mov_b64_e32 v[62:63], s[26:27]
	;; [unrolled: 1-line block ×15, first 2 shown]
	s_and_saveexec_b64 s[6:7], vcc
	s_cbranch_execz .LBB69_19
; %bb.35:                               ;   in Loop: Header=BB69_21 Depth=2
	v_cmp_lt_u32_e32 vcc, s10, v78
                                        ; implicit-def: $vgpr38_vgpr39
	s_and_saveexec_b64 s[28:29], vcc
	s_xor_b64 s[28:29], exec, s[28:29]
	s_cbranch_execz .LBB69_37
; %bb.36:                               ;   in Loop: Header=BB69_21 Depth=2
	v_mov_b32_e32 v79, v67
	v_lshl_add_u64 v[28:29], v[78:79], 1, s[16:17]
	global_load_dwordx4 v[36:39], v[28:29], off
.LBB69_37:                              ;   in Loop: Header=BB69_21 Depth=2
	s_andn2_saveexec_b64 s[28:29], s[28:29]
	s_cbranch_execz .LBB69_39
; %bb.38:                               ;   in Loop: Header=BB69_21 Depth=2
	s_waitcnt vmcnt(0)
	ds_read_b128 v[36:39], v88 offset:512
.LBB69_39:                              ;   in Loop: Header=BB69_21 Depth=2
	s_or_b64 exec, exec, s[28:29]
	v_add_u32_e32 v28, 0x100, v66
	v_cmp_lt_u32_e32 vcc, s10, v28
                                        ; implicit-def: $vgpr34_vgpr35
	s_and_saveexec_b64 s[28:29], vcc
	s_xor_b64 s[28:29], exec, s[28:29]
	s_cbranch_execz .LBB69_41
; %bb.40:                               ;   in Loop: Header=BB69_21 Depth=2
	v_mov_b32_e32 v29, v67
	v_lshl_add_u64 v[28:29], v[28:29], 1, s[16:17]
	global_load_dwordx4 v[32:35], v[28:29], off
.LBB69_41:                              ;   in Loop: Header=BB69_21 Depth=2
	s_andn2_saveexec_b64 s[28:29], s[28:29]
	s_cbranch_execz .LBB69_43
; %bb.42:                               ;   in Loop: Header=BB69_21 Depth=2
	v_add_u32_e32 v25, s19, v88
	s_waitcnt vmcnt(0)
	ds_read_b128 v[32:35], v25 offset:512
.LBB69_43:                              ;   in Loop: Header=BB69_21 Depth=2
	s_or_b64 exec, exec, s[28:29]
	v_add_u32_e32 v28, 0x100, v74
	v_cmp_lt_u32_e32 vcc, s10, v28
                                        ; implicit-def: $vgpr30_vgpr31
	s_and_saveexec_b64 s[28:29], vcc
	s_xor_b64 s[28:29], exec, s[28:29]
	s_cbranch_execz .LBB69_45
; %bb.44:                               ;   in Loop: Header=BB69_21 Depth=2
	v_mov_b32_e32 v29, v67
	v_lshl_add_u64 v[28:29], v[28:29], 1, s[16:17]
	global_load_dwordx4 v[28:31], v[28:29], off
.LBB69_45:                              ;   in Loop: Header=BB69_21 Depth=2
	s_andn2_saveexec_b64 s[28:29], s[28:29]
	s_cbranch_execz .LBB69_47
; %bb.46:                               ;   in Loop: Header=BB69_21 Depth=2
	v_add_u32_e32 v25, s41, v88
	s_waitcnt vmcnt(0)
	ds_read2_b32 v[28:29], v25 offset0:128 offset1:129
	ds_read2_b32 v[30:31], v25 offset0:130 offset1:131
.LBB69_47:                              ;   in Loop: Header=BB69_21 Depth=2
	s_or_b64 exec, exec, s[28:29]
	s_mov_b32 s27, s26
	v_cmp_gt_u32_e32 vcc, s8, v76
	v_mov_b32_e32 v59, 0
	v_mov_b64_e32 v[54:55], s[26:27]
	v_mov_b32_e32 v58, 0
	v_mov_b32_e32 v57, 0
	v_mov_b32_e32 v56, 0
	v_mov_b64_e32 v[52:53], s[26:27]
	v_mov_b64_e32 v[62:63], s[26:27]
	;; [unrolled: 1-line block ×9, first 2 shown]
	s_and_saveexec_b64 s[28:29], vcc
	s_cbranch_execz .LBB69_18
; %bb.48:                               ;   in Loop: Header=BB69_21 Depth=2
	v_cmp_lt_u32_e32 vcc, s10, v76
                                        ; implicit-def: $vgpr50_vgpr51
	s_and_saveexec_b64 s[30:31], vcc
	s_xor_b64 s[30:31], exec, s[30:31]
	s_cbranch_execz .LBB69_50
; %bb.49:                               ;   in Loop: Header=BB69_21 Depth=2
	v_mov_b32_e32 v77, v67
	v_lshl_add_u64 v[40:41], v[76:77], 1, s[16:17]
	global_load_dwordx4 v[48:51], v[40:41], off
.LBB69_50:                              ;   in Loop: Header=BB69_21 Depth=2
	s_andn2_saveexec_b64 s[30:31], s[30:31]
	s_cbranch_execz .LBB69_52
; %bb.51:                               ;   in Loop: Header=BB69_21 Depth=2
	s_waitcnt vmcnt(0)
	ds_read_b128 v[48:51], v88 offset:1024
.LBB69_52:                              ;   in Loop: Header=BB69_21 Depth=2
	s_or_b64 exec, exec, s[30:31]
	v_add_u32_e32 v40, 0x200, v66
	v_cmp_lt_u32_e32 vcc, s10, v40
                                        ; implicit-def: $vgpr42_vgpr43
	s_and_saveexec_b64 s[30:31], vcc
	s_xor_b64 s[30:31], exec, s[30:31]
	s_cbranch_execz .LBB69_54
; %bb.53:                               ;   in Loop: Header=BB69_21 Depth=2
	v_mov_b32_e32 v41, v67
	v_lshl_add_u64 v[40:41], v[40:41], 1, s[16:17]
	global_load_dwordx4 v[40:43], v[40:41], off
.LBB69_54:                              ;   in Loop: Header=BB69_21 Depth=2
	s_andn2_saveexec_b64 s[30:31], s[30:31]
	s_cbranch_execz .LBB69_56
; %bb.55:                               ;   in Loop: Header=BB69_21 Depth=2
	v_add_u32_e32 v25, s19, v88
	s_waitcnt vmcnt(0)
	ds_read_b128 v[40:43], v25 offset:1024
.LBB69_56:                              ;   in Loop: Header=BB69_21 Depth=2
	s_or_b64 exec, exec, s[30:31]
	v_add_u32_e32 v44, 0x200, v74
	v_cmp_lt_u32_e32 vcc, s10, v44
                                        ; implicit-def: $vgpr46_vgpr47
	s_and_saveexec_b64 s[30:31], vcc
	s_xor_b64 s[30:31], exec, s[30:31]
	s_cbranch_execz .LBB69_58
; %bb.57:                               ;   in Loop: Header=BB69_21 Depth=2
	v_mov_b32_e32 v45, v67
	v_lshl_add_u64 v[44:45], v[44:45], 1, s[16:17]
	global_load_dwordx4 v[44:47], v[44:45], off
.LBB69_58:                              ;   in Loop: Header=BB69_21 Depth=2
	s_andn2_saveexec_b64 s[30:31], s[30:31]
	s_cbranch_execz .LBB69_60
; %bb.59:                               ;   in Loop: Header=BB69_21 Depth=2
	v_add_u32_e32 v25, s41, v88
	v_add_u32_e32 v26, 0x400, v25
	;; [unrolled: 1-line block ×3, first 2 shown]
	s_waitcnt vmcnt(0)
	ds_read2_b32 v[44:45], v26 offset1:1
	ds_read2_b32 v[46:47], v25 offset1:1
.LBB69_60:                              ;   in Loop: Header=BB69_21 Depth=2
	s_or_b64 exec, exec, s[30:31]
	s_mov_b32 s27, s26
	v_cmp_gt_u32_e32 vcc, s8, v72
	v_mov_b32_e32 v59, 0
	v_mov_b64_e32 v[54:55], s[26:27]
	v_mov_b32_e32 v58, 0
	v_mov_b32_e32 v57, 0
	;; [unrolled: 1-line block ×3, first 2 shown]
	v_mov_b64_e32 v[52:53], s[26:27]
	v_mov_b64_e32 v[62:63], s[26:27]
	;; [unrolled: 1-line block ×3, first 2 shown]
	s_and_saveexec_b64 s[30:31], vcc
	s_cbranch_execz .LBB69_17
; %bb.61:                               ;   in Loop: Header=BB69_21 Depth=2
	v_cmp_lt_u32_e32 vcc, s10, v72
                                        ; implicit-def: $vgpr62_vgpr63
	s_and_saveexec_b64 s[34:35], vcc
	s_xor_b64 s[34:35], exec, s[34:35]
	s_cbranch_execz .LBB69_63
; %bb.62:                               ;   in Loop: Header=BB69_21 Depth=2
	v_mov_b32_e32 v73, v67
	v_lshl_add_u64 v[52:53], v[72:73], 1, s[16:17]
	global_load_dwordx4 v[60:63], v[52:53], off
.LBB69_63:                              ;   in Loop: Header=BB69_21 Depth=2
	s_andn2_saveexec_b64 s[34:35], s[34:35]
	s_cbranch_execz .LBB69_65
; %bb.64:                               ;   in Loop: Header=BB69_21 Depth=2
	s_waitcnt vmcnt(0)
	ds_read_b128 v[60:63], v88 offset:1536
.LBB69_65:                              ;   in Loop: Header=BB69_21 Depth=2
	s_or_b64 exec, exec, s[34:35]
	v_add_u32_e32 v66, 0x300, v66
	v_cmp_lt_u32_e32 vcc, s10, v66
                                        ; implicit-def: $vgpr54_vgpr55
	s_and_saveexec_b64 s[34:35], vcc
	s_xor_b64 s[34:35], exec, s[34:35]
	s_cbranch_execz .LBB69_67
; %bb.66:                               ;   in Loop: Header=BB69_21 Depth=2
	v_lshl_add_u64 v[52:53], v[66:67], 1, s[16:17]
	global_load_dwordx4 v[52:55], v[52:53], off
.LBB69_67:                              ;   in Loop: Header=BB69_21 Depth=2
	s_andn2_saveexec_b64 s[34:35], s[34:35]
	s_cbranch_execz .LBB69_69
; %bb.68:                               ;   in Loop: Header=BB69_21 Depth=2
	v_add_u32_e32 v25, s19, v88
	s_waitcnt vmcnt(0)
	ds_read_b128 v[52:55], v25 offset:1536
.LBB69_69:                              ;   in Loop: Header=BB69_21 Depth=2
	s_or_b64 exec, exec, s[34:35]
	v_add_u32_e32 v66, 0x300, v74
	v_cmp_lt_u32_e32 vcc, s10, v66
                                        ; implicit-def: $vgpr59
	s_and_saveexec_b64 s[34:35], vcc
	s_xor_b64 s[34:35], exec, s[34:35]
	s_cbranch_execz .LBB69_71
; %bb.70:                               ;   in Loop: Header=BB69_21 Depth=2
	v_lshl_add_u64 v[56:57], v[66:67], 1, s[16:17]
	global_load_dwordx4 v[56:59], v[56:57], off
.LBB69_71:                              ;   in Loop: Header=BB69_21 Depth=2
	s_andn2_saveexec_b64 s[34:35], s[34:35]
	s_cbranch_execz .LBB69_16
; %bb.72:                               ;   in Loop: Header=BB69_21 Depth=2
	v_add_u32_e32 v25, s41, v88
	v_add_u32_e32 v26, 0x600, v25
	;; [unrolled: 1-line block ×3, first 2 shown]
	s_waitcnt vmcnt(0)
	ds_read2_b32 v[56:57], v26 offset1:1
	ds_read2_b32 v[58:59], v25 offset1:1
	s_branch .LBB69_16
.LBB69_73:                              ;   in Loop: Header=BB69_14 Depth=1
	v_cvt_i32_f32_e32 v0, v87
	v_cvt_i32_f32_e32 v1, v86
	v_cvt_i32_f32_e32 v2, v65
	v_cvt_f32_i32_dpp v0, v0 row_shr:8 row_mask:0xf bank_mask:0xf bound_ctrl:1
	v_cvt_f32_i32_dpp v1, v1 row_shr:8 row_mask:0xf bank_mask:0xf bound_ctrl:1
	v_cvt_f32_i32_dpp v2, v2 row_shr:8 row_mask:0xf bank_mask:0xf bound_ctrl:1
	v_add_f32_e32 v0, v87, v0
	v_add_f32_e32 v1, v86, v1
	v_add_f32_e32 v2, v65, v2
	v_cvt_i32_f32_e32 v3, v0
	v_cvt_i32_f32_e32 v4, v1
	v_cvt_i32_f32_e32 v5, v2
	v_cvt_f32_i32_dpp v3, v3 row_shr:4 row_mask:0xf bank_mask:0xf bound_ctrl:1
	v_cvt_f32_i32_dpp v4, v4 row_shr:4 row_mask:0xf bank_mask:0xf bound_ctrl:1
	v_cvt_f32_i32_dpp v5, v5 row_shr:4 row_mask:0xf bank_mask:0xf bound_ctrl:1
	v_add_f32_e32 v0, v0, v3
	v_add_f32_e32 v1, v1, v4
	v_add_f32_e32 v2, v2, v5
	;; [unrolled: 9-line block ×4, first 2 shown]
	v_cvt_i32_f32_e32 v3, v0
	v_cvt_i32_f32_e32 v4, v1
	;; [unrolled: 1-line block ×3, first 2 shown]
	v_cvt_f32_i32_dpp v3, v3 row_bcast:15 row_mask:0xf bank_mask:0xf bound_ctrl:1
	v_cvt_f32_i32_dpp v4, v4 row_bcast:15 row_mask:0xf bank_mask:0xf bound_ctrl:1
	;; [unrolled: 1-line block ×3, first 2 shown]
	v_add_f32_e32 v0, v0, v3
	v_add_f32_e32 v1, v1, v4
	;; [unrolled: 1-line block ×3, first 2 shown]
	v_cvt_i32_f32_e32 v3, v0
	v_cvt_i32_f32_e32 v4, v1
	s_waitcnt vmcnt(0)
	v_cvt_i32_f32_e32 v6, v2
	v_mov_b32_dpp v5, v3 row_bcast:31 row_mask:0xf bank_mask:0xf bound_ctrl:1
	v_mov_b32_dpp v4, v4 row_bcast:31 row_mask:0xf bank_mask:0xf bound_ctrl:1
	;; [unrolled: 1-line block ×3, first 2 shown]
	s_and_saveexec_b64 s[4:5], s[0:1]
	s_cbranch_execz .LBB69_13
; %bb.74:                               ;   in Loop: Header=BB69_14 Depth=1
	s_andn2_b64 vcc, exec, s[24:25]
	v_mov_b32_e32 v8, 0
	v_mov_b32_e32 v7, 0
	;; [unrolled: 1-line block ×3, first 2 shown]
	s_cbranch_vccnz .LBB69_76
; %bb.75:                               ;   in Loop: Header=BB69_14 Depth=1
	v_mul_hi_u32 v6, v64, v82
	v_mul_lo_u32 v6, v6, s18
	v_sub_u32_e32 v6, v64, v6
	v_subrev_u32_e32 v7, s18, v6
	v_cmp_le_u32_e32 vcc, s18, v6
	s_nop 1
	v_cndmask_b32_e32 v6, v6, v7, vcc
	v_subrev_u32_e32 v7, s18, v6
	v_cmp_le_u32_e32 vcc, s18, v6
	s_nop 1
	v_cndmask_b32_e32 v66, v6, v7, vcc
	v_lshl_add_u64 v[10:11], v[66:67], 1, s[12:13]
	v_add_u32_e32 v6, s39, v66
	v_mov_b32_e32 v7, v67
	v_add_u32_e32 v66, s40, v66
	v_lshl_add_u64 v[12:13], v[6:7], 1, s[12:13]
	v_lshl_add_u64 v[14:15], v[66:67], 1, s[12:13]
	global_load_ushort v8, v[10:11], off
	global_load_ushort v7, v[12:13], off
	;; [unrolled: 1-line block ×3, first 2 shown]
.LBB69_76:                              ;   in Loop: Header=BB69_14 Depth=1
	v_cmp_ne_u32_e32 vcc, 0, v80
	s_and_b64 exec, exec, vcc
	s_cbranch_execz .LBB69_13
; %bb.77:                               ;   in Loop: Header=BB69_14 Depth=1
	v_cvt_f32_i32_e32 v5, v5
	s_waitcnt vmcnt(2)
	v_cvt_f32_f16_e32 v8, v8
	v_cvt_f32_i32_e32 v3, v3
	v_cvt_f32_i32_e32 v4, v4
	v_add_f32_e32 v0, v0, v5
	v_add_f32_e32 v0, v0, v8
	;; [unrolled: 1-line block ×3, first 2 shown]
	v_cvt_f16_f32_e32 v3, v0
	v_mov_b32_e32 v65, v67
	v_add_f32_e32 v4, v1, v4
	s_waitcnt vmcnt(1)
	v_cvt_f32_f16_e32 v5, v7
	v_lshl_add_u64 v[0:1], v[64:65], 1, s[14:15]
	global_store_short v[0:1], v3, off
	s_waitcnt vmcnt(1)
	v_cvt_f32_f16_e32 v3, v6
	v_add_f32_e32 v0, v4, v5
	v_cvt_f16_f32_e32 v4, v0
	v_add_u32_e32 v66, s11, v64
	v_add_f32_e32 v2, v2, v3
	v_cvt_f16_f32_e32 v2, v2
	v_lshl_add_u64 v[0:1], v[66:67], 1, s[14:15]
	v_add_u32_e32 v66, s11, v66
	global_store_short v[0:1], v4, off
	v_lshl_add_u64 v[0:1], v[66:67], 1, s[14:15]
	global_store_short v[0:1], v2, off
	s_branch .LBB69_13
.LBB69_78:
	s_endpgm
	.section	.rodata,"a",@progbits
	.p2align	6, 0x0
	.amdhsa_kernel _Z12wvSplitK_hf_I6__halfLi32ELi1ELi16ELi8ELi4ELi3EEviiiiiiPKT_S3_S3_PS1_ii
		.amdhsa_group_segment_fixed_size 65536
		.amdhsa_private_segment_fixed_size 0
		.amdhsa_kernarg_size 64
		.amdhsa_user_sgpr_count 2
		.amdhsa_user_sgpr_dispatch_ptr 0
		.amdhsa_user_sgpr_queue_ptr 0
		.amdhsa_user_sgpr_kernarg_segment_ptr 1
		.amdhsa_user_sgpr_dispatch_id 0
		.amdhsa_user_sgpr_kernarg_preload_length 0
		.amdhsa_user_sgpr_kernarg_preload_offset 0
		.amdhsa_user_sgpr_private_segment_size 0
		.amdhsa_uses_dynamic_stack 0
		.amdhsa_enable_private_segment 0
		.amdhsa_system_sgpr_workgroup_id_x 1
		.amdhsa_system_sgpr_workgroup_id_y 0
		.amdhsa_system_sgpr_workgroup_id_z 0
		.amdhsa_system_sgpr_workgroup_info 0
		.amdhsa_system_vgpr_workitem_id 1
		.amdhsa_next_free_vgpr 89
		.amdhsa_next_free_sgpr 43
		.amdhsa_accum_offset 92
		.amdhsa_reserve_vcc 1
		.amdhsa_float_round_mode_32 0
		.amdhsa_float_round_mode_16_64 0
		.amdhsa_float_denorm_mode_32 3
		.amdhsa_float_denorm_mode_16_64 3
		.amdhsa_dx10_clamp 1
		.amdhsa_ieee_mode 1
		.amdhsa_fp16_overflow 0
		.amdhsa_tg_split 0
		.amdhsa_exception_fp_ieee_invalid_op 0
		.amdhsa_exception_fp_denorm_src 0
		.amdhsa_exception_fp_ieee_div_zero 0
		.amdhsa_exception_fp_ieee_overflow 0
		.amdhsa_exception_fp_ieee_underflow 0
		.amdhsa_exception_fp_ieee_inexact 0
		.amdhsa_exception_int_div_zero 0
	.end_amdhsa_kernel
	.section	.text._Z12wvSplitK_hf_I6__halfLi32ELi1ELi16ELi8ELi4ELi3EEviiiiiiPKT_S3_S3_PS1_ii,"axG",@progbits,_Z12wvSplitK_hf_I6__halfLi32ELi1ELi16ELi8ELi4ELi3EEviiiiiiPKT_S3_S3_PS1_ii,comdat
.Lfunc_end69:
	.size	_Z12wvSplitK_hf_I6__halfLi32ELi1ELi16ELi8ELi4ELi3EEviiiiiiPKT_S3_S3_PS1_ii, .Lfunc_end69-_Z12wvSplitK_hf_I6__halfLi32ELi1ELi16ELi8ELi4ELi3EEviiiiiiPKT_S3_S3_PS1_ii
                                        ; -- End function
	.section	.AMDGPU.csdata,"",@progbits
; Kernel info:
; codeLenInByte = 3440
; NumSgprs: 49
; NumVgprs: 89
; NumAgprs: 0
; TotalNumVgprs: 89
; ScratchSize: 0
; MemoryBound: 1
; FloatMode: 240
; IeeeMode: 1
; LDSByteSize: 65536 bytes/workgroup (compile time only)
; SGPRBlocks: 6
; VGPRBlocks: 11
; NumSGPRsForWavesPerEU: 49
; NumVGPRsForWavesPerEU: 89
; AccumOffset: 92
; Occupancy: 2
; WaveLimiterHint : 0
; COMPUTE_PGM_RSRC2:SCRATCH_EN: 0
; COMPUTE_PGM_RSRC2:USER_SGPR: 2
; COMPUTE_PGM_RSRC2:TRAP_HANDLER: 0
; COMPUTE_PGM_RSRC2:TGID_X_EN: 1
; COMPUTE_PGM_RSRC2:TGID_Y_EN: 0
; COMPUTE_PGM_RSRC2:TGID_Z_EN: 0
; COMPUTE_PGM_RSRC2:TIDIG_COMP_CNT: 1
; COMPUTE_PGM_RSRC3_GFX90A:ACCUM_OFFSET: 22
; COMPUTE_PGM_RSRC3_GFX90A:TG_SPLIT: 0
	.section	.text._Z16wvSplitK_hf_big_I6__halfLi32ELi1ELi16ELi8ELi4ELi3EEviiiiiiPKT_S3_S3_PS1_ii,"axG",@progbits,_Z16wvSplitK_hf_big_I6__halfLi32ELi1ELi16ELi8ELi4ELi3EEviiiiiiPKT_S3_S3_PS1_ii,comdat
	.protected	_Z16wvSplitK_hf_big_I6__halfLi32ELi1ELi16ELi8ELi4ELi3EEviiiiiiPKT_S3_S3_PS1_ii ; -- Begin function _Z16wvSplitK_hf_big_I6__halfLi32ELi1ELi16ELi8ELi4ELi3EEviiiiiiPKT_S3_S3_PS1_ii
	.globl	_Z16wvSplitK_hf_big_I6__halfLi32ELi1ELi16ELi8ELi4ELi3EEviiiiiiPKT_S3_S3_PS1_ii
	.p2align	8
	.type	_Z16wvSplitK_hf_big_I6__halfLi32ELi1ELi16ELi8ELi4ELi3EEviiiiiiPKT_S3_S3_PS1_ii,@function
_Z16wvSplitK_hf_big_I6__halfLi32ELi1ELi16ELi8ELi4ELi3EEviiiiiiPKT_S3_S3_PS1_ii: ; @_Z16wvSplitK_hf_big_I6__halfLi32ELi1ELi16ELi8ELi4ELi3EEviiiiiiPKT_S3_S3_PS1_ii
; %bb.0:
	s_load_dwordx2 s[4:5], s[0:1], 0x38
	v_bfe_u32 v1, v0, 10, 10
	s_waitcnt lgkmcnt(0)
	v_cmp_gt_u32_e32 vcc, s4, v1
	s_and_saveexec_b64 s[6:7], vcc
	s_cbranch_execz .LBB70_38
; %bb.1:
	s_load_dwordx4 s[20:23], s[0:1], 0x0
	s_mul_i32 s2, s2, s4
	v_add_u32_e32 v64, s2, v1
	v_add_u32_e32 v2, 1, v64
	v_mov_b32_e32 v70, 1
	s_waitcnt lgkmcnt(0)
	v_cmp_gt_u32_e32 vcc, s23, v64
	v_cmp_le_u32_e64 s[2:3], s23, v2
	s_and_b64 s[6:7], vcc, s[2:3]
	s_and_saveexec_b64 s[2:3], s[6:7]
; %bb.2:
	v_subrev_u32_e32 v2, s23, v64
	v_cmp_eq_u32_e32 vcc, -1, v2
	s_add_i32 s6, s23, -1
	v_mov_b32_e32 v64, s6
	v_cndmask_b32_e64 v70, 0, 1, vcc
; %bb.3:
	s_or_b64 exec, exec, s[2:3]
	s_abs_i32 s2, s4
	v_cvt_f32_u32_e32 v2, s2
	s_sub_i32 s7, 0, s2
	s_abs_i32 s6, s23
	s_ashr_i32 s3, s23, 31
	v_rcp_iflag_f32_e32 v2, v2
	s_nop 0
	v_mul_f32_e32 v2, 0x4f7ffffe, v2
	v_cvt_u32_f32_e32 v2, v2
	s_nop 0
	v_readfirstlane_b32 s8, v2
	s_mul_i32 s7, s7, s8
	s_mul_hi_u32 s7, s8, s7
	s_add_i32 s8, s8, s7
	s_mul_hi_u32 s7, s6, s8
	s_mul_i32 s7, s7, s2
	s_sub_i32 s6, s6, s7
	s_sub_i32 s7, s6, s2
	s_cmp_ge_u32 s6, s2
	s_cselect_b32 s6, s7, s6
	s_sub_i32 s7, s6, s2
	s_cmp_ge_u32 s6, s2
	s_cselect_b32 s2, s7, s6
	s_xor_b32 s2, s2, s3
	s_sub_i32 s2, s2, s3
	s_add_i32 s3, s4, s23
	s_sub_i32 s3, s3, s2
	s_cmp_eq_u32 s2, 0
	s_cselect_b32 s33, s23, s3
	v_cmp_gt_u32_e32 vcc, s33, v64
	s_and_b64 exec, exec, vcc
	s_cbranch_execz .LBB70_38
; %bb.4:
	s_load_dwordx8 s[12:19], s[0:1], 0x10
	s_min_u32 s38, s22, 0x2800
	s_cmp_lg_u32 s20, 0
	s_cselect_b64 s[2:3], -1, 0
	s_cmp_lg_u32 s22, 0
	s_cselect_b64 s[6:7], -1, 0
	s_lshl_b32 s39, s4, 8
	s_add_i32 s40, s20, -8
	s_add_i32 s41, s23, -1
	s_waitcnt lgkmcnt(0)
	s_cmp_lg_u64 s[18:19], 0
	s_cselect_b64 s[26:27], -1, 0
	s_abs_i32 s8, s13
	v_cvt_f32_u32_e32 v2, s12
	v_cvt_f32_u32_e32 v3, s8
	s_mul_i32 s42, s5, s4
	s_sub_i32 s5, s42, s23
	v_rcp_iflag_f32_e32 v2, v2
	v_rcp_iflag_f32_e32 v3, v3
	s_add_i32 s13, s5, 2
	s_sub_i32 s5, 0, s12
	v_mul_f32_e32 v2, 0x4f7ffffe, v2
	v_mul_f32_e32 v3, 0x4f7ffffe, v3
	v_cvt_u32_f32_e32 v2, v2
	v_cvt_u32_f32_e32 v3, v3
	s_load_dwordx2 s[10:11], s[0:1], 0x30
	v_and_b32_e32 v0, 0x3ff, v0
	v_mul_lo_u32 v4, s5, v2
	s_sub_i32 s5, 0, s8
	v_readfirstlane_b32 s9, v3
	s_mul_i32 s5, s5, s9
	s_mul_hi_u32 s5, s9, s5
	s_add_i32 s9, s9, s5
	s_sub_i32 s5, 1, s8
	s_cmp_lt_u32 s8, 2
	s_cselect_b32 s5, s5, 1
	s_sub_i32 s28, s5, s8
	s_cmp_ge_u32 s5, s8
	s_cselect_b32 s43, s28, s5
	s_lshr_b32 s5, s9, 31
	s_mul_i32 s5, s5, s8
	s_sub_i32 s5, 2, s5
	s_sub_i32 s9, s5, s8
	s_cmp_ge_u32 s5, s8
	s_cselect_b32 s5, s9, s5
	v_lshlrev_b32_e32 v71, 3, v0
	v_cmp_eq_u32_e64 s[0:1], 31, v0
	s_sub_i32 s9, s5, s8
	v_lshlrev_b32_e32 v0, 4, v0
	s_cmp_ge_u32 s5, s8
	v_lshl_add_u32 v73, v1, 9, v0
	v_cndmask_b32_e64 v0, 0, 1, s[2:3]
	v_mul_hi_u32 v4, v2, v4
	s_cselect_b32 s44, s9, s5
	v_lshl_add_u32 v74, v1, 8, v71
	v_cmp_ne_u32_e64 s[2:3], 1, v0
	v_cndmask_b32_e64 v0, 0, 1, s[6:7]
	s_mov_b64 s[24:25], 0
	v_add_u32_e32 v72, v2, v4
	v_mov_b32_e32 v67, 0
	s_mul_i32 s43, s43, s12
	s_mul_i32 s44, s44, s12
	s_lshl_b32 s45, s38, 2
	s_lshl_b32 s46, s4, 9
	;; [unrolled: 1-line block ×3, first 2 shown]
	v_lshl_add_u32 v75, s22, 1, v74
	v_add_u32_e32 v76, s22, v74
	v_cmp_ne_u32_e64 s[4:5], 1, v0
	s_branch .LBB70_7
.LBB70_5:                               ;   in Loop: Header=BB70_7 Depth=1
	s_or_b64 exec, exec, s[6:7]
.LBB70_6:                               ;   in Loop: Header=BB70_7 Depth=1
	s_or_b64 exec, exec, s[8:9]
	v_cmp_le_u32_e32 vcc, s33, v0
	s_or_b64 s[24:25], vcc, s[24:25]
	v_mov_b32_e32 v64, v0
	s_andn2_b64 exec, exec, s[24:25]
	s_cbranch_execz .LBB70_38
.LBB70_7:                               ; =>This Loop Header: Depth=1
                                        ;     Child Loop BB70_14 Depth 2
                                        ;       Child Loop BB70_19 Depth 3
	s_mov_b32 s48, 0
	s_and_b64 vcc, exec, s[2:3]
	v_mov_b32_e32 v78, v67
	v_mov_b32_e32 v77, v67
	;; [unrolled: 1-line block ×3, first 2 shown]
	s_cbranch_vccnz .LBB70_28
; %bb.8:                                ;   in Loop: Header=BB70_7 Depth=1
	v_min_u32_e32 v0, s41, v64
	v_mul_lo_u32 v66, v0, s21
	v_cmp_gt_u32_e64 s[6:7], s23, v64
	v_lshl_add_u64 v[68:69], v[66:67], 1, s[14:15]
	v_mov_b32_e32 v65, 0
	v_mov_b32_e32 v77, 0
	;; [unrolled: 1-line block ×3, first 2 shown]
	s_mov_b32 s49, 0
	s_branch .LBB70_14
.LBB70_9:                               ;   in Loop: Header=BB70_14 Depth=2
	s_or_b64 exec, exec, s[36:37]
.LBB70_10:                              ;   in Loop: Header=BB70_14 Depth=2
	s_or_b64 exec, exec, s[34:35]
.LBB70_11:                              ;   in Loop: Header=BB70_14 Depth=2
	s_or_b64 exec, exec, s[30:31]
.LBB70_12:                              ;   in Loop: Header=BB70_14 Depth=2
	s_or_b64 exec, exec, s[28:29]
	s_waitcnt vmcnt(3) lgkmcnt(0)
	;;#ASMSTART
	v_dot2c_f32_f16 v78, v60, v28
	;;#ASMEND
	;;#ASMSTART
	v_dot2c_f32_f16 v77, v52, v28
	;;#ASMEND
	;;#ASMSTART
	v_dot2c_f32_f16 v65, v44, v28
	;;#ASMEND
	s_nop 0
	;;#ASMSTART
	v_dot2c_f32_f16 v78, v61, v29
	;;#ASMEND
	;;#ASMSTART
	v_dot2c_f32_f16 v77, v53, v29
	;;#ASMEND
	;;#ASMSTART
	v_dot2c_f32_f16 v65, v45, v29
	;;#ASMEND
	s_nop 0
	;;#ASMSTART
	v_dot2c_f32_f16 v78, v62, v30
	;;#ASMEND
	;;#ASMSTART
	v_dot2c_f32_f16 v77, v54, v30
	;;#ASMEND
	;;#ASMSTART
	v_dot2c_f32_f16 v65, v46, v30
	;;#ASMEND
	s_nop 0
	;;#ASMSTART
	v_dot2c_f32_f16 v78, v63, v31
	;;#ASMEND
	;;#ASMSTART
	v_dot2c_f32_f16 v77, v55, v31
	;;#ASMEND
	;;#ASMSTART
	v_dot2c_f32_f16 v65, v47, v31
	;;#ASMEND
	s_waitcnt vmcnt(2)
	;;#ASMSTART
	v_dot2c_f32_f16 v78, v56, v12
	;;#ASMEND
	;;#ASMSTART
	v_dot2c_f32_f16 v77, v48, v12
	;;#ASMEND
	;;#ASMSTART
	v_dot2c_f32_f16 v65, v36, v12
	;;#ASMEND
	s_nop 0
	;;#ASMSTART
	v_dot2c_f32_f16 v78, v57, v13
	;;#ASMEND
	;;#ASMSTART
	v_dot2c_f32_f16 v77, v49, v13
	;;#ASMEND
	;;#ASMSTART
	v_dot2c_f32_f16 v65, v37, v13
	;;#ASMEND
	s_nop 0
	;;#ASMSTART
	v_dot2c_f32_f16 v78, v58, v14
	;;#ASMEND
	;;#ASMSTART
	v_dot2c_f32_f16 v77, v50, v14
	;;#ASMEND
	;;#ASMSTART
	v_dot2c_f32_f16 v65, v38, v14
	;;#ASMEND
	s_nop 0
	;;#ASMSTART
	v_dot2c_f32_f16 v78, v59, v15
	;;#ASMEND
	;;#ASMSTART
	v_dot2c_f32_f16 v77, v51, v15
	;;#ASMEND
	;;#ASMSTART
	v_dot2c_f32_f16 v65, v39, v15
	;;#ASMEND
	s_waitcnt vmcnt(1)
	;; [unrolled: 40-line block ×3, first 2 shown]
	;;#ASMSTART
	v_dot2c_f32_f16 v78, v20, v0
	;;#ASMEND
	;;#ASMSTART
	v_dot2c_f32_f16 v77, v16, v0
	;;#ASMEND
	;;#ASMSTART
	v_dot2c_f32_f16 v65, v8, v0
	;;#ASMEND
	s_nop 0
	;;#ASMSTART
	v_dot2c_f32_f16 v78, v21, v1
	;;#ASMEND
	;;#ASMSTART
	v_dot2c_f32_f16 v77, v17, v1
	;;#ASMEND
	;;#ASMSTART
	v_dot2c_f32_f16 v65, v9, v1
	;;#ASMEND
	s_nop 0
	;; [unrolled: 10-line block ×3, first 2 shown]
	;;#ASMSTART
	v_dot2c_f32_f16 v78, v23, v3
	;;#ASMEND
	;;#ASMSTART
	v_dot2c_f32_f16 v77, v19, v3
	;;#ASMEND
	;; [unrolled: 3-line block ×3, first 2 shown]
.LBB70_13:                              ;   in Loop: Header=BB70_14 Depth=2
	s_or_b64 exec, exec, s[8:9]
	s_addk_i32 s49, 0x400
	s_cmp_ge_u32 s49, s20
	s_cbranch_scc1 .LBB70_28
.LBB70_14:                              ;   Parent Loop BB70_7 Depth=1
                                        ; =>  This Loop Header: Depth=2
                                        ;       Child Loop BB70_19 Depth 3
	s_cmp_eq_u32 s49, 0
	s_cselect_b64 s[8:9], -1, 0
	s_add_i32 s28, s48, s38
	s_cmp_eq_u32 s49, s28
	s_cselect_b64 s[30:31], -1, 0
	s_or_b64 s[30:31], s[8:9], s[30:31]
	s_andn2_b64 vcc, exec, s[30:31]
	s_cbranch_vccz .LBB70_16
; %bb.15:                               ;   in Loop: Header=BB70_14 Depth=2
	s_and_saveexec_b64 s[8:9], s[6:7]
	s_cbranch_execz .LBB70_13
	s_branch .LBB70_23
.LBB70_16:                              ;   in Loop: Header=BB70_14 Depth=2
	s_and_b64 s[8:9], s[8:9], exec
	s_cselect_b32 s48, s48, s28
	s_and_b64 vcc, exec, s[4:5]
	s_waitcnt lgkmcnt(0)
	s_barrier
	s_cbranch_vccnz .LBB70_22
; %bb.17:                               ;   in Loop: Header=BB70_14 Depth=2
	v_add_u32_e32 v0, s48, v75
	v_add_u32_e32 v1, s48, v76
	;; [unrolled: 1-line block ×3, first 2 shown]
	s_mov_b32 s34, 0
	s_mov_b64 s[28:29], 0
	v_mov_b32_e32 v3, v73
                                        ; implicit-def: $sgpr30_sgpr31
	s_branch .LBB70_19
.LBB70_18:                              ;   in Loop: Header=BB70_19 Depth=3
	s_or_b64 exec, exec, s[8:9]
	s_and_b64 s[8:9], exec, s[30:31]
	s_or_b64 s[28:29], s[8:9], s[28:29]
	s_andn2_b64 exec, exec, s[28:29]
	s_cbranch_execz .LBB70_21
.LBB70_19:                              ;   Parent Loop BB70_7 Depth=1
                                        ;     Parent Loop BB70_14 Depth=2
                                        ; =>    This Inner Loop Header: Depth=3
	v_add_u32_e32 v4, s34, v74
	v_add_u32_e32 v66, s34, v2
	v_cmp_gt_u32_e32 vcc, s22, v66
	v_cmp_gt_u32_e64 s[8:9], s38, v4
	s_and_b64 s[36:37], s[8:9], vcc
	s_or_b64 s[30:31], s[30:31], exec
	s_and_saveexec_b64 s[8:9], s[36:37]
	s_cbranch_execz .LBB70_18
; %bb.20:                               ;   in Loop: Header=BB70_19 Depth=3
	v_lshl_add_u64 v[12:13], v[66:67], 1, s[16:17]
	v_add_u32_e32 v66, s34, v1
	v_lshl_add_u64 v[14:15], v[66:67], 1, s[16:17]
	v_add_u32_e32 v66, s34, v0
	global_load_dwordx4 v[4:7], v[12:13], off
	global_load_dwordx4 v[8:11], v[14:15], off
	v_lshl_add_u64 v[12:13], v[66:67], 1, s[16:17]
	global_load_dwordx4 v[12:15], v[12:13], off
	s_add_i32 s34, s34, s39
	s_cmp_ge_u32 s34, s38
	s_cselect_b64 s[36:37], -1, 0
	s_andn2_b64 s[30:31], s[30:31], exec
	s_and_b64 s[36:37], s[36:37], exec
	v_add_u32_e32 v16, s47, v3
	v_add_u32_e32 v17, s45, v3
	s_or_b64 s[30:31], s[30:31], s[36:37]
	s_waitcnt vmcnt(2)
	ds_write_b128 v3, v[4:7]
	v_add_u32_e32 v3, s46, v3
	s_waitcnt vmcnt(1)
	ds_write2_b64 v16, v[8:9], v[10:11] offset1:1
	s_waitcnt vmcnt(0)
	ds_write2_b32 v17, v12, v13 offset1:1
	ds_write2_b32 v17, v14, v15 offset0:2 offset1:3
	s_branch .LBB70_18
.LBB70_21:                              ;   in Loop: Header=BB70_14 Depth=2
	s_or_b64 exec, exec, s[28:29]
.LBB70_22:                              ;   in Loop: Header=BB70_14 Depth=2
	s_waitcnt lgkmcnt(0)
	s_barrier
	s_and_saveexec_b64 s[8:9], s[6:7]
	s_cbranch_execz .LBB70_13
.LBB70_23:                              ;   in Loop: Header=BB70_14 Depth=2
	v_add_u32_e32 v81, s49, v71
	v_min_u32_e32 v66, s40, v81
	v_add_u32_e32 v83, 0x100, v81
	v_lshl_add_u64 v[0:1], v[66:67], 1, v[68:69]
	v_min_u32_e32 v66, s40, v83
	v_add_u32_e32 v80, 0x200, v81
	v_lshl_add_u64 v[2:3], v[66:67], 1, v[68:69]
	v_min_u32_e32 v66, s40, v80
	v_add_u32_e32 v79, 0x300, v81
	s_waitcnt vmcnt(2)
	v_lshl_add_u64 v[8:9], v[66:67], 1, v[68:69]
	v_min_u32_e32 v66, s40, v79
	global_load_dwordx4 v[28:31], v[0:1], off nt
	global_load_dwordx4 v[12:15], v[2:3], off nt
	v_lshl_add_u64 v[10:11], v[66:67], 1, v[68:69]
	global_load_dwordx4 v[4:7], v[8:9], off nt
	global_load_dwordx4 v[0:3], v[10:11], off nt
	v_cmp_gt_u32_e32 vcc, s20, v81
	v_mov_b32_e32 v63, 0
	v_mov_b32_e32 v60, 0
	;; [unrolled: 1-line block ×48, first 2 shown]
	s_and_saveexec_b64 s[28:29], vcc
	s_cbranch_execz .LBB70_12
; %bb.24:                               ;   in Loop: Header=BB70_14 Depth=2
	v_subrev_u32_e32 v8, s48, v81
	v_lshlrev_b32_e32 v82, 1, v8
	v_add_u32_e32 v81, s47, v82
	v_add_u32_e32 v66, s47, v81
	ds_read_b128 v[60:63], v82
	ds_read_b128 v[52:55], v81
	;; [unrolled: 1-line block ×3, first 2 shown]
	v_cmp_gt_u32_e32 vcc, s20, v83
	v_mov_b32_e32 v11, 0
	v_mov_b32_e32 v10, 0
	v_mov_b32_e32 v9, 0
	v_mov_b32_e32 v8, 0
	v_mov_b32_e32 v19, 0
	v_mov_b32_e32 v18, 0
	v_mov_b32_e32 v17, 0
	v_mov_b32_e32 v16, 0
	v_mov_b32_e32 v23, 0
	v_mov_b32_e32 v22, 0
	v_mov_b32_e32 v21, 0
	v_mov_b32_e32 v20, 0
	v_mov_b32_e32 v27, 0
	v_mov_b32_e32 v26, 0
	v_mov_b32_e32 v25, 0
	v_mov_b32_e32 v24, 0
	v_mov_b32_e32 v35, 0
	v_mov_b32_e32 v34, 0
	v_mov_b32_e32 v33, 0
	v_mov_b32_e32 v32, 0
	v_mov_b32_e32 v43, 0
	v_mov_b32_e32 v42, 0
	v_mov_b32_e32 v41, 0
	v_mov_b32_e32 v40, 0
	v_mov_b32_e32 v39, 0
	v_mov_b32_e32 v38, 0
	v_mov_b32_e32 v37, 0
	v_mov_b32_e32 v36, 0
	v_mov_b32_e32 v51, 0
	v_mov_b32_e32 v50, 0
	v_mov_b32_e32 v49, 0
	v_mov_b32_e32 v48, 0
	v_mov_b32_e32 v59, 0
	v_mov_b32_e32 v58, 0
	v_mov_b32_e32 v57, 0
	v_mov_b32_e32 v56, 0
	s_and_saveexec_b64 s[30:31], vcc
	s_cbranch_execz .LBB70_11
; %bb.25:                               ;   in Loop: Header=BB70_14 Depth=2
	ds_read_b128 v[56:59], v82 offset:512
	ds_read_b128 v[48:51], v81 offset:512
	;; [unrolled: 1-line block ×3, first 2 shown]
	v_cmp_gt_u32_e32 vcc, s20, v80
	v_mov_b32_e32 v11, 0
	v_mov_b32_e32 v10, 0
	;; [unrolled: 1-line block ×24, first 2 shown]
	s_and_saveexec_b64 s[34:35], vcc
	s_cbranch_execz .LBB70_10
; %bb.26:                               ;   in Loop: Header=BB70_14 Depth=2
	ds_read_b128 v[40:43], v82 offset:1024
	ds_read_b128 v[32:35], v81 offset:1024
	;; [unrolled: 1-line block ×3, first 2 shown]
	v_cmp_gt_u32_e32 vcc, s20, v79
	v_mov_b32_e32 v11, 0
	v_mov_b32_e32 v10, 0
	;; [unrolled: 1-line block ×12, first 2 shown]
	s_and_saveexec_b64 s[36:37], vcc
	s_cbranch_execz .LBB70_9
; %bb.27:                               ;   in Loop: Header=BB70_14 Depth=2
	ds_read_b128 v[20:23], v82 offset:1536
	ds_read_b128 v[16:19], v81 offset:1536
	;; [unrolled: 1-line block ×3, first 2 shown]
	s_branch .LBB70_9
.LBB70_28:                              ;   in Loop: Header=BB70_7 Depth=1
	v_cmp_le_u32_e32 vcc, s23, v64
                                        ; implicit-def: $vgpr0
	s_and_saveexec_b64 s[6:7], vcc
	s_xor_b64 s[6:7], exec, s[6:7]
; %bb.29:                               ;   in Loop: Header=BB70_7 Depth=1
	v_add_u32_e32 v0, s42, v64
                                        ; implicit-def: $vgpr64
                                        ; implicit-def: $vgpr78
                                        ; implicit-def: $vgpr77
                                        ; implicit-def: $vgpr65
; %bb.30:                               ;   in Loop: Header=BB70_7 Depth=1
	s_andn2_saveexec_b64 s[8:9], s[6:7]
	s_cbranch_execz .LBB70_6
; %bb.31:                               ;   in Loop: Header=BB70_7 Depth=1
	v_cvt_i32_f32_e32 v0, v78
	v_cvt_i32_f32_e32 v1, v77
	v_cvt_i32_f32_e32 v2, v65
	v_cvt_f32_i32_dpp v0, v0 row_shr:8 row_mask:0xf bank_mask:0xf bound_ctrl:1
	v_cvt_f32_i32_dpp v1, v1 row_shr:8 row_mask:0xf bank_mask:0xf bound_ctrl:1
	v_cvt_f32_i32_dpp v2, v2 row_shr:8 row_mask:0xf bank_mask:0xf bound_ctrl:1
	v_add_f32_e32 v0, v78, v0
	v_add_f32_e32 v1, v77, v1
	v_add_f32_e32 v2, v65, v2
	v_cvt_i32_f32_e32 v3, v0
	v_cvt_i32_f32_e32 v4, v1
	v_cvt_i32_f32_e32 v5, v2
	v_cvt_f32_i32_dpp v3, v3 row_shr:4 row_mask:0xf bank_mask:0xf bound_ctrl:1
	v_cvt_f32_i32_dpp v4, v4 row_shr:4 row_mask:0xf bank_mask:0xf bound_ctrl:1
	v_cvt_f32_i32_dpp v5, v5 row_shr:4 row_mask:0xf bank_mask:0xf bound_ctrl:1
	v_add_f32_e32 v0, v0, v3
	v_add_f32_e32 v1, v1, v4
	v_add_f32_e32 v2, v2, v5
	;; [unrolled: 9-line block ×4, first 2 shown]
	v_cvt_i32_f32_e32 v3, v0
	v_cvt_i32_f32_e32 v4, v1
	;; [unrolled: 1-line block ×3, first 2 shown]
	v_cvt_f32_i32_dpp v3, v3 row_bcast:15 row_mask:0xf bank_mask:0xf bound_ctrl:1
	v_cvt_f32_i32_dpp v4, v4 row_bcast:15 row_mask:0xf bank_mask:0xf bound_ctrl:1
	;; [unrolled: 1-line block ×3, first 2 shown]
	v_add_f32_e32 v0, v0, v3
	v_add_f32_e32 v1, v1, v4
	;; [unrolled: 1-line block ×3, first 2 shown]
	v_cvt_i32_f32_e32 v3, v0
	v_cvt_i32_f32_e32 v4, v1
	s_waitcnt vmcnt(0)
	v_cvt_i32_f32_e32 v6, v2
	v_mov_b32_dpp v5, v3 row_bcast:31 row_mask:0xf bank_mask:0xf bound_ctrl:1
	v_mov_b32_dpp v4, v4 row_bcast:31 row_mask:0xf bank_mask:0xf bound_ctrl:1
	;; [unrolled: 1-line block ×3, first 2 shown]
	s_and_saveexec_b64 s[6:7], s[0:1]
	s_cbranch_execz .LBB70_36
; %bb.32:                               ;   in Loop: Header=BB70_7 Depth=1
	s_andn2_b64 vcc, exec, s[26:27]
	v_mov_b32_e32 v8, 0
	v_mov_b32_e32 v7, 0
	;; [unrolled: 1-line block ×3, first 2 shown]
	s_cbranch_vccnz .LBB70_34
; %bb.33:                               ;   in Loop: Header=BB70_7 Depth=1
	v_mul_hi_u32 v6, v64, v72
	v_mul_lo_u32 v6, v6, s12
	v_sub_u32_e32 v6, v64, v6
	v_subrev_u32_e32 v7, s12, v6
	v_cmp_le_u32_e32 vcc, s12, v6
	s_nop 1
	v_cndmask_b32_e32 v6, v6, v7, vcc
	v_subrev_u32_e32 v7, s12, v6
	v_cmp_le_u32_e32 vcc, s12, v6
	s_nop 1
	v_cndmask_b32_e32 v66, v6, v7, vcc
	v_lshl_add_u64 v[10:11], v[66:67], 1, s[18:19]
	v_add_u32_e32 v6, s43, v66
	v_mov_b32_e32 v7, v67
	v_add_u32_e32 v66, s44, v66
	v_lshl_add_u64 v[12:13], v[6:7], 1, s[18:19]
	v_lshl_add_u64 v[14:15], v[66:67], 1, s[18:19]
	global_load_ushort v8, v[10:11], off
	global_load_ushort v7, v[12:13], off
	;; [unrolled: 1-line block ×3, first 2 shown]
.LBB70_34:                              ;   in Loop: Header=BB70_7 Depth=1
	v_cmp_ne_u32_e32 vcc, 0, v70
	s_and_b64 exec, exec, vcc
	s_cbranch_execz .LBB70_36
; %bb.35:                               ;   in Loop: Header=BB70_7 Depth=1
	v_cvt_f32_i32_e32 v5, v5
	s_waitcnt vmcnt(2)
	v_cvt_f32_f16_e32 v8, v8
	v_cvt_f32_i32_e32 v3, v3
	v_cvt_f32_i32_e32 v4, v4
	v_add_f32_e32 v0, v0, v5
	v_add_f32_e32 v0, v0, v8
	;; [unrolled: 1-line block ×3, first 2 shown]
	v_cvt_f16_f32_e32 v3, v0
	v_mov_b32_e32 v65, v67
	v_add_f32_e32 v4, v1, v4
	s_waitcnt vmcnt(1)
	v_cvt_f32_f16_e32 v5, v7
	s_waitcnt lgkmcnt(0)
	v_lshl_add_u64 v[0:1], v[64:65], 1, s[10:11]
	global_store_short v[0:1], v3, off
	s_waitcnt vmcnt(1)
	v_cvt_f32_f16_e32 v3, v6
	v_add_f32_e32 v0, v4, v5
	v_cvt_f16_f32_e32 v4, v0
	v_add_u32_e32 v66, s23, v64
	v_add_f32_e32 v2, v2, v3
	v_cvt_f16_f32_e32 v2, v2
	v_lshl_add_u64 v[0:1], v[66:67], 1, s[10:11]
	v_add_u32_e32 v66, s23, v66
	global_store_short v[0:1], v4, off
	v_lshl_add_u64 v[0:1], v[66:67], 1, s[10:11]
	global_store_short v[0:1], v2, off
.LBB70_36:                              ;   in Loop: Header=BB70_7 Depth=1
	s_or_b64 exec, exec, s[6:7]
	v_add_u32_e32 v0, s42, v64
	v_add_u32_e32 v1, 1, v0
	v_cmp_gt_u32_e32 vcc, s23, v0
	v_cmp_le_u32_e64 s[6:7], s23, v1
	s_and_b64 s[28:29], vcc, s[6:7]
	s_and_saveexec_b64 s[6:7], s[28:29]
	s_cbranch_execz .LBB70_5
; %bb.37:                               ;   in Loop: Header=BB70_7 Depth=1
	v_add_u32_e32 v0, s13, v64
	v_cmp_eq_u32_e32 vcc, 1, v0
	v_mov_b32_e32 v0, s41
	s_nop 0
	v_cndmask_b32_e32 v70, 0, v70, vcc
	s_branch .LBB70_5
.LBB70_38:
	s_endpgm
	.section	.rodata,"a",@progbits
	.p2align	6, 0x0
	.amdhsa_kernel _Z16wvSplitK_hf_big_I6__halfLi32ELi1ELi16ELi8ELi4ELi3EEviiiiiiPKT_S3_S3_PS1_ii
		.amdhsa_group_segment_fixed_size 65536
		.amdhsa_private_segment_fixed_size 0
		.amdhsa_kernarg_size 64
		.amdhsa_user_sgpr_count 2
		.amdhsa_user_sgpr_dispatch_ptr 0
		.amdhsa_user_sgpr_queue_ptr 0
		.amdhsa_user_sgpr_kernarg_segment_ptr 1
		.amdhsa_user_sgpr_dispatch_id 0
		.amdhsa_user_sgpr_kernarg_preload_length 0
		.amdhsa_user_sgpr_kernarg_preload_offset 0
		.amdhsa_user_sgpr_private_segment_size 0
		.amdhsa_uses_dynamic_stack 0
		.amdhsa_enable_private_segment 0
		.amdhsa_system_sgpr_workgroup_id_x 1
		.amdhsa_system_sgpr_workgroup_id_y 0
		.amdhsa_system_sgpr_workgroup_id_z 0
		.amdhsa_system_sgpr_workgroup_info 0
		.amdhsa_system_vgpr_workitem_id 1
		.amdhsa_next_free_vgpr 84
		.amdhsa_next_free_sgpr 50
		.amdhsa_accum_offset 84
		.amdhsa_reserve_vcc 1
		.amdhsa_float_round_mode_32 0
		.amdhsa_float_round_mode_16_64 0
		.amdhsa_float_denorm_mode_32 3
		.amdhsa_float_denorm_mode_16_64 3
		.amdhsa_dx10_clamp 1
		.amdhsa_ieee_mode 1
		.amdhsa_fp16_overflow 0
		.amdhsa_tg_split 0
		.amdhsa_exception_fp_ieee_invalid_op 0
		.amdhsa_exception_fp_denorm_src 0
		.amdhsa_exception_fp_ieee_div_zero 0
		.amdhsa_exception_fp_ieee_overflow 0
		.amdhsa_exception_fp_ieee_underflow 0
		.amdhsa_exception_fp_ieee_inexact 0
		.amdhsa_exception_int_div_zero 0
	.end_amdhsa_kernel
	.section	.text._Z16wvSplitK_hf_big_I6__halfLi32ELi1ELi16ELi8ELi4ELi3EEviiiiiiPKT_S3_S3_PS1_ii,"axG",@progbits,_Z16wvSplitK_hf_big_I6__halfLi32ELi1ELi16ELi8ELi4ELi3EEviiiiiiPKT_S3_S3_PS1_ii,comdat
.Lfunc_end70:
	.size	_Z16wvSplitK_hf_big_I6__halfLi32ELi1ELi16ELi8ELi4ELi3EEviiiiiiPKT_S3_S3_PS1_ii, .Lfunc_end70-_Z16wvSplitK_hf_big_I6__halfLi32ELi1ELi16ELi8ELi4ELi3EEviiiiiiPKT_S3_S3_PS1_ii
                                        ; -- End function
	.section	.AMDGPU.csdata,"",@progbits
; Kernel info:
; codeLenInByte = 2884
; NumSgprs: 56
; NumVgprs: 84
; NumAgprs: 0
; TotalNumVgprs: 84
; ScratchSize: 0
; MemoryBound: 0
; FloatMode: 240
; IeeeMode: 1
; LDSByteSize: 65536 bytes/workgroup (compile time only)
; SGPRBlocks: 6
; VGPRBlocks: 10
; NumSGPRsForWavesPerEU: 56
; NumVGPRsForWavesPerEU: 84
; AccumOffset: 84
; Occupancy: 2
; WaveLimiterHint : 0
; COMPUTE_PGM_RSRC2:SCRATCH_EN: 0
; COMPUTE_PGM_RSRC2:USER_SGPR: 2
; COMPUTE_PGM_RSRC2:TRAP_HANDLER: 0
; COMPUTE_PGM_RSRC2:TGID_X_EN: 1
; COMPUTE_PGM_RSRC2:TGID_Y_EN: 0
; COMPUTE_PGM_RSRC2:TGID_Z_EN: 0
; COMPUTE_PGM_RSRC2:TIDIG_COMP_CNT: 1
; COMPUTE_PGM_RSRC3_GFX90A:ACCUM_OFFSET: 20
; COMPUTE_PGM_RSRC3_GFX90A:TG_SPLIT: 0
	.section	.text._Z16wvSplitK_hf_sml_I6__halfLi32ELi2ELi16ELi8ELi2ELi3EEviiiiiiPKT_S3_S3_PS1_ii,"axG",@progbits,_Z16wvSplitK_hf_sml_I6__halfLi32ELi2ELi16ELi8ELi2ELi3EEviiiiiiPKT_S3_S3_PS1_ii,comdat
	.protected	_Z16wvSplitK_hf_sml_I6__halfLi32ELi2ELi16ELi8ELi2ELi3EEviiiiiiPKT_S3_S3_PS1_ii ; -- Begin function _Z16wvSplitK_hf_sml_I6__halfLi32ELi2ELi16ELi8ELi2ELi3EEviiiiiiPKT_S3_S3_PS1_ii
	.globl	_Z16wvSplitK_hf_sml_I6__halfLi32ELi2ELi16ELi8ELi2ELi3EEviiiiiiPKT_S3_S3_PS1_ii
	.p2align	8
	.type	_Z16wvSplitK_hf_sml_I6__halfLi32ELi2ELi16ELi8ELi2ELi3EEviiiiiiPKT_S3_S3_PS1_ii,@function
_Z16wvSplitK_hf_sml_I6__halfLi32ELi2ELi16ELi8ELi2ELi3EEviiiiiiPKT_S3_S3_PS1_ii: ; @_Z16wvSplitK_hf_sml_I6__halfLi32ELi2ELi16ELi8ELi2ELi3EEviiiiiiPKT_S3_S3_PS1_ii
; %bb.0:
	s_load_dwordx4 s[4:7], s[0:1], 0x0
	v_and_b32_e32 v4, 0x3ff, v0
	v_bfe_u32 v5, v0, 10, 10
	v_lshlrev_b32_e32 v48, 3, v4
	v_lshl_add_u32 v6, v5, 8, v48
	s_waitcnt lgkmcnt(0)
	s_mul_i32 s3, s6, 3
	s_min_u32 s3, s3, 0x8000
	v_cmp_gt_u32_e32 vcc, s3, v6
	s_and_saveexec_b64 s[8:9], vcc
	s_cbranch_execz .LBB71_9
; %bb.1:
	s_load_dwordx2 s[10:11], s[0:1], 0x20
	v_lshlrev_b32_e32 v0, 1, v6
	v_add_u32_e32 v1, 0x1000, v6
	v_cmp_gt_u32_e32 vcc, s3, v1
	s_waitcnt lgkmcnt(0)
	global_load_dwordx4 v[8:11], v0, s[10:11]
	s_waitcnt vmcnt(0)
	ds_write_b128 v0, v[8:11]
	s_and_saveexec_b64 s[12:13], vcc
	s_xor_b64 s[12:13], exec, s[12:13]
	s_cbranch_execz .LBB71_9
; %bb.2:
	v_mov_b32_e32 v1, 0
	v_lshl_add_u64 v[2:3], s[10:11], 0, v[0:1]
	v_add_co_u32_e32 v8, vcc, 0x2000, v2
	v_add_u32_e32 v1, 0x2000, v6
	s_nop 0
	v_addc_co_u32_e32 v9, vcc, 0, v3, vcc
	global_load_dwordx4 v[8:11], v[8:9], off
	v_cmp_gt_u32_e32 vcc, s3, v1
	s_waitcnt vmcnt(0)
	ds_write_b128 v0, v[8:11] offset:8192
	s_and_saveexec_b64 s[10:11], vcc
	s_xor_b64 s[10:11], exec, s[10:11]
	s_cbranch_execz .LBB71_9
; %bb.3:
	v_add_co_u32_e32 v8, vcc, 0x4000, v2
	v_add_u32_e32 v1, 0x3000, v6
	s_nop 0
	v_addc_co_u32_e32 v9, vcc, 0, v3, vcc
	global_load_dwordx4 v[8:11], v[8:9], off
	v_cmp_gt_u32_e32 vcc, s3, v1
	s_waitcnt vmcnt(0)
	ds_write_b128 v0, v[8:11] offset:16384
	s_and_saveexec_b64 s[10:11], vcc
	s_xor_b64 s[10:11], exec, s[10:11]
	s_cbranch_execz .LBB71_9
; %bb.4:
	;; [unrolled: 12-line block ×6, first 2 shown]
	v_add_co_u32_e32 v2, vcc, 0xe000, v2
	s_nop 1
	v_addc_co_u32_e32 v3, vcc, 0, v3, vcc
	global_load_dwordx4 v[6:9], v[2:3], off
	s_waitcnt vmcnt(0)
	ds_write_b128 v0, v[6:9] offset:57344
.LBB71_9:
	s_or_b64 exec, exec, s[8:9]
	s_load_dwordx2 s[16:17], s[0:1], 0x38
	s_waitcnt lgkmcnt(0)
	s_barrier
	v_cmp_gt_u32_e32 vcc, s16, v5
	s_and_saveexec_b64 s[8:9], vcc
	s_cbranch_execz .LBB71_26
; %bb.10:
	s_load_dwordx2 s[12:13], s[0:1], 0x10
	s_mul_i32 s2, s2, s16
	v_add_lshl_u32 v32, s2, v5, 1
	v_cmp_gt_u32_e32 vcc, s7, v32
	s_and_b64 exec, exec, vcc
	s_cbranch_execz .LBB71_26
; %bb.11:
	s_load_dwordx4 s[8:11], s[0:1], 0x28
	s_load_dwordx2 s[14:15], s[0:1], 0x18
	s_cmp_lg_u32 s4, 0
	s_cselect_b64 s[2:3], -1, 0
	s_add_i32 s24, s4, -8
	s_add_i32 s25, s7, -1
	s_waitcnt lgkmcnt(0)
	s_cmp_lg_u64 s[8:9], 0
	s_cselect_b64 s[18:19], -1, 0
	s_abs_i32 s21, s13
	v_cvt_f32_u32_e32 v0, s12
	v_cvt_f32_u32_e32 v1, s21
	s_mul_i32 s20, s16, s17
	s_lshl_b32 s13, s20, 1
	v_rcp_iflag_f32_e32 v0, v0
	v_rcp_iflag_f32_e32 v1, v1
	s_sub_i32 s20, 0, s12
	v_cmp_eq_u32_e64 s[0:1], 31, v4
	v_mul_f32_e32 v0, 0x4f7ffffe, v0
	v_mul_f32_e32 v1, 0x4f7ffffe, v1
	v_cvt_u32_f32_e32 v0, v0
	v_cvt_u32_f32_e32 v1, v1
	s_mov_b64 s[16:17], 0
	v_mov_b32_e32 v35, 0
	v_mul_lo_u32 v2, s20, v0
	s_sub_i32 s20, 0, s21
	v_readfirstlane_b32 s22, v1
	s_mul_i32 s20, s20, s22
	s_mul_hi_u32 s20, s22, s20
	s_add_i32 s22, s22, s20
	s_sub_i32 s20, 1, s21
	s_cmp_lt_u32 s21, 2
	s_cselect_b32 s20, s20, 1
	s_sub_i32 s23, s20, s21
	s_cmp_ge_u32 s20, s21
	s_cselect_b32 s26, s23, s20
	s_lshr_b32 s20, s22, 31
	s_mul_i32 s20, s20, s21
	s_sub_i32 s20, 2, s20
	s_sub_i32 s22, s20, s21
	s_cmp_ge_u32 s20, s21
	s_cselect_b32 s20, s22, s20
	s_sub_i32 s22, s20, s21
	v_mul_hi_u32 v2, v0, v2
	s_cmp_ge_u32 s20, s21
	v_add_u32_e32 v49, v0, v2
	s_cselect_b32 s27, s22, s20
	v_cndmask_b32_e64 v0, 0, 1, s[2:3]
	s_mul_i32 s26, s26, s12
	s_mul_i32 s27, s27, s12
	s_lshl_b32 s28, s6, 2
	v_lshlrev_b32_e32 v50, 4, v4
	s_lshl_b32 s6, s6, 1
	v_cmp_ne_u32_e64 s[2:3], 1, v0
	s_branch .LBB71_14
.LBB71_12:                              ;   in Loop: Header=BB71_14 Depth=1
	v_cvt_f32_i32_e32 v2, v2
	v_cvt_f32_i32_e32 v3, v3
	;; [unrolled: 1-line block ×4, first 2 shown]
	v_add_f32_e32 v1, v1, v2
	v_cvt_f32_i32_e32 v2, v9
	v_add_f32_e32 v0, v0, v3
	v_add_f32_e32 v3, v5, v11
	;; [unrolled: 1-line block ×3, first 2 shown]
	s_waitcnt vmcnt(5)
	v_cvt_f32_f16_e32 v7, v17
	v_add_f32_e32 v2, v6, v2
	s_waitcnt vmcnt(4)
	v_cvt_f32_f16_e32 v6, v16
	v_cvt_f32_i32_e32 v8, v8
	v_add_f32_e32 v0, v0, v7
	v_cvt_f16_f32_e32 v7, v0
	v_add_f32_e32 v0, v1, v6
	v_cvt_f16_f32_e32 v6, v0
	v_add_f32_e32 v4, v4, v8
	s_waitcnt vmcnt(3)
	v_cvt_f32_f16_e32 v8, v15
	v_lshl_add_u64 v[0:1], v[32:33], 1, s[10:11]
	v_pack_b32_f16 v6, v7, v6
	global_store_dword v[0:1], v6, off
	v_add_f32_e32 v0, v3, v8
	v_cvt_f16_f32_e32 v3, v0
	s_waitcnt vmcnt(3)
	v_cvt_f32_f16_e32 v6, v14
	v_add_u32_e32 v34, s7, v32
	v_lshl_add_u64 v[0:1], v[34:35], 1, s[10:11]
	global_store_short v[0:1], v3, off
	v_add_f32_e32 v0, v5, v6
	s_waitcnt vmcnt(3)
	v_cvt_f32_f16_e32 v5, v13
	s_waitcnt vmcnt(2)
	v_cvt_f32_f16_e32 v6, v12
	v_cvt_f16_f32_e32 v3, v0
	v_add_u32_e32 v0, 1, v34
	v_add_f32_e32 v2, v2, v5
	v_add_f32_e32 v4, v4, v6
	v_cvt_f16_f32_e32 v2, v2
	v_cvt_f16_f32_e32 v4, v4
	v_mov_b32_e32 v1, v35
	v_lshl_add_u64 v[0:1], v[0:1], 1, s[10:11]
	v_add_u32_e32 v34, s7, v34
	global_store_short v[0:1], v3, off
	v_lshl_add_u64 v[0:1], v[34:35], 1, s[10:11]
	v_pack_b32_f16 v2, v2, v4
	global_store_dword v[0:1], v2, off
.LBB71_13:                              ;   in Loop: Header=BB71_14 Depth=1
	s_or_b64 exec, exec, s[20:21]
	v_add_u32_e32 v32, s13, v32
	v_cmp_le_u32_e32 vcc, s7, v32
	s_or_b64 s[16:17], vcc, s[16:17]
	s_andn2_b64 exec, exec, s[16:17]
	s_cbranch_execz .LBB71_26
.LBB71_14:                              ; =>This Loop Header: Depth=1
                                        ;     Child Loop BB71_18 Depth 2
	s_mov_b32 s29, 0
	s_and_b64 vcc, exec, s[2:3]
	v_mov_b32_e32 v55, v35
	v_mov_b32_e32 v54, v35
	;; [unrolled: 1-line block ×6, first 2 shown]
	s_cbranch_vccnz .LBB71_21
; %bb.15:                               ;   in Loop: Header=BB71_14 Depth=1
	v_min_u32_e32 v0, s25, v32
	v_mul_lo_u32 v34, v0, s5
	v_or_b32_e32 v0, 1, v32
	v_min_u32_e32 v0, s25, v0
	v_mul_lo_u32 v0, v0, s5
	v_mov_b32_e32 v1, v35
	v_mov_b32_e32 v33, 0
	v_lshlrev_b64 v[36:37], 1, v[34:35]
	v_lshlrev_b64 v[38:39], 1, v[0:1]
	v_mov_b32_e32 v56, v50
	v_mov_b32_e32 v51, 0
	;; [unrolled: 1-line block ×6, first 2 shown]
	s_branch .LBB71_18
.LBB71_16:                              ;   in Loop: Header=BB71_18 Depth=2
	s_or_b64 exec, exec, s[22:23]
.LBB71_17:                              ;   in Loop: Header=BB71_18 Depth=2
	s_or_b64 exec, exec, s[20:21]
	s_waitcnt vmcnt(3) lgkmcnt(1)
	;;#ASMSTART
	v_dot2c_f32_f16 v55, v28, v16
	;;#ASMEND
	s_waitcnt vmcnt(2)
	;;#ASMSTART
	v_dot2c_f32_f16 v54, v28, v12
	;;#ASMEND
	;;#ASMSTART
	v_dot2c_f32_f16 v53, v24, v16
	;;#ASMEND
	;; [unrolled: 3-line block ×6, first 2 shown]
	s_nop 0
	;;#ASMSTART
	v_dot2c_f32_f16 v54, v29, v13
	;;#ASMEND
	;;#ASMSTART
	v_dot2c_f32_f16 v53, v25, v17
	;;#ASMEND
	;;#ASMSTART
	v_dot2c_f32_f16 v52, v25, v13
	;;#ASMEND
	;;#ASMSTART
	v_dot2c_f32_f16 v33, v45, v17
	;;#ASMEND
	;;#ASMSTART
	v_dot2c_f32_f16 v51, v45, v13
	;;#ASMEND
	;;#ASMSTART
	v_dot2c_f32_f16 v55, v30, v18
	;;#ASMEND
	s_nop 0
	;;#ASMSTART
	v_dot2c_f32_f16 v54, v30, v14
	;;#ASMEND
	;;#ASMSTART
	v_dot2c_f32_f16 v53, v26, v18
	;;#ASMEND
	;; [unrolled: 3-line block ×3, first 2 shown]
	s_waitcnt lgkmcnt(0)
	;;#ASMSTART
	v_dot2c_f32_f16 v33, v46, v18
	;;#ASMEND
	;;#ASMSTART
	v_dot2c_f32_f16 v51, v46, v14
	;;#ASMEND
	;; [unrolled: 3-line block ×6, first 2 shown]
	s_nop 0
	;;#ASMSTART
	v_dot2c_f32_f16 v33, v47, v19
	;;#ASMEND
	;;#ASMSTART
	v_dot2c_f32_f16 v51, v47, v15
	;;#ASMEND
	s_waitcnt vmcnt(1)
	;;#ASMSTART
	v_dot2c_f32_f16 v55, v20, v4
	;;#ASMEND
	s_waitcnt vmcnt(0)
	;;#ASMSTART
	v_dot2c_f32_f16 v54, v20, v0
	;;#ASMEND
	;;#ASMSTART
	v_dot2c_f32_f16 v53, v8, v4
	;;#ASMEND
	;; [unrolled: 3-line block ×6, first 2 shown]
	s_nop 0
	;;#ASMSTART
	v_dot2c_f32_f16 v54, v21, v1
	;;#ASMEND
	;;#ASMSTART
	v_dot2c_f32_f16 v53, v9, v5
	;;#ASMEND
	;; [unrolled: 3-line block ×5, first 2 shown]
	s_addk_i32 s29, 0x200
	;;#ASMSTART
	v_dot2c_f32_f16 v55, v22, v6
	;;#ASMEND
	;;#ASMSTART
	v_dot2c_f32_f16 v54, v22, v2
	;;#ASMEND
	;; [unrolled: 3-line block ×6, first 2 shown]
	s_cmp_ge_u32 s29, s4
	v_add_u32_e32 v56, 0x400, v56
	;;#ASMSTART
	v_dot2c_f32_f16 v55, v23, v7
	;;#ASMEND
	;;#ASMSTART
	v_dot2c_f32_f16 v54, v23, v3
	;;#ASMEND
	;; [unrolled: 3-line block ×6, first 2 shown]
	s_cbranch_scc1 .LBB71_21
.LBB71_18:                              ;   Parent Loop BB71_14 Depth=1
                                        ; =>  This Inner Loop Header: Depth=2
	v_add_u32_e32 v20, s29, v48
	v_min_u32_e32 v34, s24, v20
	v_lshl_add_u64 v[0:1], v[34:35], 1, s[14:15]
	v_add_u32_e32 v57, 0x100, v20
	v_lshl_add_u64 v[2:3], v[0:1], 0, v[36:37]
	v_lshl_add_u64 v[0:1], v[0:1], 0, v[38:39]
	v_min_u32_e32 v34, s24, v57
	global_load_dwordx4 v[16:19], v[2:3], off nt
	global_load_dwordx4 v[12:15], v[0:1], off nt
	v_lshl_add_u64 v[0:1], v[34:35], 1, s[14:15]
	v_lshl_add_u64 v[8:9], v[0:1], 0, v[36:37]
	;; [unrolled: 1-line block ×3, first 2 shown]
	global_load_dwordx4 v[4:7], v[8:9], off nt
	global_load_dwordx4 v[0:3], v[10:11], off nt
	v_cmp_gt_u32_e32 vcc, s4, v20
	v_mov_b32_e32 v28, 0
	v_mov_b32_e32 v29, 0
	;; [unrolled: 1-line block ×24, first 2 shown]
	s_and_saveexec_b64 s[20:21], vcc
	s_cbranch_execz .LBB71_17
; %bb.19:                               ;   in Loop: Header=BB71_18 Depth=2
	v_add_u32_e32 v58, s6, v56
	v_add_u32_e32 v34, s28, v56
	ds_read_b128 v[24:27], v58
	ds_read2_b32 v[44:45], v34 offset1:1
	ds_read_b128 v[28:31], v56
	ds_read2_b32 v[46:47], v34 offset0:2 offset1:3
	v_cmp_gt_u32_e32 vcc, s4, v57
	v_mov_b32_e32 v41, 0
	v_mov_b32_e32 v40, 0
	;; [unrolled: 1-line block ×12, first 2 shown]
	s_and_saveexec_b64 s[22:23], vcc
	s_cbranch_execz .LBB71_16
; %bb.20:                               ;   in Loop: Header=BB71_18 Depth=2
	ds_read_b128 v[8:11], v58 offset:512
	ds_read2_b32 v[42:43], v34 offset0:128 offset1:129
	ds_read_b128 v[20:23], v56 offset:512
	ds_read2_b32 v[40:41], v34 offset0:130 offset1:131
	s_branch .LBB71_16
.LBB71_21:                              ;   in Loop: Header=BB71_14 Depth=1
	; sched_barrier mask(0x00000000)
	v_cvt_i32_f32_e32 v0, v55
	v_cvt_i32_f32_e32 v1, v54
	;; [unrolled: 1-line block ×4, first 2 shown]
	v_cvt_f32_i32_dpp v0, v0 row_shr:8 row_mask:0xf bank_mask:0xf bound_ctrl:1
	v_cvt_f32_i32_dpp v1, v1 row_shr:8 row_mask:0xf bank_mask:0xf bound_ctrl:1
	;; [unrolled: 1-line block ×4, first 2 shown]
	v_add_f32_e32 v0, v55, v0
	v_add_f32_e32 v1, v54, v1
	v_cvt_i32_f32_e32 v2, v0
	v_cvt_i32_f32_e32 v3, v1
	v_add_f32_e32 v4, v53, v4
	v_cvt_i32_f32_e32 v6, v4
	v_cvt_f32_i32_dpp v2, v2 row_shr:4 row_mask:0xf bank_mask:0xf bound_ctrl:1
	v_cvt_f32_i32_dpp v3, v3 row_shr:4 row_mask:0xf bank_mask:0xf bound_ctrl:1
	v_add_f32_e32 v5, v52, v5
	v_cvt_f32_i32_dpp v6, v6 row_shr:4 row_mask:0xf bank_mask:0xf bound_ctrl:1
	v_add_f32_e32 v0, v0, v2
	v_add_f32_e32 v1, v1, v3
	v_cvt_i32_f32_e32 v2, v0
	v_cvt_i32_f32_e32 v3, v1
	v_add_f32_e32 v4, v4, v6
	v_cvt_i32_f32_e32 v6, v4
	v_cvt_f32_i32_dpp v2, v2 row_shr:2 row_mask:0xf bank_mask:0xf bound_ctrl:1
	v_cvt_f32_i32_dpp v3, v3 row_shr:2 row_mask:0xf bank_mask:0xf bound_ctrl:1
	v_cvt_i32_f32_e32 v7, v5
	v_cvt_f32_i32_dpp v6, v6 row_shr:2 row_mask:0xf bank_mask:0xf bound_ctrl:1
	v_add_f32_e32 v0, v0, v2
	v_add_f32_e32 v1, v1, v3
	v_cvt_i32_f32_e32 v2, v0
	v_cvt_i32_f32_e32 v3, v1
	v_add_f32_e32 v4, v4, v6
	v_cvt_i32_f32_e32 v6, v4
	v_cvt_f32_i32_dpp v2, v2 row_shr:1 row_mask:0xf bank_mask:0xf bound_ctrl:1
	v_cvt_f32_i32_dpp v3, v3 row_shr:1 row_mask:0xf bank_mask:0xf bound_ctrl:1
	;; [unrolled: 1-line block ×4, first 2 shown]
	v_add_f32_e32 v0, v0, v2
	v_add_f32_e32 v1, v1, v3
	v_cvt_i32_f32_e32 v2, v0
	v_cvt_i32_f32_e32 v3, v1
	v_add_f32_e32 v5, v5, v7
	v_cvt_i32_f32_e32 v7, v51
	v_cvt_f32_i32_dpp v2, v2 row_bcast:15 row_mask:0xf bank_mask:0xf bound_ctrl:1
	v_cvt_f32_i32_dpp v3, v3 row_bcast:15 row_mask:0xf bank_mask:0xf bound_ctrl:1
	v_add_f32_e32 v4, v4, v6
	v_cvt_f32_i32_dpp v6, v7 row_shr:8 row_mask:0xf bank_mask:0xf bound_ctrl:1
	v_add_f32_e32 v0, v0, v2
	v_add_f32_e32 v1, v1, v3
	v_cvt_i32_f32_e32 v2, v0
	v_cvt_i32_f32_e32 v8, v1
	;; [unrolled: 1-line block ×3, first 2 shown]
	v_add_f32_e32 v6, v51, v6
	v_mov_b32_dpp v3, v2 row_bcast:31 row_mask:0xf bank_mask:0xf bound_ctrl:1
	v_mov_b32_dpp v2, v8 row_bcast:31 row_mask:0xf bank_mask:0xf bound_ctrl:1
	v_cvt_i32_f32_e32 v8, v33
	v_cvt_f32_i32_dpp v7, v9 row_shr:2 row_mask:0xf bank_mask:0xf bound_ctrl:1
	v_cvt_i32_f32_e32 v10, v6
	v_cvt_i32_f32_e32 v11, v4
	v_cvt_f32_i32_dpp v8, v8 row_shr:8 row_mask:0xf bank_mask:0xf bound_ctrl:1
	v_add_f32_e32 v5, v5, v7
	v_cvt_f32_i32_dpp v7, v10 row_shr:4 row_mask:0xf bank_mask:0xf bound_ctrl:1
	v_cvt_i32_f32_e32 v10, v5
	v_add_f32_e32 v8, v33, v8
	v_cvt_i32_f32_e32 v9, v8
	v_add_f32_e32 v6, v6, v7
	v_cvt_i32_f32_e32 v7, v6
	v_cvt_f32_i32_dpp v10, v10 row_shr:1 row_mask:0xf bank_mask:0xf bound_ctrl:1
	v_cvt_f32_i32_dpp v9, v9 row_shr:4 row_mask:0xf bank_mask:0xf bound_ctrl:1
	v_cvt_f32_i32_dpp v11, v11 row_bcast:15 row_mask:0xf bank_mask:0xf bound_ctrl:1
	v_cvt_f32_i32_dpp v7, v7 row_shr:2 row_mask:0xf bank_mask:0xf bound_ctrl:1
	v_add_f32_e32 v10, v5, v10
	v_add_f32_e32 v8, v8, v9
	v_cvt_i32_f32_e32 v9, v8
	v_add_f32_e32 v6, v6, v7
	v_cvt_i32_f32_e32 v7, v6
	v_cvt_f32_i32_dpp v9, v9 row_shr:2 row_mask:0xf bank_mask:0xf bound_ctrl:1
	v_add_f32_e32 v8, v8, v9
	v_cvt_i32_f32_e32 v5, v8
	v_cvt_i32_f32_e32 v9, v10
	s_nop 0
	v_cvt_f32_i32_dpp v12, v5 row_shr:1 row_mask:0xf bank_mask:0xf bound_ctrl:1
	v_add_f32_e32 v5, v4, v11
	v_cvt_f32_i32_dpp v4, v7 row_shr:1 row_mask:0xf bank_mask:0xf bound_ctrl:1
	v_cvt_f32_i32_dpp v7, v9 row_bcast:15 row_mask:0xf bank_mask:0xf bound_ctrl:1
	v_add_f32_e32 v8, v8, v12
	v_cvt_i32_f32_e32 v9, v8
	v_add_f32_e32 v4, v6, v4
	v_cvt_i32_f32_e32 v6, v4
	v_add_f32_e32 v7, v10, v7
	v_cvt_f32_i32_dpp v9, v9 row_bcast:15 row_mask:0xf bank_mask:0xf bound_ctrl:1
	v_cvt_i32_f32_e32 v11, v5
	v_cvt_f32_i32_dpp v10, v6 row_bcast:15 row_mask:0xf bank_mask:0xf bound_ctrl:1
	v_cvt_i32_f32_e32 v12, v7
	v_add_f32_e32 v6, v8, v9
	v_cvt_i32_f32_e32 v8, v6
	v_add_f32_e32 v4, v4, v10
	v_cvt_i32_f32_e32 v13, v4
	v_mov_b32_dpp v11, v11 row_bcast:31 row_mask:0xf bank_mask:0xf bound_ctrl:1
	v_mov_b32_dpp v10, v12 row_bcast:31 row_mask:0xf bank_mask:0xf bound_ctrl:1
	;; [unrolled: 1-line block ×4, first 2 shown]
	s_and_saveexec_b64 s[20:21], s[0:1]
	s_cbranch_execz .LBB71_13
; %bb.22:                               ;   in Loop: Header=BB71_14 Depth=1
	s_and_b64 vcc, exec, s[18:19]
	s_cbranch_vccz .LBB71_24
; %bb.23:                               ;   in Loop: Header=BB71_14 Depth=1
	v_mul_hi_u32 v12, v32, v49
	v_mul_lo_u32 v12, v12, s12
	v_sub_u32_e32 v12, v32, v12
	v_subrev_u32_e32 v13, s12, v12
	v_cmp_le_u32_e32 vcc, s12, v12
	v_mov_b32_e32 v15, v35
	v_mov_b32_e32 v33, v35
	v_cndmask_b32_e32 v12, v12, v13, vcc
	v_subrev_u32_e32 v13, s12, v12
	v_cmp_le_u32_e32 vcc, s12, v12
	s_nop 1
	v_cndmask_b32_e32 v34, v12, v13, vcc
	v_or_b32_e32 v12, 1, v32
	v_mul_hi_u32 v13, v12, v49
	v_mul_lo_u32 v13, v13, s12
	v_sub_u32_e32 v12, v12, v13
	v_subrev_u32_e32 v13, s12, v12
	v_cmp_le_u32_e32 vcc, s12, v12
	v_lshl_add_u64 v[18:19], v[34:35], 1, s[8:9]
	v_add_u32_e32 v14, s26, v34
	v_cndmask_b32_e32 v12, v12, v13, vcc
	v_subrev_u32_e32 v13, s12, v12
	v_cmp_le_u32_e32 vcc, s12, v12
	v_add_u32_e32 v34, s27, v34
	v_lshl_add_u64 v[22:23], v[14:15], 1, s[8:9]
	v_cndmask_b32_e32 v12, v12, v13, vcc
	v_mov_b32_e32 v13, v35
	v_add_u32_e32 v14, s26, v12
	v_lshl_add_u64 v[26:27], v[34:35], 1, s[8:9]
	v_add_u32_e32 v34, s27, v12
	v_lshl_add_u64 v[20:21], v[12:13], 1, s[8:9]
	v_lshl_add_u64 v[24:25], v[14:15], 1, s[8:9]
	;; [unrolled: 1-line block ×3, first 2 shown]
	global_load_ushort v17, v[18:19], off
	global_load_ushort v16, v[20:21], off
	;; [unrolled: 1-line block ×6, first 2 shown]
	s_cbranch_execnz .LBB71_12
	s_branch .LBB71_25
.LBB71_24:                              ;   in Loop: Header=BB71_14 Depth=1
                                        ; implicit-def: $vgpr12
                                        ; implicit-def: $vgpr13
                                        ; implicit-def: $vgpr14
                                        ; implicit-def: $vgpr15
                                        ; implicit-def: $vgpr16
                                        ; implicit-def: $vgpr17
.LBB71_25:                              ;   in Loop: Header=BB71_14 Depth=1
	v_mov_b32_e32 v33, v35
	s_waitcnt vmcnt(5)
	v_mov_b32_e32 v17, 0
	s_waitcnt vmcnt(4)
	;; [unrolled: 2-line block ×6, first 2 shown]
	v_mov_b32_e32 v12, 0
	s_branch .LBB71_12
.LBB71_26:
	s_endpgm
	.section	.rodata,"a",@progbits
	.p2align	6, 0x0
	.amdhsa_kernel _Z16wvSplitK_hf_sml_I6__halfLi32ELi2ELi16ELi8ELi2ELi3EEviiiiiiPKT_S3_S3_PS1_ii
		.amdhsa_group_segment_fixed_size 65536
		.amdhsa_private_segment_fixed_size 0
		.amdhsa_kernarg_size 64
		.amdhsa_user_sgpr_count 2
		.amdhsa_user_sgpr_dispatch_ptr 0
		.amdhsa_user_sgpr_queue_ptr 0
		.amdhsa_user_sgpr_kernarg_segment_ptr 1
		.amdhsa_user_sgpr_dispatch_id 0
		.amdhsa_user_sgpr_kernarg_preload_length 0
		.amdhsa_user_sgpr_kernarg_preload_offset 0
		.amdhsa_user_sgpr_private_segment_size 0
		.amdhsa_uses_dynamic_stack 0
		.amdhsa_enable_private_segment 0
		.amdhsa_system_sgpr_workgroup_id_x 1
		.amdhsa_system_sgpr_workgroup_id_y 0
		.amdhsa_system_sgpr_workgroup_id_z 0
		.amdhsa_system_sgpr_workgroup_info 0
		.amdhsa_system_vgpr_workitem_id 1
		.amdhsa_next_free_vgpr 59
		.amdhsa_next_free_sgpr 30
		.amdhsa_accum_offset 60
		.amdhsa_reserve_vcc 1
		.amdhsa_float_round_mode_32 0
		.amdhsa_float_round_mode_16_64 0
		.amdhsa_float_denorm_mode_32 3
		.amdhsa_float_denorm_mode_16_64 3
		.amdhsa_dx10_clamp 1
		.amdhsa_ieee_mode 1
		.amdhsa_fp16_overflow 0
		.amdhsa_tg_split 0
		.amdhsa_exception_fp_ieee_invalid_op 0
		.amdhsa_exception_fp_denorm_src 0
		.amdhsa_exception_fp_ieee_div_zero 0
		.amdhsa_exception_fp_ieee_overflow 0
		.amdhsa_exception_fp_ieee_underflow 0
		.amdhsa_exception_fp_ieee_inexact 0
		.amdhsa_exception_int_div_zero 0
	.end_amdhsa_kernel
	.section	.text._Z16wvSplitK_hf_sml_I6__halfLi32ELi2ELi16ELi8ELi2ELi3EEviiiiiiPKT_S3_S3_PS1_ii,"axG",@progbits,_Z16wvSplitK_hf_sml_I6__halfLi32ELi2ELi16ELi8ELi2ELi3EEviiiiiiPKT_S3_S3_PS1_ii,comdat
.Lfunc_end71:
	.size	_Z16wvSplitK_hf_sml_I6__halfLi32ELi2ELi16ELi8ELi2ELi3EEviiiiiiPKT_S3_S3_PS1_ii, .Lfunc_end71-_Z16wvSplitK_hf_sml_I6__halfLi32ELi2ELi16ELi8ELi2ELi3EEviiiiiiPKT_S3_S3_PS1_ii
                                        ; -- End function
	.section	.AMDGPU.csdata,"",@progbits
; Kernel info:
; codeLenInByte = 2884
; NumSgprs: 36
; NumVgprs: 59
; NumAgprs: 0
; TotalNumVgprs: 59
; ScratchSize: 0
; MemoryBound: 0
; FloatMode: 240
; IeeeMode: 1
; LDSByteSize: 65536 bytes/workgroup (compile time only)
; SGPRBlocks: 4
; VGPRBlocks: 7
; NumSGPRsForWavesPerEU: 36
; NumVGPRsForWavesPerEU: 59
; AccumOffset: 60
; Occupancy: 2
; WaveLimiterHint : 0
; COMPUTE_PGM_RSRC2:SCRATCH_EN: 0
; COMPUTE_PGM_RSRC2:USER_SGPR: 2
; COMPUTE_PGM_RSRC2:TRAP_HANDLER: 0
; COMPUTE_PGM_RSRC2:TGID_X_EN: 1
; COMPUTE_PGM_RSRC2:TGID_Y_EN: 0
; COMPUTE_PGM_RSRC2:TGID_Z_EN: 0
; COMPUTE_PGM_RSRC2:TIDIG_COMP_CNT: 1
; COMPUTE_PGM_RSRC3_GFX90A:ACCUM_OFFSET: 14
; COMPUTE_PGM_RSRC3_GFX90A:TG_SPLIT: 0
	.section	.text._Z12wvSplitK_hf_I6__halfLi32ELi2ELi16ELi8ELi2ELi3EEviiiiiiPKT_S3_S3_PS1_ii,"axG",@progbits,_Z12wvSplitK_hf_I6__halfLi32ELi2ELi16ELi8ELi2ELi3EEviiiiiiPKT_S3_S3_PS1_ii,comdat
	.protected	_Z12wvSplitK_hf_I6__halfLi32ELi2ELi16ELi8ELi2ELi3EEviiiiiiPKT_S3_S3_PS1_ii ; -- Begin function _Z12wvSplitK_hf_I6__halfLi32ELi2ELi16ELi8ELi2ELi3EEviiiiiiPKT_S3_S3_PS1_ii
	.globl	_Z12wvSplitK_hf_I6__halfLi32ELi2ELi16ELi8ELi2ELi3EEviiiiiiPKT_S3_S3_PS1_ii
	.p2align	8
	.type	_Z12wvSplitK_hf_I6__halfLi32ELi2ELi16ELi8ELi2ELi3EEviiiiiiPKT_S3_S3_PS1_ii,@function
_Z12wvSplitK_hf_I6__halfLi32ELi2ELi16ELi8ELi2ELi3EEviiiiiiPKT_S3_S3_PS1_ii: ; @_Z12wvSplitK_hf_I6__halfLi32ELi2ELi16ELi8ELi2ELi3EEviiiiiiPKT_S3_S3_PS1_ii
; %bb.0:
	s_load_dwordx2 s[4:5], s[0:1], 0x38
	s_load_dwordx2 s[6:7], s[0:1], 0x20
	s_load_dwordx4 s[8:11], s[0:1], 0x0
	s_load_dwordx2 s[16:17], s[0:1], 0x10
	v_bfe_u32 v4, v0, 10, 10
	s_waitcnt lgkmcnt(0)
	s_mul_i32 s2, s2, s4
	v_add_lshl_u32 v42, s2, v4, 1
	s_mov_b32 s12, 1
	v_add_u32_e32 v1, 2, v42
	v_cmp_gt_u32_e32 vcc, s11, v42
	v_cmp_le_u32_e64 s[2:3], s11, v1
	s_mov_b32 s13, s12
	s_and_b64 s[14:15], vcc, s[2:3]
	v_mov_b64_e32 v[40:41], s[12:13]
	s_and_saveexec_b64 s[2:3], s[14:15]
	s_cbranch_execz .LBB72_6
; %bb.1:
	s_add_i32 s22, s11, -2
	v_cmp_ne_u32_e32 vcc, s22, v42
	v_mov_b64_e32 v[40:41], s[12:13]
	s_and_saveexec_b64 s[12:13], vcc
	s_cbranch_execz .LBB72_5
; %bb.2:
	v_subrev_u32_e32 v1, s22, v42
	s_mov_b32 s14, 1
	v_cmp_lt_u32_e32 vcc, 1, v1
	s_mov_b64 s[18:19], 0
	s_mov_b64 s[20:21], 0
	v_cndmask_b32_e32 v2, 1, v1, vcc
	s_mov_b32 s15, s14
.LBB72_3:                               ; =>This Inner Loop Header: Depth=1
	s_cmp_lg_u32 s20, 1
	s_cselect_b32 s15, s15, 0
	s_cmp_lg_u32 s20, 0
	s_cselect_b32 s14, s14, 0
	s_add_u32 s20, s20, 1
	s_addc_u32 s21, s21, 0
	v_cmp_eq_u32_e32 vcc, s20, v2
	s_or_b64 s[18:19], vcc, s[18:19]
	v_mov_b64_e32 v[40:41], s[14:15]
	s_andn2_b64 exec, exec, s[18:19]
	s_cbranch_execnz .LBB72_3
; %bb.4:
	s_or_b64 exec, exec, s[18:19]
	v_mov_b32_e32 v42, s22
.LBB72_5:
	s_or_b64 exec, exec, s[12:13]
.LBB72_6:
	s_or_b64 exec, exec, s[2:3]
	v_and_b32_e32 v5, 0x3ff, v0
	v_lshlrev_b32_e32 v56, 3, v5
	s_mul_i32 s2, s10, 3
	v_lshl_add_u32 v6, v4, 8, v56
	s_min_u32 s12, s2, 0x8000
	v_cmp_gt_u32_e32 vcc, s12, v6
	s_and_saveexec_b64 s[2:3], vcc
	s_cbranch_execz .LBB72_15
; %bb.7:
	v_lshlrev_b32_e32 v0, 1, v6
	global_load_dwordx4 v[8:11], v0, s[6:7]
	v_add_u32_e32 v1, 0x1000, v6
	v_cmp_gt_u32_e32 vcc, s12, v1
	s_waitcnt vmcnt(0)
	ds_write_b128 v0, v[8:11]
	s_and_saveexec_b64 s[14:15], vcc
	s_xor_b64 s[14:15], exec, s[14:15]
	s_cbranch_execz .LBB72_15
; %bb.8:
	v_mov_b32_e32 v1, 0
	v_lshl_add_u64 v[2:3], s[6:7], 0, v[0:1]
	v_add_co_u32_e32 v8, vcc, 0x2000, v2
	v_add_u32_e32 v1, 0x2000, v6
	s_nop 0
	v_addc_co_u32_e32 v9, vcc, 0, v3, vcc
	global_load_dwordx4 v[8:11], v[8:9], off
	v_cmp_gt_u32_e32 vcc, s12, v1
	s_waitcnt vmcnt(0)
	ds_write_b128 v0, v[8:11] offset:8192
	s_and_saveexec_b64 s[14:15], vcc
	s_xor_b64 s[14:15], exec, s[14:15]
	s_cbranch_execz .LBB72_15
; %bb.9:
	v_add_co_u32_e32 v8, vcc, 0x4000, v2
	v_add_u32_e32 v1, 0x3000, v6
	s_nop 0
	v_addc_co_u32_e32 v9, vcc, 0, v3, vcc
	global_load_dwordx4 v[8:11], v[8:9], off
	v_cmp_gt_u32_e32 vcc, s12, v1
	s_waitcnt vmcnt(0)
	ds_write_b128 v0, v[8:11] offset:16384
	s_and_saveexec_b64 s[14:15], vcc
	s_xor_b64 s[14:15], exec, s[14:15]
	s_cbranch_execz .LBB72_15
; %bb.10:
	;; [unrolled: 12-line block ×6, first 2 shown]
	v_add_co_u32_e32 v2, vcc, 0xe000, v2
	s_nop 1
	v_addc_co_u32_e32 v3, vcc, 0, v3, vcc
	global_load_dwordx4 v[6:9], v[2:3], off
	s_waitcnt vmcnt(0)
	ds_write_b128 v0, v[6:9] offset:57344
.LBB72_15:
	s_or_b64 exec, exec, s[2:3]
	v_cmp_gt_u32_e32 vcc, s4, v4
	v_cmp_gt_u32_e64 s[2:3], s11, v42
	s_and_b64 s[2:3], vcc, s[2:3]
	s_waitcnt lgkmcnt(0)
	s_barrier
	s_and_saveexec_b64 s[12:13], s[2:3]
	s_cbranch_execz .LBB72_70
; %bb.16:
	s_load_dwordx4 s[12:15], s[0:1], 0x28
	s_load_dwordx2 s[18:19], s[0:1], 0x18
	s_cmp_lg_u32 s8, 0
	s_cselect_b64 s[2:3], -1, 0
	s_add_i32 s33, s8, -8
	s_add_i32 s36, s11, -1
	s_mul_i32 s4, s4, s5
	s_waitcnt lgkmcnt(0)
	s_cmp_lg_u64 s[12:13], 0
	s_cselect_b64 s[22:23], -1, 0
	s_lshl_b32 s37, s4, 1
	s_abs_i32 s4, s17
	v_cvt_f32_u32_e32 v0, s16
	v_cvt_f32_u32_e32 v1, s4
	s_sub_i32 s5, 0, s16
	s_add_i32 s17, s11, -2
	v_rcp_iflag_f32_e32 v0, v0
	v_rcp_iflag_f32_e32 v1, v1
	v_cmp_eq_u32_e64 s[0:1], 31, v5
	s_mov_b64 s[20:21], 0
	v_mul_f32_e32 v0, 0x4f7ffffe, v0
	v_mul_f32_e32 v1, 0x4f7ffffe, v1
	v_cvt_u32_f32_e32 v0, v0
	v_cvt_u32_f32_e32 v1, v1
	v_mov_b32_e32 v45, 0
	v_lshlrev_b32_e32 v58, 4, v5
	v_mul_lo_u32 v2, s5, v0
	s_sub_i32 s5, 0, s4
	v_readfirstlane_b32 s24, v1
	s_mul_i32 s5, s5, s24
	s_mul_hi_u32 s5, s24, s5
	s_add_i32 s24, s24, s5
	s_sub_i32 s5, 1, s4
	s_cmp_lt_u32 s4, 2
	s_cselect_b32 s5, s5, 1
	s_sub_i32 s25, s5, s4
	s_cmp_ge_u32 s5, s4
	s_cselect_b32 s38, s25, s5
	s_lshr_b32 s5, s24, 31
	s_mul_i32 s5, s5, s4
	s_sub_i32 s5, 2, s5
	s_sub_i32 s24, s5, s4
	s_cmp_ge_u32 s5, s4
	s_cselect_b32 s5, s24, s5
	s_sub_i32 s24, s5, s4
	v_mul_hi_u32 v2, v0, v2
	s_cmp_ge_u32 s5, s4
	v_add_u32_e32 v57, v0, v2
	s_cselect_b32 s39, s24, s5
	s_lshl_b32 s40, s10, 1
	v_cndmask_b32_e64 v0, 0, 1, s[2:3]
	s_mul_i32 s38, s38, s16
	s_mul_i32 s39, s39, s16
	s_lshl_b32 s41, s10, 2
	v_add_u32_e32 v59, s40, v56
	v_add_u32_e32 v60, s10, v56
	v_cmp_ne_u32_e64 s[2:3], 1, v0
	s_movk_i32 s10, 0x7fff
	s_mov_b32 s24, 0
	s_branch .LBB72_19
.LBB72_17:                              ;   in Loop: Header=BB72_19 Depth=1
	s_or_b64 exec, exec, s[28:29]
	v_mov_b32_e32 v42, s17
.LBB72_18:                              ;   in Loop: Header=BB72_19 Depth=1
	s_or_b64 exec, exec, s[26:27]
	v_cmp_le_u32_e32 vcc, s11, v42
	s_or_b64 s[20:21], vcc, s[20:21]
	s_andn2_b64 exec, exec, s[20:21]
	s_cbranch_execz .LBB72_70
.LBB72_19:                              ; =>This Loop Header: Depth=1
                                        ;     Child Loop BB72_24 Depth 2
                                        ;     Child Loop BB72_63 Depth 2
	s_and_b64 vcc, exec, s[2:3]
	v_add_u32_e32 v46, 1, v42
	v_mov_b32_e32 v64, v45
	v_mov_b32_e32 v63, v45
	;; [unrolled: 1-line block ×6, first 2 shown]
	s_cbranch_vccnz .LBB72_50
; %bb.20:                               ;   in Loop: Header=BB72_19 Depth=1
	v_min_u32_e32 v0, s36, v42
	v_mul_lo_u32 v44, v0, s9
	v_min_u32_e32 v0, s36, v46
	v_mul_lo_u32 v0, v0, s9
	v_mov_b32_e32 v1, v45
	v_mov_b32_e32 v43, 0
	v_lshlrev_b64 v[48:49], 1, v[44:45]
	v_lshlrev_b64 v[50:51], 1, v[0:1]
	v_mov_b32_e32 v65, v58
	v_mov_b32_e32 v47, 0
	;; [unrolled: 1-line block ×6, first 2 shown]
	s_mov_b32 s30, s24
	s_branch .LBB72_24
.LBB72_21:                              ;   in Loop: Header=BB72_24 Depth=2
	s_or_b64 exec, exec, s[28:29]
.LBB72_22:                              ;   in Loop: Header=BB72_24 Depth=2
	s_or_b64 exec, exec, s[26:27]
.LBB72_23:                              ;   in Loop: Header=BB72_24 Depth=2
	s_or_b64 exec, exec, s[4:5]
	s_waitcnt vmcnt(0) lgkmcnt(0)
	;;#ASMSTART
	v_dot2c_f32_f16 v64, v24, v12
	;;#ASMEND
	;;#ASMSTART
	v_dot2c_f32_f16 v63, v24, v8
	;;#ASMEND
	;;#ASMSTART
	v_dot2c_f32_f16 v62, v20, v12
	;;#ASMEND
	;;#ASMSTART
	v_dot2c_f32_f16 v61, v20, v8
	;;#ASMEND
	;;#ASMSTART
	v_dot2c_f32_f16 v43, v16, v12
	;;#ASMEND
	;;#ASMSTART
	v_dot2c_f32_f16 v47, v16, v8
	;;#ASMEND
	s_nop 0
	;;#ASMSTART
	v_dot2c_f32_f16 v64, v25, v13
	;;#ASMEND
	;;#ASMSTART
	v_dot2c_f32_f16 v63, v25, v9
	;;#ASMEND
	;;#ASMSTART
	v_dot2c_f32_f16 v62, v21, v13
	;;#ASMEND
	;;#ASMSTART
	v_dot2c_f32_f16 v61, v21, v9
	;;#ASMEND
	;;#ASMSTART
	v_dot2c_f32_f16 v43, v17, v13
	;;#ASMEND
	;;#ASMSTART
	v_dot2c_f32_f16 v47, v17, v9
	;;#ASMEND
	s_nop 0
	;; [unrolled: 19-line block ×5, first 2 shown]
	;;#ASMSTART
	v_dot2c_f32_f16 v64, v37, v5
	;;#ASMEND
	;;#ASMSTART
	v_dot2c_f32_f16 v63, v37, v1
	;;#ASMEND
	;; [unrolled: 3-line block ×6, first 2 shown]
	s_addk_i32 s30, 0x200
	;;#ASMSTART
	v_dot2c_f32_f16 v64, v38, v6
	;;#ASMEND
	;;#ASMSTART
	v_dot2c_f32_f16 v63, v38, v2
	;;#ASMEND
	;; [unrolled: 3-line block ×6, first 2 shown]
	s_cmp_ge_u32 s30, s8
	v_add_u32_e32 v65, 0x400, v65
	;;#ASMSTART
	v_dot2c_f32_f16 v64, v39, v7
	;;#ASMEND
	;;#ASMSTART
	v_dot2c_f32_f16 v63, v39, v3
	;;#ASMEND
	;; [unrolled: 3-line block ×6, first 2 shown]
	s_cbranch_scc1 .LBB72_50
.LBB72_24:                              ;   Parent Loop BB72_19 Depth=1
                                        ; =>  This Inner Loop Header: Depth=2
	v_add_u32_e32 v54, s30, v56
	v_min_u32_e32 v44, s33, v54
	v_lshl_add_u64 v[0:1], v[44:45], 1, s[18:19]
	v_add_u32_e32 v52, 0x100, v54
	v_lshl_add_u64 v[2:3], v[0:1], 0, v[48:49]
	v_lshl_add_u64 v[0:1], v[0:1], 0, v[50:51]
	v_min_u32_e32 v44, s33, v52
	global_load_dwordx4 v[12:15], v[2:3], off nt
	global_load_dwordx4 v[8:11], v[0:1], off nt
	v_lshl_add_u64 v[0:1], v[44:45], 1, s[18:19]
	s_waitcnt vmcnt(6)
	v_lshl_add_u64 v[16:17], v[0:1], 0, v[48:49]
	v_lshl_add_u64 v[18:19], v[0:1], 0, v[50:51]
	global_load_dwordx4 v[4:7], v[16:17], off nt
	global_load_dwordx4 v[0:3], v[18:19], off nt
	s_mov_b32 s25, s24
	v_cmp_gt_u32_e32 vcc, s8, v54
	v_mov_b64_e32 v[30:31], s[24:25]
	v_mov_b32_e32 v35, 0
	v_mov_b32_e32 v34, 0
	;; [unrolled: 1-line block ×4, first 2 shown]
	v_mov_b64_e32 v[28:29], s[24:25]
	v_mov_b64_e32 v[38:39], s[24:25]
	;; [unrolled: 1-line block ×9, first 2 shown]
	s_and_saveexec_b64 s[4:5], vcc
	s_cbranch_execz .LBB72_23
; %bb.25:                               ;   in Loop: Header=BB72_24 Depth=2
	v_cmp_lt_u32_e32 vcc, s10, v54
                                        ; implicit-def: $vgpr26_vgpr27
	s_and_saveexec_b64 s[26:27], vcc
	s_xor_b64 s[26:27], exec, s[26:27]
	s_cbranch_execz .LBB72_27
; %bb.26:                               ;   in Loop: Header=BB72_24 Depth=2
	v_mov_b32_e32 v55, v45
	v_lshl_add_u64 v[16:17], v[54:55], 1, s[6:7]
	global_load_dwordx4 v[24:27], v[16:17], off
.LBB72_27:                              ;   in Loop: Header=BB72_24 Depth=2
	s_andn2_saveexec_b64 s[26:27], s[26:27]
	s_cbranch_execz .LBB72_29
; %bb.28:                               ;   in Loop: Header=BB72_24 Depth=2
	s_waitcnt vmcnt(0)
	ds_read_b128 v[24:27], v65
.LBB72_29:                              ;   in Loop: Header=BB72_24 Depth=2
	s_or_b64 exec, exec, s[26:27]
	v_add_u32_e32 v44, s30, v60
	v_cmp_lt_u32_e32 vcc, s10, v44
                                        ; implicit-def: $vgpr22_vgpr23
	s_and_saveexec_b64 s[26:27], vcc
	s_xor_b64 s[26:27], exec, s[26:27]
	s_cbranch_execz .LBB72_31
; %bb.30:                               ;   in Loop: Header=BB72_24 Depth=2
	v_lshl_add_u64 v[16:17], v[44:45], 1, s[6:7]
	global_load_dwordx4 v[20:23], v[16:17], off
.LBB72_31:                              ;   in Loop: Header=BB72_24 Depth=2
	s_andn2_saveexec_b64 s[26:27], s[26:27]
	s_cbranch_execz .LBB72_33
; %bb.32:                               ;   in Loop: Header=BB72_24 Depth=2
	v_add_u32_e32 v16, s40, v65
	s_waitcnt vmcnt(0)
	ds_read_b128 v[20:23], v16
.LBB72_33:                              ;   in Loop: Header=BB72_24 Depth=2
	s_or_b64 exec, exec, s[26:27]
	v_add_u32_e32 v54, s30, v59
	v_cmp_lt_u32_e32 vcc, s10, v54
                                        ; implicit-def: $vgpr18_vgpr19
	s_and_saveexec_b64 s[26:27], vcc
	s_xor_b64 s[26:27], exec, s[26:27]
	s_cbranch_execz .LBB72_35
; %bb.34:                               ;   in Loop: Header=BB72_24 Depth=2
	v_mov_b32_e32 v55, v45
	v_lshl_add_u64 v[16:17], v[54:55], 1, s[6:7]
	global_load_dwordx4 v[16:19], v[16:17], off
.LBB72_35:                              ;   in Loop: Header=BB72_24 Depth=2
	s_andn2_saveexec_b64 s[26:27], s[26:27]
	s_cbranch_execz .LBB72_37
; %bb.36:                               ;   in Loop: Header=BB72_24 Depth=2
	s_waitcnt vmcnt(0)
	v_add_u32_e32 v18, s41, v65
	ds_read2_b32 v[16:17], v18 offset1:1
	ds_read2_b32 v[18:19], v18 offset0:2 offset1:3
.LBB72_37:                              ;   in Loop: Header=BB72_24 Depth=2
	s_or_b64 exec, exec, s[26:27]
	s_mov_b32 s25, s24
	v_cmp_gt_u32_e32 vcc, s8, v52
	v_mov_b32_e32 v35, 0
	v_mov_b64_e32 v[30:31], s[24:25]
	v_mov_b32_e32 v34, 0
	v_mov_b32_e32 v33, 0
	;; [unrolled: 1-line block ×3, first 2 shown]
	v_mov_b64_e32 v[28:29], s[24:25]
	v_mov_b64_e32 v[38:39], s[24:25]
	;; [unrolled: 1-line block ×3, first 2 shown]
	s_and_saveexec_b64 s[26:27], vcc
	s_cbranch_execz .LBB72_22
; %bb.38:                               ;   in Loop: Header=BB72_24 Depth=2
	v_cmp_lt_u32_e32 vcc, s10, v52
                                        ; implicit-def: $vgpr38_vgpr39
	s_and_saveexec_b64 s[28:29], vcc
	s_xor_b64 s[28:29], exec, s[28:29]
	s_cbranch_execz .LBB72_40
; %bb.39:                               ;   in Loop: Header=BB72_24 Depth=2
	v_mov_b32_e32 v53, v45
	v_lshl_add_u64 v[28:29], v[52:53], 1, s[6:7]
	global_load_dwordx4 v[36:39], v[28:29], off
.LBB72_40:                              ;   in Loop: Header=BB72_24 Depth=2
	s_andn2_saveexec_b64 s[28:29], s[28:29]
	s_cbranch_execz .LBB72_42
; %bb.41:                               ;   in Loop: Header=BB72_24 Depth=2
	s_waitcnt vmcnt(0)
	ds_read_b128 v[36:39], v65 offset:512
.LBB72_42:                              ;   in Loop: Header=BB72_24 Depth=2
	s_or_b64 exec, exec, s[28:29]
	v_add_u32_e32 v44, 0x100, v44
	v_cmp_lt_u32_e32 vcc, s10, v44
                                        ; implicit-def: $vgpr30_vgpr31
	s_and_saveexec_b64 s[28:29], vcc
	s_xor_b64 s[28:29], exec, s[28:29]
	s_cbranch_execz .LBB72_44
; %bb.43:                               ;   in Loop: Header=BB72_24 Depth=2
	v_lshl_add_u64 v[28:29], v[44:45], 1, s[6:7]
	global_load_dwordx4 v[28:31], v[28:29], off
.LBB72_44:                              ;   in Loop: Header=BB72_24 Depth=2
	s_andn2_saveexec_b64 s[28:29], s[28:29]
	s_cbranch_execz .LBB72_46
; %bb.45:                               ;   in Loop: Header=BB72_24 Depth=2
	s_waitcnt vmcnt(0)
	v_add_u32_e32 v28, s40, v65
	ds_read_b128 v[28:31], v28 offset:512
.LBB72_46:                              ;   in Loop: Header=BB72_24 Depth=2
	s_or_b64 exec, exec, s[28:29]
	v_add_u32_e32 v44, 0x100, v54
	v_cmp_lt_u32_e32 vcc, s10, v44
                                        ; implicit-def: $vgpr35
	s_and_saveexec_b64 s[28:29], vcc
	s_xor_b64 s[28:29], exec, s[28:29]
	s_cbranch_execz .LBB72_48
; %bb.47:                               ;   in Loop: Header=BB72_24 Depth=2
	v_lshl_add_u64 v[32:33], v[44:45], 1, s[6:7]
	global_load_dwordx4 v[32:35], v[32:33], off
.LBB72_48:                              ;   in Loop: Header=BB72_24 Depth=2
	s_andn2_saveexec_b64 s[28:29], s[28:29]
	s_cbranch_execz .LBB72_21
; %bb.49:                               ;   in Loop: Header=BB72_24 Depth=2
	s_waitcnt vmcnt(0)
	v_add_u32_e32 v34, s41, v65
	ds_read2_b32 v[32:33], v34 offset0:128 offset1:129
	ds_read2_b32 v[34:35], v34 offset0:130 offset1:131
	s_branch .LBB72_21
.LBB72_50:                              ;   in Loop: Header=BB72_19 Depth=1
	v_cvt_i32_f32_e32 v0, v64
	v_cvt_i32_f32_e32 v1, v63
	;; [unrolled: 1-line block ×4, first 2 shown]
	v_cvt_f32_i32_dpp v0, v0 row_shr:8 row_mask:0xf bank_mask:0xf bound_ctrl:1
	v_cvt_f32_i32_dpp v1, v1 row_shr:8 row_mask:0xf bank_mask:0xf bound_ctrl:1
	;; [unrolled: 1-line block ×4, first 2 shown]
	v_add_f32_e32 v0, v64, v0
	v_add_f32_e32 v1, v63, v1
	v_cvt_i32_f32_e32 v2, v0
	v_cvt_i32_f32_e32 v3, v1
	v_add_f32_e32 v4, v62, v4
	v_cvt_i32_f32_e32 v6, v4
	v_cvt_f32_i32_dpp v2, v2 row_shr:4 row_mask:0xf bank_mask:0xf bound_ctrl:1
	v_cvt_f32_i32_dpp v3, v3 row_shr:4 row_mask:0xf bank_mask:0xf bound_ctrl:1
	v_add_f32_e32 v5, v61, v5
	v_cvt_f32_i32_dpp v6, v6 row_shr:4 row_mask:0xf bank_mask:0xf bound_ctrl:1
	v_add_f32_e32 v0, v0, v2
	v_add_f32_e32 v1, v1, v3
	v_cvt_i32_f32_e32 v2, v0
	v_cvt_i32_f32_e32 v3, v1
	v_add_f32_e32 v4, v4, v6
	v_cvt_i32_f32_e32 v6, v4
	v_cvt_f32_i32_dpp v2, v2 row_shr:2 row_mask:0xf bank_mask:0xf bound_ctrl:1
	v_cvt_f32_i32_dpp v3, v3 row_shr:2 row_mask:0xf bank_mask:0xf bound_ctrl:1
	v_cvt_i32_f32_e32 v7, v5
	v_cvt_f32_i32_dpp v6, v6 row_shr:2 row_mask:0xf bank_mask:0xf bound_ctrl:1
	v_add_f32_e32 v0, v0, v2
	v_add_f32_e32 v1, v1, v3
	v_cvt_i32_f32_e32 v2, v0
	v_cvt_i32_f32_e32 v3, v1
	v_add_f32_e32 v8, v4, v6
	v_cvt_i32_f32_e32 v6, v8
	v_cvt_f32_i32_dpp v2, v2 row_shr:1 row_mask:0xf bank_mask:0xf bound_ctrl:1
	v_cvt_f32_i32_dpp v3, v3 row_shr:1 row_mask:0xf bank_mask:0xf bound_ctrl:1
	v_add_f32_e32 v0, v0, v2
	v_add_f32_e32 v1, v1, v3
	v_cvt_i32_f32_e32 v2, v0
	v_cvt_i32_f32_e32 v3, v1
	s_nop 0
	v_cvt_f32_i32_dpp v2, v2 row_bcast:15 row_mask:0xf bank_mask:0xf bound_ctrl:1
	v_cvt_f32_i32_dpp v3, v3 row_bcast:15 row_mask:0xf bank_mask:0xf bound_ctrl:1
	v_add_f32_e32 v4, v0, v2
	v_add_f32_e32 v0, v1, v3
	v_cvt_i32_f32_e32 v1, v4
	v_cvt_f32_i32_dpp v3, v7 row_shr:4 row_mask:0xf bank_mask:0xf bound_ctrl:1
	v_cvt_f32_i32_dpp v7, v6 row_shr:1 row_mask:0xf bank_mask:0xf bound_ctrl:1
	v_cvt_i32_f32_e32 v2, v0
	v_mov_b32_dpp v6, v1 row_bcast:31 row_mask:0xf bank_mask:0xf bound_ctrl:1
	v_cvt_i32_f32_e32 v1, v43
	v_add_f32_e32 v3, v5, v3
	v_cvt_i32_f32_e32 v5, v47
	v_cvt_i32_f32_e32 v9, v3
	v_cvt_f32_i32_dpp v1, v1 row_shr:8 row_mask:0xf bank_mask:0xf bound_ctrl:1
	v_add_f32_e32 v7, v8, v7
	v_cvt_f32_i32_dpp v5, v5 row_shr:8 row_mask:0xf bank_mask:0xf bound_ctrl:1
	v_cvt_f32_i32_dpp v8, v9 row_shr:2 row_mask:0xf bank_mask:0xf bound_ctrl:1
	v_add_f32_e32 v1, v43, v1
	v_cvt_i32_f32_e32 v9, v1
	v_add_f32_e32 v5, v47, v5
	v_cvt_i32_f32_e32 v10, v5
	v_add_f32_e32 v3, v3, v8
	v_cvt_f32_i32_dpp v9, v9 row_shr:4 row_mask:0xf bank_mask:0xf bound_ctrl:1
	v_cvt_i32_f32_e32 v11, v7
	v_cvt_f32_i32_dpp v8, v10 row_shr:4 row_mask:0xf bank_mask:0xf bound_ctrl:1
	v_cvt_i32_f32_e32 v10, v3
	v_add_f32_e32 v1, v1, v9
	v_cvt_i32_f32_e32 v9, v1
	v_add_f32_e32 v5, v5, v8
	v_cvt_i32_f32_e32 v8, v5
	v_cvt_f32_i32_dpp v10, v10 row_shr:1 row_mask:0xf bank_mask:0xf bound_ctrl:1
	v_cvt_f32_i32_dpp v9, v9 row_shr:2 row_mask:0xf bank_mask:0xf bound_ctrl:1
	v_cvt_f32_i32_dpp v11, v11 row_bcast:15 row_mask:0xf bank_mask:0xf bound_ctrl:1
	v_cvt_f32_i32_dpp v8, v8 row_shr:2 row_mask:0xf bank_mask:0xf bound_ctrl:1
	v_add_f32_e32 v3, v3, v10
	v_add_f32_e32 v1, v1, v9
	v_cvt_i32_f32_e32 v9, v1
	v_add_f32_e32 v5, v5, v8
	v_cvt_i32_f32_e32 v8, v5
	v_cvt_i32_f32_e32 v10, v3
	s_waitcnt vmcnt(0)
	v_cvt_f32_i32_dpp v12, v9 row_shr:1 row_mask:0xf bank_mask:0xf bound_ctrl:1
	v_add_f32_e32 v9, v7, v11
	v_cvt_f32_i32_dpp v7, v8 row_shr:1 row_mask:0xf bank_mask:0xf bound_ctrl:1
	v_cvt_f32_i32_dpp v8, v10 row_bcast:15 row_mask:0xf bank_mask:0xf bound_ctrl:1
	v_add_f32_e32 v1, v1, v12
	v_cvt_i32_f32_e32 v10, v1
	v_add_f32_e32 v7, v5, v7
	v_cvt_i32_f32_e32 v5, v7
	v_add_f32_e32 v8, v3, v8
	v_cvt_f32_i32_dpp v10, v10 row_bcast:15 row_mask:0xf bank_mask:0xf bound_ctrl:1
	v_cvt_i32_f32_e32 v11, v9
	v_cvt_f32_i32_dpp v3, v5 row_bcast:15 row_mask:0xf bank_mask:0xf bound_ctrl:1
	v_cvt_i32_f32_e32 v12, v8
	v_add_f32_e32 v5, v1, v10
	v_cvt_i32_f32_e32 v13, v5
	v_add_f32_e32 v1, v7, v3
	v_cvt_i32_f32_e32 v3, v1
	v_mov_b32_dpp v2, v2 row_bcast:31 row_mask:0xf bank_mask:0xf bound_ctrl:1
	v_mov_b32_dpp v11, v11 row_bcast:31 row_mask:0xf bank_mask:0xf bound_ctrl:1
	;; [unrolled: 1-line block ×5, first 2 shown]
	s_and_saveexec_b64 s[26:27], s[0:1]
	s_cbranch_execz .LBB72_60
; %bb.51:                               ;   in Loop: Header=BB72_19 Depth=1
	s_andn2_b64 vcc, exec, s[22:23]
	v_mov_b32_e32 v17, 0
	v_mov_b32_e32 v16, 0
	v_mov_b32_e32 v15, 0
	v_mov_b32_e32 v14, 0
	v_mov_b32_e32 v13, 0
	v_mov_b32_e32 v12, 0
	s_cbranch_vccnz .LBB72_53
; %bb.52:                               ;   in Loop: Header=BB72_19 Depth=1
	v_mul_hi_u32 v12, v42, v57
	v_mul_lo_u32 v12, v12, s16
	v_sub_u32_e32 v12, v42, v12
	v_subrev_u32_e32 v13, s16, v12
	v_cmp_le_u32_e32 vcc, s16, v12
	v_mov_b32_e32 v15, v45
	s_nop 0
	v_cndmask_b32_e32 v12, v12, v13, vcc
	v_subrev_u32_e32 v13, s16, v12
	v_cmp_le_u32_e32 vcc, s16, v12
	s_nop 1
	v_cndmask_b32_e32 v44, v12, v13, vcc
	v_mul_hi_u32 v12, v46, v57
	v_mul_lo_u32 v12, v12, s16
	v_sub_u32_e32 v12, v46, v12
	v_subrev_u32_e32 v13, s16, v12
	v_cmp_le_u32_e32 vcc, s16, v12
	v_lshl_add_u64 v[18:19], v[44:45], 1, s[12:13]
	v_add_u32_e32 v14, s38, v44
	v_cndmask_b32_e32 v12, v12, v13, vcc
	v_subrev_u32_e32 v13, s16, v12
	v_cmp_le_u32_e32 vcc, s16, v12
	v_add_u32_e32 v44, s39, v44
	v_lshl_add_u64 v[22:23], v[14:15], 1, s[12:13]
	v_cndmask_b32_e32 v12, v12, v13, vcc
	v_mov_b32_e32 v13, v45
	v_add_u32_e32 v14, s38, v12
	v_lshl_add_u64 v[26:27], v[44:45], 1, s[12:13]
	v_add_u32_e32 v44, s39, v12
	v_lshl_add_u64 v[20:21], v[12:13], 1, s[12:13]
	v_lshl_add_u64 v[24:25], v[14:15], 1, s[12:13]
	;; [unrolled: 1-line block ×3, first 2 shown]
	global_load_ushort v17, v[18:19], off
	global_load_ushort v16, v[20:21], off
	;; [unrolled: 1-line block ×6, first 2 shown]
.LBB72_53:                              ;   in Loop: Header=BB72_19 Depth=1
	v_cmp_ne_u32_e32 vcc, 0, v40
	s_and_saveexec_b64 s[4:5], vcc
	s_cbranch_execnz .LBB72_65
; %bb.54:                               ;   in Loop: Header=BB72_19 Depth=1
	s_or_b64 exec, exec, s[4:5]
	v_cmp_ne_u32_e64 s[4:5], 0, v41
	s_and_saveexec_b64 s[28:29], s[4:5]
	s_cbranch_execnz .LBB72_66
.LBB72_55:                              ;   in Loop: Header=BB72_19 Depth=1
	s_or_b64 exec, exec, s[28:29]
	v_add_u32_e32 v44, s11, v42
	s_and_saveexec_b64 s[28:29], vcc
	s_cbranch_execnz .LBB72_67
.LBB72_56:                              ;   in Loop: Header=BB72_19 Depth=1
	s_or_b64 exec, exec, s[28:29]
	s_and_saveexec_b64 s[28:29], s[4:5]
	s_cbranch_execnz .LBB72_68
.LBB72_57:                              ;   in Loop: Header=BB72_19 Depth=1
	s_or_b64 exec, exec, s[28:29]
	v_add_u32_e32 v44, s11, v44
	s_and_saveexec_b64 s[28:29], vcc
	s_cbranch_execnz .LBB72_69
.LBB72_58:                              ;   in Loop: Header=BB72_19 Depth=1
	s_or_b64 exec, exec, s[28:29]
	s_and_b64 exec, exec, s[4:5]
	s_cbranch_execz .LBB72_60
.LBB72_59:                              ;   in Loop: Header=BB72_19 Depth=1
	v_cvt_f32_i32_e32 v0, v3
	s_waitcnt vmcnt(0)
	v_cvt_f32_f16_e32 v2, v12
	v_add_u32_e32 v44, 1, v44
	v_add_f32_e32 v0, v1, v0
	v_add_f32_e32 v0, v0, v2
	v_cvt_f16_f32_e32 v2, v0
	v_lshl_add_u64 v[0:1], v[44:45], 1, s[14:15]
	global_store_short v[0:1], v2, off
.LBB72_60:                              ;   in Loop: Header=BB72_19 Depth=1
	s_or_b64 exec, exec, s[26:27]
	v_add_u32_e32 v42, s37, v42
	v_add_u32_e32 v0, 2, v42
	v_cmp_gt_u32_e32 vcc, s11, v42
	v_cmp_le_u32_e64 s[4:5], s11, v0
	s_and_b64 s[4:5], vcc, s[4:5]
	s_and_saveexec_b64 s[26:27], s[4:5]
	s_cbranch_execz .LBB72_18
; %bb.61:                               ;   in Loop: Header=BB72_19 Depth=1
	v_cmp_ne_u32_e32 vcc, s17, v42
	s_and_saveexec_b64 s[28:29], vcc
	s_cbranch_execz .LBB72_17
; %bb.62:                               ;   in Loop: Header=BB72_19 Depth=1
	v_subrev_u32_e32 v0, s17, v42
	v_cmp_lt_u32_e32 vcc, 1, v0
	s_mov_b64 s[30:31], 0
	s_mov_b64 s[34:35], 0
	v_cndmask_b32_e32 v0, 1, v0, vcc
.LBB72_63:                              ;   Parent Loop BB72_19 Depth=1
                                        ; =>  This Inner Loop Header: Depth=2
	s_cmp_lg_u32 s34, 1
	s_cselect_b64 vcc, -1, 0
	s_cmp_lg_u32 s34, 0
	v_cndmask_b32_e32 v41, 0, v41, vcc
	s_cselect_b64 vcc, -1, 0
	s_add_u32 s34, s34, 1
	s_addc_u32 s35, s35, 0
	v_cmp_eq_u32_e64 s[4:5], s34, v0
	s_or_b64 s[30:31], s[4:5], s[30:31]
	v_cndmask_b32_e32 v40, 0, v40, vcc
	s_andn2_b64 exec, exec, s[30:31]
	s_cbranch_execnz .LBB72_63
; %bb.64:                               ;   in Loop: Header=BB72_19 Depth=1
	s_or_b64 exec, exec, s[30:31]
	s_branch .LBB72_17
.LBB72_65:                              ;   in Loop: Header=BB72_19 Depth=1
	v_cvt_f32_i32_e32 v6, v6
	s_waitcnt vmcnt(5)
	v_cvt_f32_f16_e32 v17, v17
	v_mov_b32_e32 v43, v45
	v_lshl_add_u64 v[18:19], v[42:43], 1, s[14:15]
	v_add_f32_e32 v4, v4, v6
	v_add_f32_e32 v4, v4, v17
	v_cvt_f16_f32_e32 v4, v4
	global_store_short v[18:19], v4, off
	s_or_b64 exec, exec, s[4:5]
	v_cmp_ne_u32_e64 s[4:5], 0, v41
	s_and_saveexec_b64 s[28:29], s[4:5]
	s_cbranch_execz .LBB72_55
.LBB72_66:                              ;   in Loop: Header=BB72_19 Depth=1
	v_cvt_f32_i32_e32 v2, v2
	s_waitcnt vmcnt(4)
	v_cvt_f32_f16_e32 v4, v16
	v_mov_b32_e32 v47, v45
	v_lshl_add_u64 v[16:17], v[46:47], 1, s[14:15]
	v_add_f32_e32 v0, v0, v2
	v_add_f32_e32 v0, v0, v4
	v_cvt_f16_f32_e32 v0, v0
	global_store_short v[16:17], v0, off
	s_or_b64 exec, exec, s[28:29]
	v_add_u32_e32 v44, s11, v42
	s_and_saveexec_b64 s[28:29], vcc
	s_cbranch_execz .LBB72_56
.LBB72_67:                              ;   in Loop: Header=BB72_19 Depth=1
	v_cvt_f32_i32_e32 v0, v11
	s_waitcnt vmcnt(3)
	v_cvt_f32_f16_e32 v2, v15
	v_lshl_add_u64 v[16:17], v[44:45], 1, s[14:15]
	v_add_f32_e32 v0, v9, v0
	v_add_f32_e32 v0, v0, v2
	v_cvt_f16_f32_e32 v0, v0
	global_store_short v[16:17], v0, off
	s_or_b64 exec, exec, s[28:29]
	s_and_saveexec_b64 s[28:29], s[4:5]
	s_cbranch_execz .LBB72_57
.LBB72_68:                              ;   in Loop: Header=BB72_19 Depth=1
	v_cvt_f32_i32_e32 v0, v10
	s_waitcnt vmcnt(2)
	v_cvt_f32_f16_e32 v2, v14
	v_mov_b32_e32 v9, v45
	v_add_f32_e32 v0, v8, v0
	v_add_f32_e32 v0, v0, v2
	v_cvt_f16_f32_e32 v0, v0
	v_add_u32_e32 v8, 1, v44
	v_lshl_add_u64 v[8:9], v[8:9], 1, s[14:15]
	global_store_short v[8:9], v0, off
	s_or_b64 exec, exec, s[28:29]
	v_add_u32_e32 v44, s11, v44
	s_and_saveexec_b64 s[28:29], vcc
	s_cbranch_execz .LBB72_58
.LBB72_69:                              ;   in Loop: Header=BB72_19 Depth=1
	v_cvt_f32_i32_e32 v0, v7
	s_waitcnt vmcnt(1)
	v_cvt_f32_f16_e32 v2, v13
	v_add_f32_e32 v0, v5, v0
	v_add_f32_e32 v0, v0, v2
	v_cvt_f16_f32_e32 v0, v0
	v_lshl_add_u64 v[4:5], v[44:45], 1, s[14:15]
	global_store_short v[4:5], v0, off
	s_or_b64 exec, exec, s[28:29]
	s_and_b64 exec, exec, s[4:5]
	s_cbranch_execnz .LBB72_59
	s_branch .LBB72_60
.LBB72_70:
	s_endpgm
	.section	.rodata,"a",@progbits
	.p2align	6, 0x0
	.amdhsa_kernel _Z12wvSplitK_hf_I6__halfLi32ELi2ELi16ELi8ELi2ELi3EEviiiiiiPKT_S3_S3_PS1_ii
		.amdhsa_group_segment_fixed_size 65536
		.amdhsa_private_segment_fixed_size 0
		.amdhsa_kernarg_size 64
		.amdhsa_user_sgpr_count 2
		.amdhsa_user_sgpr_dispatch_ptr 0
		.amdhsa_user_sgpr_queue_ptr 0
		.amdhsa_user_sgpr_kernarg_segment_ptr 1
		.amdhsa_user_sgpr_dispatch_id 0
		.amdhsa_user_sgpr_kernarg_preload_length 0
		.amdhsa_user_sgpr_kernarg_preload_offset 0
		.amdhsa_user_sgpr_private_segment_size 0
		.amdhsa_uses_dynamic_stack 0
		.amdhsa_enable_private_segment 0
		.amdhsa_system_sgpr_workgroup_id_x 1
		.amdhsa_system_sgpr_workgroup_id_y 0
		.amdhsa_system_sgpr_workgroup_id_z 0
		.amdhsa_system_sgpr_workgroup_info 0
		.amdhsa_system_vgpr_workitem_id 1
		.amdhsa_next_free_vgpr 66
		.amdhsa_next_free_sgpr 42
		.amdhsa_accum_offset 68
		.amdhsa_reserve_vcc 1
		.amdhsa_float_round_mode_32 0
		.amdhsa_float_round_mode_16_64 0
		.amdhsa_float_denorm_mode_32 3
		.amdhsa_float_denorm_mode_16_64 3
		.amdhsa_dx10_clamp 1
		.amdhsa_ieee_mode 1
		.amdhsa_fp16_overflow 0
		.amdhsa_tg_split 0
		.amdhsa_exception_fp_ieee_invalid_op 0
		.amdhsa_exception_fp_denorm_src 0
		.amdhsa_exception_fp_ieee_div_zero 0
		.amdhsa_exception_fp_ieee_overflow 0
		.amdhsa_exception_fp_ieee_underflow 0
		.amdhsa_exception_fp_ieee_inexact 0
		.amdhsa_exception_int_div_zero 0
	.end_amdhsa_kernel
	.section	.text._Z12wvSplitK_hf_I6__halfLi32ELi2ELi16ELi8ELi2ELi3EEviiiiiiPKT_S3_S3_PS1_ii,"axG",@progbits,_Z12wvSplitK_hf_I6__halfLi32ELi2ELi16ELi8ELi2ELi3EEviiiiiiPKT_S3_S3_PS1_ii,comdat
.Lfunc_end72:
	.size	_Z12wvSplitK_hf_I6__halfLi32ELi2ELi16ELi8ELi2ELi3EEviiiiiiPKT_S3_S3_PS1_ii, .Lfunc_end72-_Z12wvSplitK_hf_I6__halfLi32ELi2ELi16ELi8ELi2ELi3EEviiiiiiPKT_S3_S3_PS1_ii
                                        ; -- End function
	.section	.AMDGPU.csdata,"",@progbits
; Kernel info:
; codeLenInByte = 3604
; NumSgprs: 48
; NumVgprs: 66
; NumAgprs: 0
; TotalNumVgprs: 66
; ScratchSize: 0
; MemoryBound: 1
; FloatMode: 240
; IeeeMode: 1
; LDSByteSize: 65536 bytes/workgroup (compile time only)
; SGPRBlocks: 5
; VGPRBlocks: 8
; NumSGPRsForWavesPerEU: 48
; NumVGPRsForWavesPerEU: 66
; AccumOffset: 68
; Occupancy: 2
; WaveLimiterHint : 0
; COMPUTE_PGM_RSRC2:SCRATCH_EN: 0
; COMPUTE_PGM_RSRC2:USER_SGPR: 2
; COMPUTE_PGM_RSRC2:TRAP_HANDLER: 0
; COMPUTE_PGM_RSRC2:TGID_X_EN: 1
; COMPUTE_PGM_RSRC2:TGID_Y_EN: 0
; COMPUTE_PGM_RSRC2:TGID_Z_EN: 0
; COMPUTE_PGM_RSRC2:TIDIG_COMP_CNT: 1
; COMPUTE_PGM_RSRC3_GFX90A:ACCUM_OFFSET: 16
; COMPUTE_PGM_RSRC3_GFX90A:TG_SPLIT: 0
	.section	.text._Z16wvSplitK_hf_big_I6__halfLi32ELi2ELi16ELi8ELi2ELi3EEviiiiiiPKT_S3_S3_PS1_ii,"axG",@progbits,_Z16wvSplitK_hf_big_I6__halfLi32ELi2ELi16ELi8ELi2ELi3EEviiiiiiPKT_S3_S3_PS1_ii,comdat
	.protected	_Z16wvSplitK_hf_big_I6__halfLi32ELi2ELi16ELi8ELi2ELi3EEviiiiiiPKT_S3_S3_PS1_ii ; -- Begin function _Z16wvSplitK_hf_big_I6__halfLi32ELi2ELi16ELi8ELi2ELi3EEviiiiiiPKT_S3_S3_PS1_ii
	.globl	_Z16wvSplitK_hf_big_I6__halfLi32ELi2ELi16ELi8ELi2ELi3EEviiiiiiPKT_S3_S3_PS1_ii
	.p2align	8
	.type	_Z16wvSplitK_hf_big_I6__halfLi32ELi2ELi16ELi8ELi2ELi3EEviiiiiiPKT_S3_S3_PS1_ii,@function
_Z16wvSplitK_hf_big_I6__halfLi32ELi2ELi16ELi8ELi2ELi3EEviiiiiiPKT_S3_S3_PS1_ii: ; @_Z16wvSplitK_hf_big_I6__halfLi32ELi2ELi16ELi8ELi2ELi3EEviiiiiiPKT_S3_S3_PS1_ii
; %bb.0:
	s_load_dwordx2 s[4:5], s[0:1], 0x38
	v_bfe_u32 v1, v0, 10, 10
	s_waitcnt lgkmcnt(0)
	v_cmp_gt_u32_e32 vcc, s4, v1
	s_and_saveexec_b64 s[6:7], vcc
	s_cbranch_execz .LBB73_52
; %bb.1:
	s_load_dwordx4 s[20:23], s[0:1], 0x0
	s_mul_i32 s2, s2, s4
	v_add_lshl_u32 v42, s2, v1, 1
	s_mov_b32 s6, 1
	v_add_u32_e32 v2, 2, v42
	s_waitcnt lgkmcnt(0)
	v_cmp_gt_u32_e32 vcc, s23, v42
	v_cmp_le_u32_e64 s[2:3], s23, v2
	s_mov_b32 s7, s6
	s_and_b64 s[8:9], vcc, s[2:3]
	v_mov_b64_e32 v[40:41], s[6:7]
	s_and_saveexec_b64 s[2:3], s[8:9]
	s_cbranch_execz .LBB73_7
; %bb.2:
	s_add_i32 s14, s23, -2
	v_cmp_ne_u32_e32 vcc, s14, v42
	v_mov_b64_e32 v[40:41], s[6:7]
	s_and_saveexec_b64 s[6:7], vcc
	s_cbranch_execz .LBB73_6
; %bb.3:
	v_subrev_u32_e32 v2, s14, v42
	s_mov_b32 s8, 1
	v_cmp_lt_u32_e32 vcc, 1, v2
	s_mov_b64 s[10:11], 0
	s_mov_b64 s[12:13], 0
	v_cndmask_b32_e32 v2, 1, v2, vcc
	s_mov_b32 s9, s8
.LBB73_4:                               ; =>This Inner Loop Header: Depth=1
	s_cmp_lg_u32 s12, 1
	s_cselect_b32 s9, s9, 0
	s_cmp_lg_u32 s12, 0
	s_cselect_b32 s8, s8, 0
	s_add_u32 s12, s12, 1
	s_addc_u32 s13, s13, 0
	v_cmp_eq_u32_e32 vcc, s12, v2
	s_or_b64 s[10:11], vcc, s[10:11]
	v_mov_b64_e32 v[40:41], s[8:9]
	s_andn2_b64 exec, exec, s[10:11]
	s_cbranch_execnz .LBB73_4
; %bb.5:
	s_or_b64 exec, exec, s[10:11]
	v_mov_b32_e32 v42, s14
.LBB73_6:
	s_or_b64 exec, exec, s[6:7]
.LBB73_7:
	s_or_b64 exec, exec, s[2:3]
	s_lshl_b32 s2, s4, 1
	s_abs_i32 s3, s2
	v_cvt_f32_u32_e32 v2, s3
	s_sub_i32 s8, 0, s3
	s_abs_i32 s7, s23
	s_ashr_i32 s6, s23, 31
	v_rcp_iflag_f32_e32 v2, v2
	s_nop 0
	v_mul_f32_e32 v2, 0x4f7ffffe, v2
	v_cvt_u32_f32_e32 v2, v2
	s_nop 0
	v_readfirstlane_b32 s9, v2
	s_mul_i32 s8, s8, s9
	s_mul_hi_u32 s8, s9, s8
	s_add_i32 s9, s9, s8
	s_mul_hi_u32 s8, s7, s9
	s_mul_i32 s8, s8, s3
	s_sub_i32 s7, s7, s8
	s_sub_i32 s8, s7, s3
	s_cmp_ge_u32 s7, s3
	s_cselect_b32 s7, s8, s7
	s_sub_i32 s8, s7, s3
	s_cmp_ge_u32 s7, s3
	s_cselect_b32 s3, s8, s7
	s_xor_b32 s3, s3, s6
	s_sub_i32 s3, s3, s6
	s_add_i32 s2, s2, s23
	s_sub_i32 s2, s2, s3
	s_cmp_eq_u32 s3, 0
	s_cselect_b32 s33, s23, s2
	v_cmp_gt_u32_e32 vcc, s33, v42
	s_and_b64 exec, exec, vcc
	s_cbranch_execz .LBB73_52
; %bb.8:
	s_load_dwordx8 s[12:19], s[0:1], 0x10
	s_min_u32 s40, s22, 0x2a00
	s_cmp_lg_u32 s20, 0
	s_load_dwordx2 s[10:11], s[0:1], 0x30
	s_cselect_b64 s[2:3], -1, 0
	s_cmp_lg_u32 s22, 0
	s_mul_i32 s0, s5, s4
	s_cselect_b64 s[6:7], -1, 0
	s_lshl_b32 s41, s4, 8
	s_add_i32 s42, s20, -8
	s_add_i32 s43, s23, -1
	s_lshl_b32 s44, s0, 1
	s_waitcnt lgkmcnt(0)
	s_cmp_lg_u64 s[18:19], 0
	s_cselect_b64 s[26:27], -1, 0
	s_abs_i32 s5, s13
	v_cvt_f32_u32_e32 v2, s12
	v_cvt_f32_u32_e32 v3, s5
	s_sub_i32 s8, 0, s12
	s_add_i32 s13, s23, -2
	v_rcp_iflag_f32_e32 v2, v2
	v_rcp_iflag_f32_e32 v3, v3
	v_and_b32_e32 v0, 0x3ff, v0
	v_lshlrev_b32_e32 v50, 3, v0
	v_mul_f32_e32 v2, 0x4f7ffffe, v2
	v_mul_f32_e32 v3, 0x4f7ffffe, v3
	v_cvt_u32_f32_e32 v2, v2
	v_cvt_u32_f32_e32 v3, v3
	v_cmp_eq_u32_e64 s[0:1], 31, v0
	v_lshlrev_b32_e32 v0, 4, v0
	v_mul_lo_u32 v4, s8, v2
	s_sub_i32 s8, 0, s5
	v_readfirstlane_b32 s9, v3
	s_mul_i32 s8, s8, s9
	s_mul_hi_u32 s8, s9, s8
	s_add_i32 s9, s9, s8
	s_sub_i32 s8, 1, s5
	s_cmp_lt_u32 s5, 2
	s_cselect_b32 s8, s8, 1
	s_sub_i32 s28, s8, s5
	s_cmp_ge_u32 s8, s5
	s_cselect_b32 s45, s28, s8
	s_lshr_b32 s8, s9, 31
	s_mul_i32 s8, s8, s5
	s_sub_i32 s8, 2, s8
	s_sub_i32 s9, s8, s5
	s_cmp_ge_u32 s8, s5
	s_cselect_b32 s8, s9, s8
	s_sub_i32 s9, s8, s5
	s_cmp_ge_u32 s8, s5
	v_lshl_add_u32 v52, v1, 9, v0
	v_cndmask_b32_e64 v0, 0, 1, s[2:3]
	v_mul_hi_u32 v4, v2, v4
	s_cselect_b32 s46, s9, s8
	s_add_u32 s28, s10, 2
	v_lshl_add_u32 v53, v1, 8, v50
	v_cmp_ne_u32_e64 s[2:3], 1, v0
	v_cndmask_b32_e64 v0, 0, 1, s[6:7]
	s_mov_b64 s[24:25], 0
	v_add_u32_e32 v51, v2, v4
	v_mov_b32_e32 v45, 0
	s_mul_i32 s45, s45, s12
	s_mul_i32 s46, s46, s12
	s_addc_u32 s29, s11, 0
	s_lshl_b32 s47, s40, 2
	s_lshl_b32 s48, s4, 9
	;; [unrolled: 1-line block ×3, first 2 shown]
	v_lshl_add_u32 v54, s22, 1, v53
	v_add_u32_e32 v55, s22, v53
	v_cmp_ne_u32_e64 s[4:5], 1, v0
	s_branch .LBB73_12
.LBB73_9:                               ;   in Loop: Header=BB73_12 Depth=1
	s_or_b64 exec, exec, s[34:35]
	v_mov_b32_e32 v42, s13
.LBB73_10:                              ;   in Loop: Header=BB73_12 Depth=1
	s_or_b64 exec, exec, s[30:31]
.LBB73_11:                              ;   in Loop: Header=BB73_12 Depth=1
	s_or_b64 exec, exec, s[8:9]
	v_cmp_le_u32_e32 vcc, s33, v42
	s_or_b64 s[24:25], vcc, s[24:25]
	s_andn2_b64 exec, exec, s[24:25]
	s_cbranch_execz .LBB73_52
.LBB73_12:                              ; =>This Loop Header: Depth=1
                                        ;     Child Loop BB73_17 Depth 2
                                        ;       Child Loop BB73_22 Depth 3
                                        ;     Child Loop BB73_45 Depth 2
	s_mov_b32 s36, 0
	s_and_b64 vcc, exec, s[2:3]
	v_mov_b32_e32 v60, v45
	v_mov_b32_e32 v59, v45
	;; [unrolled: 1-line block ×6, first 2 shown]
	s_cbranch_vccnz .LBB73_29
; %bb.13:                               ;   in Loop: Header=BB73_12 Depth=1
	v_min_u32_e32 v0, s43, v42
	v_mul_lo_u32 v44, v0, s21
	v_add_u32_e32 v0, 1, v42
	v_min_u32_e32 v0, s43, v0
	v_mul_lo_u32 v0, v0, s21
	v_mov_b32_e32 v1, v45
	v_cmp_gt_u32_e64 s[6:7], s23, v42
	v_mov_b32_e32 v43, 0
	v_lshlrev_b64 v[46:47], 1, v[44:45]
	v_lshlrev_b64 v[48:49], 1, v[0:1]
	v_mov_b32_e32 v56, 0
	v_mov_b32_e32 v57, 0
	;; [unrolled: 1-line block ×5, first 2 shown]
	s_mov_b32 s37, 0
	s_branch .LBB73_17
.LBB73_14:                              ;   in Loop: Header=BB73_17 Depth=2
	s_or_b64 exec, exec, s[34:35]
.LBB73_15:                              ;   in Loop: Header=BB73_17 Depth=2
	s_or_b64 exec, exec, s[30:31]
	s_waitcnt vmcnt(3) lgkmcnt(2)
	;;#ASMSTART
	v_dot2c_f32_f16 v60, v36, v20
	;;#ASMEND
	s_waitcnt vmcnt(2)
	;;#ASMSTART
	v_dot2c_f32_f16 v59, v36, v16
	;;#ASMEND
	s_waitcnt lgkmcnt(1)
	;;#ASMSTART
	v_dot2c_f32_f16 v58, v32, v20
	;;#ASMEND
	;;#ASMSTART
	v_dot2c_f32_f16 v57, v32, v16
	;;#ASMEND
	s_waitcnt lgkmcnt(0)
	;;#ASMSTART
	v_dot2c_f32_f16 v43, v28, v20
	;;#ASMEND
	;;#ASMSTART
	v_dot2c_f32_f16 v56, v28, v16
	;;#ASMEND
	;;#ASMSTART
	v_dot2c_f32_f16 v60, v37, v21
	;;#ASMEND
	;;#ASMSTART
	v_dot2c_f32_f16 v59, v37, v17
	;;#ASMEND
	;;#ASMSTART
	v_dot2c_f32_f16 v58, v33, v21
	;;#ASMEND
	;;#ASMSTART
	v_dot2c_f32_f16 v57, v33, v17
	;;#ASMEND
	s_nop 0
	;;#ASMSTART
	v_dot2c_f32_f16 v43, v29, v21
	;;#ASMEND
	;;#ASMSTART
	v_dot2c_f32_f16 v56, v29, v17
	;;#ASMEND
	;;#ASMSTART
	v_dot2c_f32_f16 v60, v38, v22
	;;#ASMEND
	;;#ASMSTART
	v_dot2c_f32_f16 v59, v38, v18
	;;#ASMEND
	;;#ASMSTART
	v_dot2c_f32_f16 v58, v34, v22
	;;#ASMEND
	;;#ASMSTART
	v_dot2c_f32_f16 v57, v34, v18
	;;#ASMEND
	s_nop 0
	;; [unrolled: 19-line block ×3, first 2 shown]
	;;#ASMSTART
	v_dot2c_f32_f16 v43, v31, v23
	;;#ASMEND
	;;#ASMSTART
	v_dot2c_f32_f16 v56, v31, v19
	;;#ASMEND
	s_waitcnt vmcnt(1)
	;;#ASMSTART
	v_dot2c_f32_f16 v60, v24, v4
	;;#ASMEND
	s_waitcnt vmcnt(0)
	;;#ASMSTART
	v_dot2c_f32_f16 v59, v24, v0
	;;#ASMEND
	;;#ASMSTART
	v_dot2c_f32_f16 v58, v12, v4
	;;#ASMEND
	;;#ASMSTART
	v_dot2c_f32_f16 v57, v12, v0
	;;#ASMEND
	;;#ASMSTART
	v_dot2c_f32_f16 v43, v8, v4
	;;#ASMEND
	;;#ASMSTART
	v_dot2c_f32_f16 v56, v8, v0
	;;#ASMEND
	;;#ASMSTART
	v_dot2c_f32_f16 v60, v25, v5
	;;#ASMEND
	s_nop 0
	;;#ASMSTART
	v_dot2c_f32_f16 v59, v25, v1
	;;#ASMEND
	;;#ASMSTART
	v_dot2c_f32_f16 v58, v13, v5
	;;#ASMEND
	;;#ASMSTART
	v_dot2c_f32_f16 v57, v13, v1
	;;#ASMEND
	;;#ASMSTART
	v_dot2c_f32_f16 v43, v9, v5
	;;#ASMEND
	;;#ASMSTART
	v_dot2c_f32_f16 v56, v9, v1
	;;#ASMEND
	;;#ASMSTART
	v_dot2c_f32_f16 v60, v26, v6
	;;#ASMEND
	s_nop 0
	;;#ASMSTART
	v_dot2c_f32_f16 v59, v26, v2
	;;#ASMEND
	;;#ASMSTART
	v_dot2c_f32_f16 v58, v14, v6
	;;#ASMEND
	;;#ASMSTART
	v_dot2c_f32_f16 v57, v14, v2
	;;#ASMEND
	;;#ASMSTART
	v_dot2c_f32_f16 v43, v10, v6
	;;#ASMEND
	;;#ASMSTART
	v_dot2c_f32_f16 v56, v10, v2
	;;#ASMEND
	;;#ASMSTART
	v_dot2c_f32_f16 v60, v27, v7
	;;#ASMEND
	s_nop 0
	;;#ASMSTART
	v_dot2c_f32_f16 v59, v27, v3
	;;#ASMEND
	;;#ASMSTART
	v_dot2c_f32_f16 v58, v15, v7
	;;#ASMEND
	;; [unrolled: 3-line block ×5, first 2 shown]
.LBB73_16:                              ;   in Loop: Header=BB73_17 Depth=2
	s_or_b64 exec, exec, s[8:9]
	s_addk_i32 s37, 0x200
	s_cmp_ge_u32 s37, s20
	s_cbranch_scc1 .LBB73_29
.LBB73_17:                              ;   Parent Loop BB73_12 Depth=1
                                        ; =>  This Loop Header: Depth=2
                                        ;       Child Loop BB73_22 Depth 3
	s_cmp_eq_u32 s37, 0
	s_cselect_b64 s[8:9], -1, 0
	s_add_i32 s30, s36, s40
	s_cmp_eq_u32 s37, s30
	s_cselect_b64 s[34:35], -1, 0
	s_or_b64 s[34:35], s[8:9], s[34:35]
	s_andn2_b64 vcc, exec, s[34:35]
	s_cbranch_vccz .LBB73_19
; %bb.18:                               ;   in Loop: Header=BB73_17 Depth=2
	s_and_saveexec_b64 s[8:9], s[6:7]
	s_cbranch_execz .LBB73_16
	s_branch .LBB73_26
.LBB73_19:                              ;   in Loop: Header=BB73_17 Depth=2
	s_and_b64 s[8:9], s[8:9], exec
	s_cselect_b32 s36, s36, s30
	s_and_b64 vcc, exec, s[4:5]
	s_barrier
	s_cbranch_vccnz .LBB73_25
; %bb.20:                               ;   in Loop: Header=BB73_17 Depth=2
	v_add_u32_e32 v0, s36, v54
	v_add_u32_e32 v1, s36, v55
	v_add_u32_e32 v2, s36, v53
	s_mov_b32 s38, 0
	s_mov_b64 s[30:31], 0
	v_mov_b32_e32 v3, v52
                                        ; implicit-def: $sgpr34_sgpr35
	s_branch .LBB73_22
.LBB73_21:                              ;   in Loop: Header=BB73_22 Depth=3
	s_or_b64 exec, exec, s[8:9]
	s_and_b64 s[8:9], exec, s[34:35]
	s_or_b64 s[30:31], s[8:9], s[30:31]
	s_andn2_b64 exec, exec, s[30:31]
	s_cbranch_execz .LBB73_24
.LBB73_22:                              ;   Parent Loop BB73_12 Depth=1
                                        ;     Parent Loop BB73_17 Depth=2
                                        ; =>    This Inner Loop Header: Depth=3
	v_add_u32_e32 v4, s38, v53
	v_add_u32_e32 v44, s38, v2
	v_cmp_gt_u32_e32 vcc, s22, v44
	v_cmp_gt_u32_e64 s[8:9], s40, v4
	s_and_b64 s[50:51], s[8:9], vcc
	s_or_b64 s[34:35], s[34:35], exec
	s_and_saveexec_b64 s[8:9], s[50:51]
	s_cbranch_execz .LBB73_21
; %bb.23:                               ;   in Loop: Header=BB73_22 Depth=3
	s_waitcnt vmcnt(0)
	v_lshl_add_u64 v[12:13], v[44:45], 1, s[16:17]
	v_add_u32_e32 v44, s38, v1
	v_lshl_add_u64 v[14:15], v[44:45], 1, s[16:17]
	v_add_u32_e32 v44, s38, v0
	global_load_dwordx4 v[4:7], v[12:13], off
	global_load_dwordx4 v[8:11], v[14:15], off
	v_lshl_add_u64 v[12:13], v[44:45], 1, s[16:17]
	global_load_dwordx4 v[12:15], v[12:13], off
	s_add_i32 s38, s38, s41
	s_cmp_ge_u32 s38, s40
	s_cselect_b64 s[50:51], -1, 0
	s_andn2_b64 s[34:35], s[34:35], exec
	s_and_b64 s[50:51], s[50:51], exec
	v_add_u32_e32 v16, s49, v3
	v_add_u32_e32 v17, s47, v3
	s_or_b64 s[34:35], s[34:35], s[50:51]
	s_waitcnt vmcnt(2)
	ds_write_b128 v3, v[4:7]
	v_add_u32_e32 v3, s48, v3
	s_waitcnt vmcnt(1)
	ds_write2_b64 v16, v[8:9], v[10:11] offset1:1
	s_waitcnt vmcnt(0)
	ds_write2_b32 v17, v12, v13 offset1:1
	ds_write2_b32 v17, v14, v15 offset0:2 offset1:3
	s_branch .LBB73_21
.LBB73_24:                              ;   in Loop: Header=BB73_17 Depth=2
	s_or_b64 exec, exec, s[30:31]
.LBB73_25:                              ;   in Loop: Header=BB73_17 Depth=2
	s_waitcnt lgkmcnt(0)
	s_barrier
	s_and_saveexec_b64 s[8:9], s[6:7]
	s_cbranch_execz .LBB73_16
.LBB73_26:                              ;   in Loop: Header=BB73_17 Depth=2
	v_add_u32_e32 v61, s37, v50
	v_min_u32_e32 v44, s42, v61
	v_lshl_add_u64 v[0:1], v[44:45], 1, s[14:15]
	v_add_u32_e32 v62, 0x100, v61
	v_lshl_add_u64 v[2:3], v[0:1], 0, v[46:47]
	v_lshl_add_u64 v[0:1], v[0:1], 0, v[48:49]
	v_min_u32_e32 v44, s42, v62
	global_load_dwordx4 v[20:23], v[2:3], off nt
	global_load_dwordx4 v[16:19], v[0:1], off nt
	v_lshl_add_u64 v[0:1], v[44:45], 1, s[14:15]
	v_lshl_add_u64 v[8:9], v[0:1], 0, v[46:47]
	;; [unrolled: 1-line block ×3, first 2 shown]
	global_load_dwordx4 v[4:7], v[8:9], off nt
	global_load_dwordx4 v[0:3], v[10:11], off nt
	v_cmp_gt_u32_e32 vcc, s20, v61
	v_mov_b32_e32 v36, 0
	v_mov_b32_e32 v37, 0
	;; [unrolled: 1-line block ×16, first 2 shown]
	s_waitcnt vmcnt(4)
	v_mov_b32_e32 v12, 0
	v_mov_b32_e32 v13, 0
	;; [unrolled: 1-line block ×8, first 2 shown]
	s_and_saveexec_b64 s[30:31], vcc
	s_cbranch_execz .LBB73_15
; %bb.27:                               ;   in Loop: Header=BB73_17 Depth=2
	v_subrev_u32_e32 v8, s36, v61
	v_lshlrev_b32_e32 v63, 1, v8
	v_add_u32_e32 v61, s49, v63
	v_add_u32_e32 v44, s49, v61
	ds_read_b128 v[36:39], v63
	ds_read_b128 v[32:35], v61
	;; [unrolled: 1-line block ×3, first 2 shown]
	v_cmp_gt_u32_e32 vcc, s20, v62
	v_mov_b32_e32 v11, 0
	v_mov_b32_e32 v10, 0
	;; [unrolled: 1-line block ×12, first 2 shown]
	s_and_saveexec_b64 s[34:35], vcc
	s_cbranch_execz .LBB73_14
; %bb.28:                               ;   in Loop: Header=BB73_17 Depth=2
	ds_read_b128 v[24:27], v63 offset:512
	ds_read_b128 v[12:15], v61 offset:512
	;; [unrolled: 1-line block ×3, first 2 shown]
	s_branch .LBB73_14
.LBB73_29:                              ;   in Loop: Header=BB73_12 Depth=1
	v_cmp_le_u32_e32 vcc, s23, v42
	s_and_saveexec_b64 s[6:7], vcc
	s_xor_b64 s[6:7], exec, s[6:7]
; %bb.30:                               ;   in Loop: Header=BB73_12 Depth=1
	v_add_u32_e32 v42, s44, v42
                                        ; implicit-def: $vgpr60
                                        ; implicit-def: $vgpr59
                                        ; implicit-def: $vgpr58
                                        ; implicit-def: $vgpr57
                                        ; implicit-def: $vgpr43
                                        ; implicit-def: $vgpr56
; %bb.31:                               ;   in Loop: Header=BB73_12 Depth=1
	s_andn2_saveexec_b64 s[8:9], s[6:7]
	s_cbranch_execz .LBB73_11
; %bb.32:                               ;   in Loop: Header=BB73_12 Depth=1
	v_cvt_i32_f32_e32 v0, v60
	v_cvt_i32_f32_e32 v1, v59
	;; [unrolled: 1-line block ×4, first 2 shown]
	v_cvt_f32_i32_dpp v0, v0 row_shr:8 row_mask:0xf bank_mask:0xf bound_ctrl:1
	v_cvt_f32_i32_dpp v1, v1 row_shr:8 row_mask:0xf bank_mask:0xf bound_ctrl:1
	;; [unrolled: 1-line block ×4, first 2 shown]
	v_add_f32_e32 v0, v60, v0
	v_add_f32_e32 v1, v59, v1
	v_cvt_i32_f32_e32 v2, v0
	v_cvt_i32_f32_e32 v3, v1
	v_add_f32_e32 v4, v58, v4
	v_cvt_i32_f32_e32 v6, v4
	v_cvt_f32_i32_dpp v2, v2 row_shr:4 row_mask:0xf bank_mask:0xf bound_ctrl:1
	v_cvt_f32_i32_dpp v3, v3 row_shr:4 row_mask:0xf bank_mask:0xf bound_ctrl:1
	v_add_f32_e32 v5, v57, v5
	v_cvt_f32_i32_dpp v6, v6 row_shr:4 row_mask:0xf bank_mask:0xf bound_ctrl:1
	v_add_f32_e32 v0, v0, v2
	v_add_f32_e32 v1, v1, v3
	v_cvt_i32_f32_e32 v2, v0
	v_cvt_i32_f32_e32 v3, v1
	v_add_f32_e32 v4, v4, v6
	v_cvt_i32_f32_e32 v6, v4
	v_cvt_f32_i32_dpp v2, v2 row_shr:2 row_mask:0xf bank_mask:0xf bound_ctrl:1
	v_cvt_f32_i32_dpp v3, v3 row_shr:2 row_mask:0xf bank_mask:0xf bound_ctrl:1
	v_cvt_i32_f32_e32 v7, v5
	v_cvt_f32_i32_dpp v6, v6 row_shr:2 row_mask:0xf bank_mask:0xf bound_ctrl:1
	v_add_f32_e32 v0, v0, v2
	v_add_f32_e32 v1, v1, v3
	v_cvt_i32_f32_e32 v2, v0
	v_cvt_i32_f32_e32 v3, v1
	v_add_f32_e32 v8, v4, v6
	v_cvt_i32_f32_e32 v6, v8
	v_cvt_f32_i32_dpp v2, v2 row_shr:1 row_mask:0xf bank_mask:0xf bound_ctrl:1
	v_cvt_f32_i32_dpp v3, v3 row_shr:1 row_mask:0xf bank_mask:0xf bound_ctrl:1
	v_add_f32_e32 v0, v0, v2
	v_add_f32_e32 v1, v1, v3
	v_cvt_i32_f32_e32 v2, v0
	v_cvt_i32_f32_e32 v3, v1
	s_nop 0
	v_cvt_f32_i32_dpp v2, v2 row_bcast:15 row_mask:0xf bank_mask:0xf bound_ctrl:1
	v_cvt_f32_i32_dpp v3, v3 row_bcast:15 row_mask:0xf bank_mask:0xf bound_ctrl:1
	v_add_f32_e32 v4, v0, v2
	v_add_f32_e32 v0, v1, v3
	v_cvt_i32_f32_e32 v1, v4
	v_cvt_f32_i32_dpp v3, v7 row_shr:4 row_mask:0xf bank_mask:0xf bound_ctrl:1
	v_cvt_f32_i32_dpp v7, v6 row_shr:1 row_mask:0xf bank_mask:0xf bound_ctrl:1
	v_cvt_i32_f32_e32 v2, v0
	v_mov_b32_dpp v6, v1 row_bcast:31 row_mask:0xf bank_mask:0xf bound_ctrl:1
	v_cvt_i32_f32_e32 v1, v43
	v_add_f32_e32 v3, v5, v3
	v_cvt_i32_f32_e32 v5, v56
	v_cvt_i32_f32_e32 v9, v3
	v_cvt_f32_i32_dpp v1, v1 row_shr:8 row_mask:0xf bank_mask:0xf bound_ctrl:1
	v_add_f32_e32 v7, v8, v7
	v_cvt_f32_i32_dpp v5, v5 row_shr:8 row_mask:0xf bank_mask:0xf bound_ctrl:1
	v_cvt_f32_i32_dpp v8, v9 row_shr:2 row_mask:0xf bank_mask:0xf bound_ctrl:1
	v_add_f32_e32 v1, v43, v1
	v_cvt_i32_f32_e32 v9, v1
	v_add_f32_e32 v5, v56, v5
	v_cvt_i32_f32_e32 v10, v5
	v_add_f32_e32 v3, v3, v8
	v_cvt_f32_i32_dpp v9, v9 row_shr:4 row_mask:0xf bank_mask:0xf bound_ctrl:1
	v_cvt_i32_f32_e32 v11, v7
	v_cvt_f32_i32_dpp v8, v10 row_shr:4 row_mask:0xf bank_mask:0xf bound_ctrl:1
	v_cvt_i32_f32_e32 v10, v3
	v_add_f32_e32 v1, v1, v9
	v_cvt_i32_f32_e32 v9, v1
	v_add_f32_e32 v5, v5, v8
	v_cvt_i32_f32_e32 v8, v5
	v_cvt_f32_i32_dpp v10, v10 row_shr:1 row_mask:0xf bank_mask:0xf bound_ctrl:1
	v_cvt_f32_i32_dpp v9, v9 row_shr:2 row_mask:0xf bank_mask:0xf bound_ctrl:1
	v_cvt_f32_i32_dpp v11, v11 row_bcast:15 row_mask:0xf bank_mask:0xf bound_ctrl:1
	v_cvt_f32_i32_dpp v8, v8 row_shr:2 row_mask:0xf bank_mask:0xf bound_ctrl:1
	v_add_f32_e32 v3, v3, v10
	v_add_f32_e32 v1, v1, v9
	v_cvt_i32_f32_e32 v9, v1
	v_add_f32_e32 v5, v5, v8
	v_cvt_i32_f32_e32 v8, v5
	v_cvt_i32_f32_e32 v10, v3
	s_waitcnt vmcnt(0)
	v_cvt_f32_i32_dpp v12, v9 row_shr:1 row_mask:0xf bank_mask:0xf bound_ctrl:1
	v_add_f32_e32 v9, v7, v11
	v_cvt_f32_i32_dpp v7, v8 row_shr:1 row_mask:0xf bank_mask:0xf bound_ctrl:1
	v_cvt_f32_i32_dpp v8, v10 row_bcast:15 row_mask:0xf bank_mask:0xf bound_ctrl:1
	v_add_f32_e32 v1, v1, v12
	v_cvt_i32_f32_e32 v10, v1
	v_add_f32_e32 v7, v5, v7
	v_cvt_i32_f32_e32 v5, v7
	v_add_f32_e32 v8, v3, v8
	v_cvt_f32_i32_dpp v10, v10 row_bcast:15 row_mask:0xf bank_mask:0xf bound_ctrl:1
	v_cvt_i32_f32_e32 v11, v9
	v_cvt_f32_i32_dpp v3, v5 row_bcast:15 row_mask:0xf bank_mask:0xf bound_ctrl:1
	v_cvt_i32_f32_e32 v12, v8
	v_add_f32_e32 v5, v1, v10
	v_cvt_i32_f32_e32 v13, v5
	v_add_f32_e32 v1, v7, v3
	v_cvt_i32_f32_e32 v3, v1
	v_mov_b32_dpp v2, v2 row_bcast:31 row_mask:0xf bank_mask:0xf bound_ctrl:1
	v_mov_b32_dpp v11, v11 row_bcast:31 row_mask:0xf bank_mask:0xf bound_ctrl:1
	;; [unrolled: 1-line block ×5, first 2 shown]
	s_and_saveexec_b64 s[30:31], s[0:1]
	s_cbranch_execz .LBB73_42
; %bb.33:                               ;   in Loop: Header=BB73_12 Depth=1
	s_andn2_b64 vcc, exec, s[26:27]
	v_mov_b32_e32 v17, 0
	v_mov_b32_e32 v16, 0
	;; [unrolled: 1-line block ×6, first 2 shown]
	s_cbranch_vccnz .LBB73_35
; %bb.34:                               ;   in Loop: Header=BB73_12 Depth=1
	v_mul_hi_u32 v12, v42, v51
	v_mul_lo_u32 v12, v12, s12
	v_sub_u32_e32 v12, v42, v12
	v_subrev_u32_e32 v13, s12, v12
	v_cmp_le_u32_e32 vcc, s12, v12
	v_mov_b32_e32 v15, v45
	s_nop 0
	v_cndmask_b32_e32 v12, v12, v13, vcc
	v_subrev_u32_e32 v13, s12, v12
	v_cmp_le_u32_e32 vcc, s12, v12
	s_nop 1
	v_cndmask_b32_e32 v44, v12, v13, vcc
	v_add_u32_e32 v12, 1, v42
	v_mul_hi_u32 v13, v12, v51
	v_mul_lo_u32 v13, v13, s12
	v_sub_u32_e32 v12, v12, v13
	v_subrev_u32_e32 v13, s12, v12
	v_cmp_le_u32_e32 vcc, s12, v12
	v_lshl_add_u64 v[18:19], v[44:45], 1, s[18:19]
	v_add_u32_e32 v14, s45, v44
	v_cndmask_b32_e32 v12, v12, v13, vcc
	v_subrev_u32_e32 v13, s12, v12
	v_cmp_le_u32_e32 vcc, s12, v12
	v_add_u32_e32 v44, s46, v44
	v_lshl_add_u64 v[22:23], v[14:15], 1, s[18:19]
	v_cndmask_b32_e32 v12, v12, v13, vcc
	v_mov_b32_e32 v13, v45
	v_add_u32_e32 v14, s45, v12
	v_lshl_add_u64 v[26:27], v[44:45], 1, s[18:19]
	v_add_u32_e32 v44, s46, v12
	v_lshl_add_u64 v[20:21], v[12:13], 1, s[18:19]
	v_lshl_add_u64 v[24:25], v[14:15], 1, s[18:19]
	;; [unrolled: 1-line block ×3, first 2 shown]
	global_load_ushort v17, v[18:19], off
	global_load_ushort v16, v[20:21], off
	;; [unrolled: 1-line block ×6, first 2 shown]
.LBB73_35:                              ;   in Loop: Header=BB73_12 Depth=1
	v_cmp_ne_u32_e32 vcc, 0, v40
	s_and_saveexec_b64 s[6:7], vcc
	s_cbranch_execnz .LBB73_47
; %bb.36:                               ;   in Loop: Header=BB73_12 Depth=1
	s_or_b64 exec, exec, s[6:7]
	v_cmp_ne_u32_e64 s[6:7], 0, v41
	s_and_saveexec_b64 s[34:35], s[6:7]
	s_cbranch_execnz .LBB73_48
.LBB73_37:                              ;   in Loop: Header=BB73_12 Depth=1
	s_or_b64 exec, exec, s[34:35]
	v_add_u32_e32 v44, s23, v42
	s_and_saveexec_b64 s[34:35], vcc
	s_cbranch_execnz .LBB73_49
.LBB73_38:                              ;   in Loop: Header=BB73_12 Depth=1
	s_or_b64 exec, exec, s[34:35]
	s_and_saveexec_b64 s[34:35], s[6:7]
	s_cbranch_execnz .LBB73_50
.LBB73_39:                              ;   in Loop: Header=BB73_12 Depth=1
	s_or_b64 exec, exec, s[34:35]
	v_add_u32_e32 v44, s23, v44
	s_and_saveexec_b64 s[34:35], vcc
	s_cbranch_execnz .LBB73_51
.LBB73_40:                              ;   in Loop: Header=BB73_12 Depth=1
	s_or_b64 exec, exec, s[34:35]
	s_and_b64 exec, exec, s[6:7]
	s_cbranch_execz .LBB73_42
.LBB73_41:                              ;   in Loop: Header=BB73_12 Depth=1
	v_cvt_f32_i32_e32 v0, v3
	s_waitcnt vmcnt(0)
	v_cvt_f32_f16_e32 v2, v12
	v_add_u32_e32 v44, 1, v44
	v_add_f32_e32 v0, v1, v0
	v_add_f32_e32 v0, v0, v2
	v_cvt_f16_f32_e32 v2, v0
	v_lshl_add_u64 v[0:1], v[44:45], 1, s[10:11]
	global_store_short v[0:1], v2, off
.LBB73_42:                              ;   in Loop: Header=BB73_12 Depth=1
	s_or_b64 exec, exec, s[30:31]
	v_add_u32_e32 v42, s44, v42
	v_add_u32_e32 v0, 2, v42
	v_cmp_gt_u32_e32 vcc, s23, v42
	v_cmp_le_u32_e64 s[6:7], s23, v0
	s_and_b64 s[6:7], vcc, s[6:7]
	s_and_saveexec_b64 s[30:31], s[6:7]
	s_cbranch_execz .LBB73_10
; %bb.43:                               ;   in Loop: Header=BB73_12 Depth=1
	v_cmp_ne_u32_e32 vcc, s13, v42
	s_and_saveexec_b64 s[34:35], vcc
	s_cbranch_execz .LBB73_9
; %bb.44:                               ;   in Loop: Header=BB73_12 Depth=1
	v_subrev_u32_e32 v0, s13, v42
	v_cmp_lt_u32_e32 vcc, 1, v0
	s_mov_b64 s[36:37], 0
	s_mov_b64 s[38:39], 0
	v_cndmask_b32_e32 v0, 1, v0, vcc
.LBB73_45:                              ;   Parent Loop BB73_12 Depth=1
                                        ; =>  This Inner Loop Header: Depth=2
	s_cmp_lg_u32 s38, 1
	s_cselect_b64 vcc, -1, 0
	s_cmp_lg_u32 s38, 0
	v_cndmask_b32_e32 v41, 0, v41, vcc
	s_cselect_b64 vcc, -1, 0
	s_add_u32 s38, s38, 1
	s_addc_u32 s39, s39, 0
	v_cmp_eq_u32_e64 s[6:7], s38, v0
	s_or_b64 s[36:37], s[6:7], s[36:37]
	v_cndmask_b32_e32 v40, 0, v40, vcc
	s_andn2_b64 exec, exec, s[36:37]
	s_cbranch_execnz .LBB73_45
; %bb.46:                               ;   in Loop: Header=BB73_12 Depth=1
	s_or_b64 exec, exec, s[36:37]
	s_branch .LBB73_9
.LBB73_47:                              ;   in Loop: Header=BB73_12 Depth=1
	v_cvt_f32_i32_e32 v6, v6
	s_waitcnt vmcnt(5)
	v_cvt_f32_f16_e32 v17, v17
	v_mov_b32_e32 v43, v45
	v_lshl_add_u64 v[18:19], v[42:43], 1, s[10:11]
	v_add_f32_e32 v4, v4, v6
	v_add_f32_e32 v4, v4, v17
	v_cvt_f16_f32_e32 v4, v4
	global_store_short v[18:19], v4, off
	s_or_b64 exec, exec, s[6:7]
	v_cmp_ne_u32_e64 s[6:7], 0, v41
	s_and_saveexec_b64 s[34:35], s[6:7]
	s_cbranch_execz .LBB73_37
.LBB73_48:                              ;   in Loop: Header=BB73_12 Depth=1
	v_cvt_f32_i32_e32 v2, v2
	s_waitcnt vmcnt(4)
	v_cvt_f32_f16_e32 v4, v16
	v_mov_b32_e32 v43, v45
	v_lshl_add_u64 v[16:17], v[42:43], 1, s[28:29]
	v_add_f32_e32 v0, v0, v2
	v_add_f32_e32 v0, v0, v4
	v_cvt_f16_f32_e32 v0, v0
	global_store_short v[16:17], v0, off
	s_or_b64 exec, exec, s[34:35]
	v_add_u32_e32 v44, s23, v42
	s_and_saveexec_b64 s[34:35], vcc
	s_cbranch_execz .LBB73_38
.LBB73_49:                              ;   in Loop: Header=BB73_12 Depth=1
	v_cvt_f32_i32_e32 v0, v11
	s_waitcnt vmcnt(3)
	v_cvt_f32_f16_e32 v2, v15
	v_lshl_add_u64 v[16:17], v[44:45], 1, s[10:11]
	v_add_f32_e32 v0, v9, v0
	v_add_f32_e32 v0, v0, v2
	v_cvt_f16_f32_e32 v0, v0
	global_store_short v[16:17], v0, off
	s_or_b64 exec, exec, s[34:35]
	s_and_saveexec_b64 s[34:35], s[6:7]
	s_cbranch_execz .LBB73_39
.LBB73_50:                              ;   in Loop: Header=BB73_12 Depth=1
	v_cvt_f32_i32_e32 v0, v10
	s_waitcnt vmcnt(2)
	v_cvt_f32_f16_e32 v2, v14
	v_mov_b32_e32 v9, v45
	v_add_f32_e32 v0, v8, v0
	v_add_f32_e32 v0, v0, v2
	v_cvt_f16_f32_e32 v0, v0
	v_add_u32_e32 v8, 1, v44
	v_lshl_add_u64 v[8:9], v[8:9], 1, s[10:11]
	global_store_short v[8:9], v0, off
	s_or_b64 exec, exec, s[34:35]
	v_add_u32_e32 v44, s23, v44
	s_and_saveexec_b64 s[34:35], vcc
	s_cbranch_execz .LBB73_40
.LBB73_51:                              ;   in Loop: Header=BB73_12 Depth=1
	v_cvt_f32_i32_e32 v0, v7
	s_waitcnt vmcnt(1)
	v_cvt_f32_f16_e32 v2, v13
	v_add_f32_e32 v0, v5, v0
	v_add_f32_e32 v0, v0, v2
	v_cvt_f16_f32_e32 v0, v0
	v_lshl_add_u64 v[4:5], v[44:45], 1, s[10:11]
	global_store_short v[4:5], v0, off
	s_or_b64 exec, exec, s[34:35]
	s_and_b64 exec, exec, s[6:7]
	s_cbranch_execnz .LBB73_41
	s_branch .LBB73_42
.LBB73_52:
	s_endpgm
	.section	.rodata,"a",@progbits
	.p2align	6, 0x0
	.amdhsa_kernel _Z16wvSplitK_hf_big_I6__halfLi32ELi2ELi16ELi8ELi2ELi3EEviiiiiiPKT_S3_S3_PS1_ii
		.amdhsa_group_segment_fixed_size 65536
		.amdhsa_private_segment_fixed_size 0
		.amdhsa_kernarg_size 64
		.amdhsa_user_sgpr_count 2
		.amdhsa_user_sgpr_dispatch_ptr 0
		.amdhsa_user_sgpr_queue_ptr 0
		.amdhsa_user_sgpr_kernarg_segment_ptr 1
		.amdhsa_user_sgpr_dispatch_id 0
		.amdhsa_user_sgpr_kernarg_preload_length 0
		.amdhsa_user_sgpr_kernarg_preload_offset 0
		.amdhsa_user_sgpr_private_segment_size 0
		.amdhsa_uses_dynamic_stack 0
		.amdhsa_enable_private_segment 0
		.amdhsa_system_sgpr_workgroup_id_x 1
		.amdhsa_system_sgpr_workgroup_id_y 0
		.amdhsa_system_sgpr_workgroup_id_z 0
		.amdhsa_system_sgpr_workgroup_info 0
		.amdhsa_system_vgpr_workitem_id 1
		.amdhsa_next_free_vgpr 64
		.amdhsa_next_free_sgpr 52
		.amdhsa_accum_offset 64
		.amdhsa_reserve_vcc 1
		.amdhsa_float_round_mode_32 0
		.amdhsa_float_round_mode_16_64 0
		.amdhsa_float_denorm_mode_32 3
		.amdhsa_float_denorm_mode_16_64 3
		.amdhsa_dx10_clamp 1
		.amdhsa_ieee_mode 1
		.amdhsa_fp16_overflow 0
		.amdhsa_tg_split 0
		.amdhsa_exception_fp_ieee_invalid_op 0
		.amdhsa_exception_fp_denorm_src 0
		.amdhsa_exception_fp_ieee_div_zero 0
		.amdhsa_exception_fp_ieee_overflow 0
		.amdhsa_exception_fp_ieee_underflow 0
		.amdhsa_exception_fp_ieee_inexact 0
		.amdhsa_exception_int_div_zero 0
	.end_amdhsa_kernel
	.section	.text._Z16wvSplitK_hf_big_I6__halfLi32ELi2ELi16ELi8ELi2ELi3EEviiiiiiPKT_S3_S3_PS1_ii,"axG",@progbits,_Z16wvSplitK_hf_big_I6__halfLi32ELi2ELi16ELi8ELi2ELi3EEviiiiiiPKT_S3_S3_PS1_ii,comdat
.Lfunc_end73:
	.size	_Z16wvSplitK_hf_big_I6__halfLi32ELi2ELi16ELi8ELi2ELi3EEviiiiiiPKT_S3_S3_PS1_ii, .Lfunc_end73-_Z16wvSplitK_hf_big_I6__halfLi32ELi2ELi16ELi8ELi2ELi3EEviiiiiiPKT_S3_S3_PS1_ii
                                        ; -- End function
	.section	.AMDGPU.csdata,"",@progbits
; Kernel info:
; codeLenInByte = 3356
; NumSgprs: 58
; NumVgprs: 64
; NumAgprs: 0
; TotalNumVgprs: 64
; ScratchSize: 0
; MemoryBound: 0
; FloatMode: 240
; IeeeMode: 1
; LDSByteSize: 65536 bytes/workgroup (compile time only)
; SGPRBlocks: 7
; VGPRBlocks: 7
; NumSGPRsForWavesPerEU: 58
; NumVGPRsForWavesPerEU: 64
; AccumOffset: 64
; Occupancy: 2
; WaveLimiterHint : 0
; COMPUTE_PGM_RSRC2:SCRATCH_EN: 0
; COMPUTE_PGM_RSRC2:USER_SGPR: 2
; COMPUTE_PGM_RSRC2:TRAP_HANDLER: 0
; COMPUTE_PGM_RSRC2:TGID_X_EN: 1
; COMPUTE_PGM_RSRC2:TGID_Y_EN: 0
; COMPUTE_PGM_RSRC2:TGID_Z_EN: 0
; COMPUTE_PGM_RSRC2:TIDIG_COMP_CNT: 1
; COMPUTE_PGM_RSRC3_GFX90A:ACCUM_OFFSET: 15
; COMPUTE_PGM_RSRC3_GFX90A:TG_SPLIT: 0
	.section	.text._Z16wvSplitK_hf_sml_I6__halfLi32ELi3ELi16ELi8ELi2ELi3EEviiiiiiPKT_S3_S3_PS1_ii,"axG",@progbits,_Z16wvSplitK_hf_sml_I6__halfLi32ELi3ELi16ELi8ELi2ELi3EEviiiiiiPKT_S3_S3_PS1_ii,comdat
	.protected	_Z16wvSplitK_hf_sml_I6__halfLi32ELi3ELi16ELi8ELi2ELi3EEviiiiiiPKT_S3_S3_PS1_ii ; -- Begin function _Z16wvSplitK_hf_sml_I6__halfLi32ELi3ELi16ELi8ELi2ELi3EEviiiiiiPKT_S3_S3_PS1_ii
	.globl	_Z16wvSplitK_hf_sml_I6__halfLi32ELi3ELi16ELi8ELi2ELi3EEviiiiiiPKT_S3_S3_PS1_ii
	.p2align	8
	.type	_Z16wvSplitK_hf_sml_I6__halfLi32ELi3ELi16ELi8ELi2ELi3EEviiiiiiPKT_S3_S3_PS1_ii,@function
_Z16wvSplitK_hf_sml_I6__halfLi32ELi3ELi16ELi8ELi2ELi3EEviiiiiiPKT_S3_S3_PS1_ii: ; @_Z16wvSplitK_hf_sml_I6__halfLi32ELi3ELi16ELi8ELi2ELi3EEviiiiiiPKT_S3_S3_PS1_ii
; %bb.0:
	s_load_dwordx4 s[4:7], s[0:1], 0x0
	v_and_b32_e32 v4, 0x3ff, v0
	v_bfe_u32 v5, v0, 10, 10
	v_lshlrev_b32_e32 v62, 3, v4
	v_lshl_add_u32 v6, v5, 8, v62
	s_waitcnt lgkmcnt(0)
	s_mul_i32 s3, s6, 3
	s_min_u32 s3, s3, 0x8000
	v_cmp_gt_u32_e32 vcc, s3, v6
	s_and_saveexec_b64 s[8:9], vcc
	s_cbranch_execz .LBB74_9
; %bb.1:
	s_load_dwordx2 s[10:11], s[0:1], 0x20
	v_lshlrev_b32_e32 v0, 1, v6
	v_add_u32_e32 v1, 0x1000, v6
	v_cmp_gt_u32_e32 vcc, s3, v1
	s_waitcnt lgkmcnt(0)
	global_load_dwordx4 v[8:11], v0, s[10:11]
	s_waitcnt vmcnt(0)
	ds_write_b128 v0, v[8:11]
	s_and_saveexec_b64 s[12:13], vcc
	s_xor_b64 s[12:13], exec, s[12:13]
	s_cbranch_execz .LBB74_9
; %bb.2:
	v_mov_b32_e32 v1, 0
	v_lshl_add_u64 v[2:3], s[10:11], 0, v[0:1]
	v_add_co_u32_e32 v8, vcc, 0x2000, v2
	v_add_u32_e32 v1, 0x2000, v6
	s_nop 0
	v_addc_co_u32_e32 v9, vcc, 0, v3, vcc
	global_load_dwordx4 v[8:11], v[8:9], off
	v_cmp_gt_u32_e32 vcc, s3, v1
	s_waitcnt vmcnt(0)
	ds_write_b128 v0, v[8:11] offset:8192
	s_and_saveexec_b64 s[10:11], vcc
	s_xor_b64 s[10:11], exec, s[10:11]
	s_cbranch_execz .LBB74_9
; %bb.3:
	v_add_co_u32_e32 v8, vcc, 0x4000, v2
	v_add_u32_e32 v1, 0x3000, v6
	s_nop 0
	v_addc_co_u32_e32 v9, vcc, 0, v3, vcc
	global_load_dwordx4 v[8:11], v[8:9], off
	v_cmp_gt_u32_e32 vcc, s3, v1
	s_waitcnt vmcnt(0)
	ds_write_b128 v0, v[8:11] offset:16384
	s_and_saveexec_b64 s[10:11], vcc
	s_xor_b64 s[10:11], exec, s[10:11]
	s_cbranch_execz .LBB74_9
; %bb.4:
	;; [unrolled: 12-line block ×6, first 2 shown]
	v_add_co_u32_e32 v2, vcc, 0xe000, v2
	s_nop 1
	v_addc_co_u32_e32 v3, vcc, 0, v3, vcc
	global_load_dwordx4 v[6:9], v[2:3], off
	s_waitcnt vmcnt(0)
	ds_write_b128 v0, v[6:9] offset:57344
.LBB74_9:
	s_or_b64 exec, exec, s[8:9]
	s_load_dwordx2 s[16:17], s[0:1], 0x38
	s_waitcnt lgkmcnt(0)
	s_barrier
	v_cmp_gt_u32_e32 vcc, s16, v5
	s_and_saveexec_b64 s[8:9], vcc
	s_cbranch_execz .LBB74_26
; %bb.10:
	s_load_dwordx2 s[12:13], s[0:1], 0x10
	s_mul_i32 s2, s2, s16
	v_add_u32_e32 v0, s2, v5
	v_lshl_add_u32 v40, v0, 1, v0
	v_cmp_gt_u32_e32 vcc, s7, v40
	s_and_b64 exec, exec, vcc
	s_cbranch_execz .LBB74_26
; %bb.11:
	s_load_dwordx4 s[8:11], s[0:1], 0x28
	s_load_dwordx2 s[14:15], s[0:1], 0x18
	s_cmp_lg_u32 s4, 0
	s_cselect_b64 s[2:3], -1, 0
	s_add_i32 s24, s4, -8
	s_add_i32 s25, s7, -1
	s_waitcnt lgkmcnt(0)
	s_cmp_lg_u64 s[8:9], 0
	s_mul_i32 s20, s16, s17
	s_cselect_b64 s[16:17], -1, 0
	s_abs_i32 s21, s13
	v_cvt_f32_u32_e32 v0, s12
	v_cvt_f32_u32_e32 v1, s21
	s_mul_i32 s13, s20, 3
	s_sub_i32 s20, 0, s12
	v_rcp_iflag_f32_e32 v0, v0
	v_rcp_iflag_f32_e32 v1, v1
	v_cmp_eq_u32_e64 s[0:1], 31, v4
	s_mov_b64 s[18:19], 0
	v_mul_f32_e32 v0, 0x4f7ffffe, v0
	v_mul_f32_e32 v1, 0x4f7ffffe, v1
	v_cvt_u32_f32_e32 v0, v0
	v_cvt_u32_f32_e32 v1, v1
	v_lshlrev_b32_e32 v64, 4, v4
	v_mov_b32_e32 v43, 0
	v_mul_lo_u32 v2, s20, v0
	s_sub_i32 s20, 0, s21
	v_readfirstlane_b32 s22, v1
	s_mul_i32 s20, s20, s22
	s_mul_hi_u32 s20, s22, s20
	s_add_i32 s22, s22, s20
	s_sub_i32 s20, 1, s21
	s_cmp_lt_u32 s21, 2
	s_cselect_b32 s20, s20, 1
	s_sub_i32 s23, s20, s21
	s_cmp_ge_u32 s20, s21
	s_cselect_b32 s26, s23, s20
	s_lshr_b32 s20, s22, 31
	s_mul_i32 s20, s20, s21
	s_sub_i32 s20, 2, s20
	s_sub_i32 s22, s20, s21
	s_cmp_ge_u32 s20, s21
	s_cselect_b32 s20, s22, s20
	s_sub_i32 s22, s20, s21
	v_mul_hi_u32 v2, v0, v2
	s_cmp_ge_u32 s20, s21
	v_add_u32_e32 v63, v0, v2
	s_cselect_b32 s27, s22, s20
	v_cndmask_b32_e64 v0, 0, 1, s[2:3]
	s_mul_i32 s26, s26, s12
	s_mul_i32 s27, s27, s12
	s_lshl_b32 s28, s6, 2
	s_lshl_b32 s6, s6, 1
	v_cmp_ne_u32_e64 s[2:3], 1, v0
	s_branch .LBB74_14
.LBB74_12:                              ;   in Loop: Header=BB74_14 Depth=1
	v_cvt_f32_i32_e32 v2, v2
	v_cvt_f32_i32_e32 v4, v4
	;; [unrolled: 1-line block ×3, first 2 shown]
	v_add_u32_e32 v42, s7, v40
	v_add_f32_e32 v0, v0, v2
	v_add_f32_e32 v2, v1, v4
	v_cvt_f32_i32_e32 v1, v8
	s_waitcnt vmcnt(8)
	v_cvt_f32_f16_e32 v8, v26
	v_cvt_f32_i32_e32 v4, v9
	v_add_f32_e32 v3, v3, v6
	v_add_f32_e32 v5, v5, v1
	v_cvt_f32_i32_e32 v1, v16
	v_cvt_f32_i32_e32 v6, v17
	v_add_f32_e32 v0, v0, v8
	v_cvt_f16_f32_e32 v8, v0
	v_add_f32_e32 v9, v11, v1
	v_cvt_f32_i32_e32 v1, v14
	v_add_f32_e32 v6, v10, v6
	s_waitcnt vmcnt(7)
	v_cvt_f32_f16_e32 v11, v25
	v_add_f32_e32 v4, v7, v4
	v_add_f32_e32 v10, v12, v1
	v_lshl_add_u64 v[0:1], v[40:41], 1, s[10:11]
	global_store_short v[0:1], v8, off
	s_waitcnt vmcnt(7)
	v_cvt_f32_f16_e32 v8, v24
	v_add_f32_e32 v0, v2, v11
	v_cvt_f16_f32_e32 v2, v0
	v_lshl_add_u64 v[0:1], v[46:47], 1, s[10:11]
	v_add_f32_e32 v3, v3, v8
	v_cvt_f16_f32_e32 v3, v3
	s_waitcnt vmcnt(6)
	v_cvt_f32_f16_e32 v8, v23
	global_store_short v[0:1], v2, off
	v_lshl_add_u64 v[0:1], v[44:45], 1, s[10:11]
	global_store_short v[0:1], v3, off
	v_add_f32_e32 v0, v5, v8
	v_cvt_f16_f32_e32 v2, v0
	s_waitcnt vmcnt(7)
	v_cvt_f32_f16_e32 v3, v22
	v_lshl_add_u64 v[0:1], v[42:43], 1, s[10:11]
	v_cvt_f32_i32_e32 v7, v15
	global_store_short v[0:1], v2, off
	v_add_f32_e32 v0, v4, v3
	v_cvt_f16_f32_e32 v2, v0
	s_waitcnt vmcnt(7)
	v_cvt_f32_f16_e32 v3, v21
	v_add_u32_e32 v0, 1, v42
	v_mov_b32_e32 v1, v43
	v_lshl_add_u64 v[0:1], v[0:1], 1, s[10:11]
	global_store_short v[0:1], v2, off
	v_add_f32_e32 v0, v6, v3
	v_cvt_f16_f32_e32 v2, v0
	s_waitcnt vmcnt(7)
	v_cvt_f32_f16_e32 v3, v20
	v_add_u32_e32 v0, 2, v42
	v_mov_b32_e32 v1, v43
	v_lshl_add_u64 v[0:1], v[0:1], 1, s[10:11]
	global_store_short v[0:1], v2, off
	v_add_f32_e32 v0, v9, v3
	v_cvt_f16_f32_e32 v2, v0
	s_waitcnt vmcnt(7)
	v_cvt_f32_f16_e32 v3, v18
	v_add_u32_e32 v42, s7, v42
	v_add_f32_e32 v7, v13, v7
	v_lshl_add_u64 v[0:1], v[42:43], 1, s[10:11]
	global_store_short v[0:1], v2, off
	v_add_f32_e32 v0, v7, v3
	s_waitcnt vmcnt(7)
	v_cvt_f32_f16_e32 v3, v19
	v_cvt_f16_f32_e32 v2, v0
	v_add_u32_e32 v0, 1, v42
	v_mov_b32_e32 v1, v43
	v_add_f32_e32 v3, v10, v3
	v_cvt_f16_f32_e32 v3, v3
	v_lshl_add_u64 v[0:1], v[0:1], 1, s[10:11]
	v_add_u32_e32 v42, 2, v42
	global_store_short v[0:1], v2, off
	v_lshl_add_u64 v[0:1], v[42:43], 1, s[10:11]
	global_store_short v[0:1], v3, off
.LBB74_13:                              ;   in Loop: Header=BB74_14 Depth=1
	s_or_b64 exec, exec, s[20:21]
	v_add_u32_e32 v40, s13, v40
	v_cmp_le_u32_e32 vcc, s7, v40
	s_or_b64 s[18:19], vcc, s[18:19]
	s_andn2_b64 exec, exec, s[18:19]
	s_cbranch_execz .LBB74_26
.LBB74_14:                              ; =>This Loop Header: Depth=1
                                        ;     Child Loop BB74_18 Depth 2
	s_mov_b32 s29, 0
	s_and_b64 vcc, exec, s[2:3]
	v_add_u32_e32 v46, 1, v40
	v_add_u32_e32 v44, 2, v40
	v_mov_b32_e32 v70, v43
	v_mov_b32_e32 v69, v43
	;; [unrolled: 1-line block ×9, first 2 shown]
	s_cbranch_vccnz .LBB74_21
; %bb.15:                               ;   in Loop: Header=BB74_14 Depth=1
	v_min_u32_e32 v0, s25, v40
	v_mul_lo_u32 v42, v0, s5
	v_min_u32_e32 v0, s25, v46
	v_min_u32_e32 v2, s25, v44
	v_mul_lo_u32 v0, v0, s5
	v_mov_b32_e32 v1, v43
	v_mul_lo_u32 v2, v2, s5
	v_mov_b32_e32 v3, v43
	v_mov_b32_e32 v47, 0
	v_lshlrev_b64 v[48:49], 1, v[42:43]
	v_lshlrev_b64 v[50:51], 1, v[0:1]
	;; [unrolled: 1-line block ×3, first 2 shown]
	v_mov_b32_e32 v71, v64
	v_mov_b32_e32 v45, 0
	;; [unrolled: 1-line block ×9, first 2 shown]
	s_branch .LBB74_18
.LBB74_16:                              ;   in Loop: Header=BB74_18 Depth=2
	s_or_b64 exec, exec, s[22:23]
.LBB74_17:                              ;   in Loop: Header=BB74_18 Depth=2
	s_or_b64 exec, exec, s[20:21]
	s_waitcnt vmcnt(5) lgkmcnt(1)
	;;#ASMSTART
	v_dot2c_f32_f16 v70, v36, v24
	;;#ASMEND
	s_waitcnt vmcnt(4)
	;;#ASMSTART
	v_dot2c_f32_f16 v69, v36, v16
	;;#ASMEND
	s_waitcnt vmcnt(3)
	;;#ASMSTART
	v_dot2c_f32_f16 v68, v36, v20
	;;#ASMEND
	;;#ASMSTART
	v_dot2c_f32_f16 v67, v32, v24
	;;#ASMEND
	;;#ASMSTART
	v_dot2c_f32_f16 v66, v32, v16
	;;#ASMEND
	;;#ASMSTART
	v_dot2c_f32_f16 v65, v32, v20
	;;#ASMEND
	;;#ASMSTART
	v_dot2c_f32_f16 v47, v58, v24
	;;#ASMEND
	;;#ASMSTART
	v_dot2c_f32_f16 v45, v58, v16
	;;#ASMEND
	;;#ASMSTART
	v_dot2c_f32_f16 v41, v58, v20
	;;#ASMEND
	;;#ASMSTART
	v_dot2c_f32_f16 v70, v37, v25
	;;#ASMEND
	;;#ASMSTART
	v_dot2c_f32_f16 v69, v37, v17
	;;#ASMEND
	s_nop 0
	;;#ASMSTART
	v_dot2c_f32_f16 v68, v37, v21
	;;#ASMEND
	;;#ASMSTART
	v_dot2c_f32_f16 v67, v33, v25
	;;#ASMEND
	;; [unrolled: 3-line block ×9, first 2 shown]
	s_nop 0
	;;#ASMSTART
	v_dot2c_f32_f16 v68, v38, v22
	;;#ASMEND
	;;#ASMSTART
	v_dot2c_f32_f16 v67, v34, v26
	;;#ASMEND
	;; [unrolled: 3-line block ×4, first 2 shown]
	s_waitcnt lgkmcnt(0)
	;;#ASMSTART
	v_dot2c_f32_f16 v47, v60, v26
	;;#ASMEND
	;;#ASMSTART
	v_dot2c_f32_f16 v45, v60, v18
	;;#ASMEND
	;; [unrolled: 3-line block ×9, first 2 shown]
	s_nop 0
	;;#ASMSTART
	v_dot2c_f32_f16 v47, v61, v27
	;;#ASMEND
	;;#ASMSTART
	v_dot2c_f32_f16 v45, v61, v19
	;;#ASMEND
	;; [unrolled: 3-line block ×3, first 2 shown]
	s_waitcnt vmcnt(2)
	;;#ASMSTART
	v_dot2c_f32_f16 v70, v28, v8
	;;#ASMEND
	s_waitcnt vmcnt(1)
	;;#ASMSTART
	v_dot2c_f32_f16 v69, v28, v4
	;;#ASMEND
	;; [unrolled: 4-line block ×3, first 2 shown]
	;;#ASMSTART
	v_dot2c_f32_f16 v67, v12, v8
	;;#ASMEND
	;;#ASMSTART
	v_dot2c_f32_f16 v66, v12, v4
	;;#ASMEND
	;;#ASMSTART
	v_dot2c_f32_f16 v65, v12, v0
	;;#ASMEND
	;;#ASMSTART
	v_dot2c_f32_f16 v47, v56, v8
	;;#ASMEND
	;;#ASMSTART
	v_dot2c_f32_f16 v45, v56, v4
	;;#ASMEND
	;;#ASMSTART
	v_dot2c_f32_f16 v41, v56, v0
	;;#ASMEND
	;;#ASMSTART
	v_dot2c_f32_f16 v70, v29, v9
	;;#ASMEND
	;;#ASMSTART
	v_dot2c_f32_f16 v69, v29, v5
	;;#ASMEND
	s_nop 0
	;;#ASMSTART
	v_dot2c_f32_f16 v68, v29, v1
	;;#ASMEND
	;;#ASMSTART
	v_dot2c_f32_f16 v67, v13, v9
	;;#ASMEND
	;; [unrolled: 3-line block ×7, first 2 shown]
	s_addk_i32 s29, 0x200
	;;#ASMSTART
	v_dot2c_f32_f16 v70, v30, v10
	;;#ASMEND
	;;#ASMSTART
	v_dot2c_f32_f16 v69, v30, v6
	;;#ASMEND
	;; [unrolled: 3-line block ×9, first 2 shown]
	s_cmp_ge_u32 s29, s4
	v_add_u32_e32 v71, 0x400, v71
	;;#ASMSTART
	v_dot2c_f32_f16 v70, v31, v11
	;;#ASMEND
	;;#ASMSTART
	v_dot2c_f32_f16 v69, v31, v7
	;;#ASMEND
	;; [unrolled: 3-line block ×9, first 2 shown]
	s_cbranch_scc1 .LBB74_21
.LBB74_18:                              ;   Parent Loop BB74_14 Depth=1
                                        ; =>  This Inner Loop Header: Depth=2
	v_add_u32_e32 v28, s29, v62
	v_min_u32_e32 v42, s24, v28
	v_lshl_add_u64 v[0:1], v[42:43], 1, s[14:15]
	v_add_u32_e32 v72, 0x100, v28
	v_lshl_add_u64 v[2:3], v[0:1], 0, v[48:49]
	v_min_u32_e32 v42, s24, v72
	v_lshl_add_u64 v[4:5], v[0:1], 0, v[50:51]
	global_load_dwordx4 v[24:27], v[2:3], off nt
	global_load_dwordx4 v[16:19], v[4:5], off nt
	v_lshl_add_u64 v[2:3], v[42:43], 1, s[14:15]
	v_lshl_add_u64 v[0:1], v[0:1], 0, v[52:53]
	;; [unrolled: 1-line block ×4, first 2 shown]
	global_load_dwordx4 v[20:23], v[0:1], off nt
	global_load_dwordx4 v[8:11], v[4:5], off nt
	v_lshl_add_u64 v[14:15], v[2:3], 0, v[52:53]
	global_load_dwordx4 v[4:7], v[12:13], off nt
	global_load_dwordx4 v[0:3], v[14:15], off nt
	v_cmp_gt_u32_e32 vcc, s4, v28
	v_mov_b32_e32 v36, 0
	v_mov_b32_e32 v37, 0
	;; [unrolled: 1-line block ×24, first 2 shown]
	s_and_saveexec_b64 s[20:21], vcc
	s_cbranch_execz .LBB74_17
; %bb.19:                               ;   in Loop: Header=BB74_18 Depth=2
	v_add_u32_e32 v73, s6, v71
	v_add_u32_e32 v42, s28, v71
	ds_read_b128 v[32:35], v73
	ds_read2_b32 v[58:59], v42 offset1:1
	ds_read_b128 v[36:39], v71
	ds_read2_b32 v[60:61], v42 offset0:2 offset1:3
	v_cmp_gt_u32_e32 vcc, s4, v72
	v_mov_b32_e32 v55, 0
	v_mov_b32_e32 v54, 0
	;; [unrolled: 1-line block ×12, first 2 shown]
	s_and_saveexec_b64 s[22:23], vcc
	s_cbranch_execz .LBB74_16
; %bb.20:                               ;   in Loop: Header=BB74_18 Depth=2
	ds_read_b128 v[12:15], v73 offset:512
	ds_read2_b32 v[56:57], v42 offset0:128 offset1:129
	ds_read_b128 v[28:31], v71 offset:512
	ds_read2_b32 v[54:55], v42 offset0:130 offset1:131
	s_branch .LBB74_16
.LBB74_21:                              ;   in Loop: Header=BB74_14 Depth=1
	; sched_barrier mask(0x00000000)
	v_cvt_i32_f32_e32 v0, v70
	v_cvt_i32_f32_e32 v1, v69
	;; [unrolled: 1-line block ×4, first 2 shown]
	v_cvt_f32_i32_dpp v0, v0 row_shr:8 row_mask:0xf bank_mask:0xf bound_ctrl:1
	v_cvt_f32_i32_dpp v1, v1 row_shr:8 row_mask:0xf bank_mask:0xf bound_ctrl:1
	;; [unrolled: 1-line block ×4, first 2 shown]
	v_add_f32_e32 v0, v70, v0
	v_cvt_i32_f32_e32 v5, v0
	v_add_f32_e32 v1, v69, v1
	v_cvt_i32_f32_e32 v6, v1
	v_add_f32_e32 v2, v68, v2
	v_cvt_f32_i32_dpp v5, v5 row_shr:4 row_mask:0xf bank_mask:0xf bound_ctrl:1
	v_cvt_i32_f32_e32 v7, v2
	v_cvt_f32_i32_dpp v6, v6 row_shr:4 row_mask:0xf bank_mask:0xf bound_ctrl:1
	v_add_f32_e32 v3, v67, v3
	v_add_f32_e32 v0, v0, v5
	v_cvt_i32_f32_e32 v5, v0
	v_add_f32_e32 v1, v1, v6
	v_cvt_i32_f32_e32 v6, v1
	v_cvt_f32_i32_dpp v7, v7 row_shr:4 row_mask:0xf bank_mask:0xf bound_ctrl:1
	v_cvt_f32_i32_dpp v5, v5 row_shr:2 row_mask:0xf bank_mask:0xf bound_ctrl:1
	v_cvt_i32_f32_e32 v4, v66
	v_cvt_f32_i32_dpp v6, v6 row_shr:2 row_mask:0xf bank_mask:0xf bound_ctrl:1
	v_add_f32_e32 v2, v2, v7
	v_add_f32_e32 v0, v0, v5
	v_cvt_i32_f32_e32 v5, v0
	v_add_f32_e32 v1, v1, v6
	v_cvt_i32_f32_e32 v6, v1
	v_cvt_i32_f32_e32 v7, v2
	v_cvt_f32_i32_dpp v5, v5 row_shr:1 row_mask:0xf bank_mask:0xf bound_ctrl:1
	v_cvt_i32_f32_e32 v8, v3
	v_cvt_f32_i32_dpp v6, v6 row_shr:1 row_mask:0xf bank_mask:0xf bound_ctrl:1
	v_cvt_f32_i32_dpp v7, v7 row_shr:2 row_mask:0xf bank_mask:0xf bound_ctrl:1
	v_add_f32_e32 v0, v0, v5
	v_cvt_i32_f32_e32 v5, v0
	v_add_f32_e32 v1, v1, v6
	v_cvt_i32_f32_e32 v6, v1
	v_cvt_f32_i32_dpp v4, v4 row_shr:8 row_mask:0xf bank_mask:0xf bound_ctrl:1
	v_cvt_f32_i32_dpp v5, v5 row_bcast:15 row_mask:0xf bank_mask:0xf bound_ctrl:1
	v_add_f32_e32 v7, v2, v7
	v_cvt_f32_i32_dpp v8, v8 row_shr:4 row_mask:0xf bank_mask:0xf bound_ctrl:1
	v_cvt_i32_f32_e32 v2, v7
	v_add_f32_e32 v0, v0, v5
	v_cvt_f32_i32_dpp v6, v6 row_bcast:15 row_mask:0xf bank_mask:0xf bound_ctrl:1
	v_cvt_i32_f32_e32 v5, v0
	v_add_f32_e32 v3, v3, v8
	v_add_f32_e32 v4, v66, v4
	v_cvt_f32_i32_dpp v9, v2 row_shr:1 row_mask:0xf bank_mask:0xf bound_ctrl:1
	v_add_f32_e32 v1, v1, v6
	v_mov_b32_dpp v2, v5 row_bcast:31 row_mask:0xf bank_mask:0xf bound_ctrl:1
	v_cvt_i32_f32_e32 v5, v3
	v_cvt_i32_f32_e32 v6, v4
	v_add_f32_e32 v7, v7, v9
	v_cvt_i32_f32_e32 v9, v7
	v_cvt_f32_i32_dpp v5, v5 row_shr:2 row_mask:0xf bank_mask:0xf bound_ctrl:1
	v_cvt_f32_i32_dpp v6, v6 row_shr:4 row_mask:0xf bank_mask:0xf bound_ctrl:1
	v_cvt_i32_f32_e32 v8, v1
	v_cvt_f32_i32_dpp v9, v9 row_bcast:15 row_mask:0xf bank_mask:0xf bound_ctrl:1
	v_add_f32_e32 v5, v3, v5
	v_add_f32_e32 v6, v4, v6
	v_cvt_i32_f32_e32 v3, v5
	v_cvt_i32_f32_e32 v10, v6
	v_mov_b32_dpp v4, v8 row_bcast:31 row_mask:0xf bank_mask:0xf bound_ctrl:1
	v_cvt_f32_i32_dpp v11, v3 row_shr:1 row_mask:0xf bank_mask:0xf bound_ctrl:1
	v_cvt_f32_i32_dpp v8, v10 row_shr:2 row_mask:0xf bank_mask:0xf bound_ctrl:1
	v_add_f32_e32 v3, v7, v9
	v_cvt_i32_f32_e32 v7, v65
	v_add_f32_e32 v5, v5, v11
	v_add_f32_e32 v6, v6, v8
	v_cvt_i32_f32_e32 v8, v6
	v_cvt_f32_i32_dpp v7, v7 row_shr:8 row_mask:0xf bank_mask:0xf bound_ctrl:1
	v_cvt_i32_f32_e32 v10, v3
	v_cvt_i32_f32_e32 v9, v5
	v_cvt_f32_i32_dpp v8, v8 row_shr:1 row_mask:0xf bank_mask:0xf bound_ctrl:1
	v_add_f32_e32 v7, v65, v7
	v_cvt_i32_f32_e32 v11, v7
	v_cvt_f32_i32_dpp v9, v9 row_bcast:15 row_mask:0xf bank_mask:0xf bound_ctrl:1
	v_add_f32_e32 v8, v6, v8
	v_mov_b32_dpp v6, v10 row_bcast:31 row_mask:0xf bank_mask:0xf bound_ctrl:1
	v_cvt_f32_i32_dpp v10, v11 row_shr:4 row_mask:0xf bank_mask:0xf bound_ctrl:1
	v_cvt_i32_f32_e32 v12, v8
	v_cvt_i32_f32_e32 v11, v47
	v_add_f32_e32 v5, v5, v9
	v_add_f32_e32 v10, v7, v10
	v_cvt_f32_i32_dpp v9, v12 row_bcast:15 row_mask:0xf bank_mask:0xf bound_ctrl:1
	v_cvt_i32_f32_e32 v12, v10
	v_cvt_f32_i32_dpp v11, v11 row_shr:8 row_mask:0xf bank_mask:0xf bound_ctrl:1
	v_cvt_i32_f32_e32 v13, v5
	v_add_f32_e32 v7, v8, v9
	v_cvt_f32_i32_dpp v8, v12 row_shr:2 row_mask:0xf bank_mask:0xf bound_ctrl:1
	v_add_f32_e32 v11, v47, v11
	v_cvt_i32_f32_e32 v12, v11
	v_cvt_i32_f32_e32 v9, v7
	v_add_f32_e32 v10, v10, v8
	v_cvt_i32_f32_e32 v14, v10
	v_cvt_f32_i32_dpp v12, v12 row_shr:4 row_mask:0xf bank_mask:0xf bound_ctrl:1
	v_mov_b32_dpp v8, v13 row_bcast:31 row_mask:0xf bank_mask:0xf bound_ctrl:1
	v_mov_b32_dpp v9, v9 row_bcast:31 row_mask:0xf bank_mask:0xf bound_ctrl:1
	v_cvt_f32_i32_dpp v13, v14 row_shr:1 row_mask:0xf bank_mask:0xf bound_ctrl:1
	v_cvt_i32_f32_e32 v14, v45
	v_add_f32_e32 v11, v11, v12
	v_cvt_i32_f32_e32 v12, v41
	v_cvt_i32_f32_e32 v15, v11
	v_cvt_f32_i32_dpp v14, v14 row_shr:8 row_mask:0xf bank_mask:0xf bound_ctrl:1
	v_add_f32_e32 v10, v10, v13
	v_cvt_f32_i32_dpp v12, v12 row_shr:8 row_mask:0xf bank_mask:0xf bound_ctrl:1
	v_cvt_f32_i32_dpp v13, v15 row_shr:2 row_mask:0xf bank_mask:0xf bound_ctrl:1
	v_add_f32_e32 v14, v45, v14
	v_cvt_i32_f32_e32 v15, v14
	v_add_f32_e32 v12, v41, v12
	v_cvt_i32_f32_e32 v16, v12
	v_add_f32_e32 v11, v11, v13
	v_cvt_f32_i32_dpp v15, v15 row_shr:4 row_mask:0xf bank_mask:0xf bound_ctrl:1
	v_cvt_i32_f32_e32 v17, v10
	v_cvt_f32_i32_dpp v13, v16 row_shr:4 row_mask:0xf bank_mask:0xf bound_ctrl:1
	v_cvt_i32_f32_e32 v16, v11
	v_add_f32_e32 v14, v14, v15
	v_cvt_i32_f32_e32 v15, v14
	v_add_f32_e32 v12, v12, v13
	v_cvt_i32_f32_e32 v13, v12
	v_cvt_f32_i32_dpp v16, v16 row_shr:1 row_mask:0xf bank_mask:0xf bound_ctrl:1
	v_cvt_f32_i32_dpp v15, v15 row_shr:2 row_mask:0xf bank_mask:0xf bound_ctrl:1
	v_cvt_f32_i32_dpp v17, v17 row_bcast:15 row_mask:0xf bank_mask:0xf bound_ctrl:1
	v_cvt_f32_i32_dpp v13, v13 row_shr:2 row_mask:0xf bank_mask:0xf bound_ctrl:1
	v_add_f32_e32 v11, v11, v16
	v_add_f32_e32 v14, v14, v15
	v_cvt_i32_f32_e32 v15, v14
	v_add_f32_e32 v12, v12, v13
	v_cvt_i32_f32_e32 v13, v12
	v_cvt_i32_f32_e32 v16, v11
	v_cvt_f32_i32_dpp v15, v15 row_shr:1 row_mask:0xf bank_mask:0xf bound_ctrl:1
	v_add_f32_e32 v10, v10, v17
	v_cvt_f32_i32_dpp v13, v13 row_shr:1 row_mask:0xf bank_mask:0xf bound_ctrl:1
	v_cvt_f32_i32_dpp v16, v16 row_bcast:15 row_mask:0xf bank_mask:0xf bound_ctrl:1
	v_add_f32_e32 v14, v14, v15
	v_cvt_i32_f32_e32 v15, v14
	v_add_f32_e32 v12, v12, v13
	v_cvt_i32_f32_e32 v13, v12
	v_add_f32_e32 v11, v11, v16
	v_cvt_f32_i32_dpp v15, v15 row_bcast:15 row_mask:0xf bank_mask:0xf bound_ctrl:1
	v_cvt_i32_f32_e32 v17, v10
	v_cvt_f32_i32_dpp v16, v13 row_bcast:15 row_mask:0xf bank_mask:0xf bound_ctrl:1
	v_cvt_i32_f32_e32 v18, v11
	v_add_f32_e32 v13, v14, v15
	v_cvt_i32_f32_e32 v14, v13
	v_add_f32_e32 v12, v12, v16
	v_cvt_i32_f32_e32 v19, v12
	v_mov_b32_dpp v17, v17 row_bcast:31 row_mask:0xf bank_mask:0xf bound_ctrl:1
	v_mov_b32_dpp v16, v18 row_bcast:31 row_mask:0xf bank_mask:0xf bound_ctrl:1
	;; [unrolled: 1-line block ×4, first 2 shown]
	s_and_saveexec_b64 s[20:21], s[0:1]
	s_cbranch_execz .LBB74_13
; %bb.22:                               ;   in Loop: Header=BB74_14 Depth=1
	s_and_b64 vcc, exec, s[16:17]
	s_cbranch_vccz .LBB74_24
; %bb.23:                               ;   in Loop: Header=BB74_14 Depth=1
	v_mul_hi_u32 v18, v40, v63
	v_mul_lo_u32 v18, v18, s12
	v_sub_u32_e32 v18, v40, v18
	v_subrev_u32_e32 v19, s12, v18
	v_cmp_le_u32_e32 vcc, s12, v18
	v_mov_b32_e32 v21, v43
	v_mov_b32_e32 v33, v43
	v_cndmask_b32_e32 v18, v18, v19, vcc
	v_subrev_u32_e32 v19, s12, v18
	v_cmp_le_u32_e32 vcc, s12, v18
	v_mov_b32_e32 v41, v43
	v_mov_b32_e32 v47, v43
	v_cndmask_b32_e32 v42, v18, v19, vcc
	v_mul_hi_u32 v18, v46, v63
	v_mul_lo_u32 v18, v18, s12
	v_sub_u32_e32 v18, v46, v18
	v_subrev_u32_e32 v19, s12, v18
	v_cmp_le_u32_e32 vcc, s12, v18
	v_lshl_add_u64 v[28:29], v[42:43], 1, s[8:9]
	v_mov_b32_e32 v45, v43
	v_cndmask_b32_e32 v18, v18, v19, vcc
	v_subrev_u32_e32 v19, s12, v18
	v_cmp_le_u32_e32 vcc, s12, v18
	s_nop 1
	v_cndmask_b32_e32 v18, v18, v19, vcc
	v_mov_b32_e32 v19, v43
	v_lshl_add_u64 v[30:31], v[18:19], 1, s[8:9]
	v_mul_hi_u32 v19, v44, v63
	v_mul_lo_u32 v19, v19, s12
	v_sub_u32_e32 v19, v44, v19
	v_subrev_u32_e32 v20, s12, v19
	v_cmp_le_u32_e32 vcc, s12, v19
	s_nop 1
	v_cndmask_b32_e32 v19, v19, v20, vcc
	v_subrev_u32_e32 v20, s12, v19
	v_cmp_le_u32_e32 vcc, s12, v19
	s_nop 1
	v_cndmask_b32_e32 v32, v19, v20, vcc
	v_add_u32_e32 v20, s26, v42
	v_lshl_add_u64 v[36:37], v[20:21], 1, s[8:9]
	v_add_u32_e32 v20, s26, v18
	v_add_u32_e32 v42, s27, v42
	v_lshl_add_u64 v[38:39], v[20:21], 1, s[8:9]
	v_add_u32_e32 v20, s26, v32
	v_lshl_add_u64 v[50:51], v[42:43], 1, s[8:9]
	;; [unrolled: 2-line block ×3, first 2 shown]
	v_lshl_add_u64 v[48:49], v[20:21], 1, s[8:9]
	v_lshl_add_u64 v[52:53], v[42:43], 1, s[8:9]
	global_load_ushort v26, v[28:29], off
	global_load_ushort v25, v[30:31], off
	;; [unrolled: 1-line block ×8, first 2 shown]
	v_add_u32_e32 v42, s27, v32
	v_lshl_add_u64 v[28:29], v[42:43], 1, s[8:9]
	global_load_ushort v19, v[28:29], off
	s_cbranch_execnz .LBB74_12
	s_branch .LBB74_25
.LBB74_24:                              ;   in Loop: Header=BB74_14 Depth=1
                                        ; implicit-def: $vgpr19
                                        ; implicit-def: $vgpr18
                                        ; implicit-def: $vgpr20
                                        ; implicit-def: $vgpr21
                                        ; implicit-def: $vgpr22
                                        ; implicit-def: $vgpr23
                                        ; implicit-def: $vgpr24
                                        ; implicit-def: $vgpr25
                                        ; implicit-def: $vgpr26
.LBB74_25:                              ;   in Loop: Header=BB74_14 Depth=1
	v_mov_b32_e32 v41, v43
	v_mov_b32_e32 v47, v43
	;; [unrolled: 1-line block ×3, first 2 shown]
	s_waitcnt vmcnt(8)
	v_mov_b32_e32 v26, 0
	s_waitcnt vmcnt(7)
	v_mov_b32_e32 v25, 0
	;; [unrolled: 2-line block ×9, first 2 shown]
	s_branch .LBB74_12
.LBB74_26:
	s_endpgm
	.section	.rodata,"a",@progbits
	.p2align	6, 0x0
	.amdhsa_kernel _Z16wvSplitK_hf_sml_I6__halfLi32ELi3ELi16ELi8ELi2ELi3EEviiiiiiPKT_S3_S3_PS1_ii
		.amdhsa_group_segment_fixed_size 65536
		.amdhsa_private_segment_fixed_size 0
		.amdhsa_kernarg_size 64
		.amdhsa_user_sgpr_count 2
		.amdhsa_user_sgpr_dispatch_ptr 0
		.amdhsa_user_sgpr_queue_ptr 0
		.amdhsa_user_sgpr_kernarg_segment_ptr 1
		.amdhsa_user_sgpr_dispatch_id 0
		.amdhsa_user_sgpr_kernarg_preload_length 0
		.amdhsa_user_sgpr_kernarg_preload_offset 0
		.amdhsa_user_sgpr_private_segment_size 0
		.amdhsa_uses_dynamic_stack 0
		.amdhsa_enable_private_segment 0
		.amdhsa_system_sgpr_workgroup_id_x 1
		.amdhsa_system_sgpr_workgroup_id_y 0
		.amdhsa_system_sgpr_workgroup_id_z 0
		.amdhsa_system_sgpr_workgroup_info 0
		.amdhsa_system_vgpr_workitem_id 1
		.amdhsa_next_free_vgpr 74
		.amdhsa_next_free_sgpr 30
		.amdhsa_accum_offset 76
		.amdhsa_reserve_vcc 1
		.amdhsa_float_round_mode_32 0
		.amdhsa_float_round_mode_16_64 0
		.amdhsa_float_denorm_mode_32 3
		.amdhsa_float_denorm_mode_16_64 3
		.amdhsa_dx10_clamp 1
		.amdhsa_ieee_mode 1
		.amdhsa_fp16_overflow 0
		.amdhsa_tg_split 0
		.amdhsa_exception_fp_ieee_invalid_op 0
		.amdhsa_exception_fp_denorm_src 0
		.amdhsa_exception_fp_ieee_div_zero 0
		.amdhsa_exception_fp_ieee_overflow 0
		.amdhsa_exception_fp_ieee_underflow 0
		.amdhsa_exception_fp_ieee_inexact 0
		.amdhsa_exception_int_div_zero 0
	.end_amdhsa_kernel
	.section	.text._Z16wvSplitK_hf_sml_I6__halfLi32ELi3ELi16ELi8ELi2ELi3EEviiiiiiPKT_S3_S3_PS1_ii,"axG",@progbits,_Z16wvSplitK_hf_sml_I6__halfLi32ELi3ELi16ELi8ELi2ELi3EEviiiiiiPKT_S3_S3_PS1_ii,comdat
.Lfunc_end74:
	.size	_Z16wvSplitK_hf_sml_I6__halfLi32ELi3ELi16ELi8ELi2ELi3EEviiiiiiPKT_S3_S3_PS1_ii, .Lfunc_end74-_Z16wvSplitK_hf_sml_I6__halfLi32ELi3ELi16ELi8ELi2ELi3EEviiiiiiPKT_S3_S3_PS1_ii
                                        ; -- End function
	.section	.AMDGPU.csdata,"",@progbits
; Kernel info:
; codeLenInByte = 3748
; NumSgprs: 36
; NumVgprs: 74
; NumAgprs: 0
; TotalNumVgprs: 74
; ScratchSize: 0
; MemoryBound: 0
; FloatMode: 240
; IeeeMode: 1
; LDSByteSize: 65536 bytes/workgroup (compile time only)
; SGPRBlocks: 4
; VGPRBlocks: 9
; NumSGPRsForWavesPerEU: 36
; NumVGPRsForWavesPerEU: 74
; AccumOffset: 76
; Occupancy: 2
; WaveLimiterHint : 0
; COMPUTE_PGM_RSRC2:SCRATCH_EN: 0
; COMPUTE_PGM_RSRC2:USER_SGPR: 2
; COMPUTE_PGM_RSRC2:TRAP_HANDLER: 0
; COMPUTE_PGM_RSRC2:TGID_X_EN: 1
; COMPUTE_PGM_RSRC2:TGID_Y_EN: 0
; COMPUTE_PGM_RSRC2:TGID_Z_EN: 0
; COMPUTE_PGM_RSRC2:TIDIG_COMP_CNT: 1
; COMPUTE_PGM_RSRC3_GFX90A:ACCUM_OFFSET: 18
; COMPUTE_PGM_RSRC3_GFX90A:TG_SPLIT: 0
	.section	.text._Z12wvSplitK_hf_I6__halfLi32ELi3ELi16ELi8ELi2ELi3EEviiiiiiPKT_S3_S3_PS1_ii,"axG",@progbits,_Z12wvSplitK_hf_I6__halfLi32ELi3ELi16ELi8ELi2ELi3EEviiiiiiPKT_S3_S3_PS1_ii,comdat
	.protected	_Z12wvSplitK_hf_I6__halfLi32ELi3ELi16ELi8ELi2ELi3EEviiiiiiPKT_S3_S3_PS1_ii ; -- Begin function _Z12wvSplitK_hf_I6__halfLi32ELi3ELi16ELi8ELi2ELi3EEviiiiiiPKT_S3_S3_PS1_ii
	.globl	_Z12wvSplitK_hf_I6__halfLi32ELi3ELi16ELi8ELi2ELi3EEviiiiiiPKT_S3_S3_PS1_ii
	.p2align	8
	.type	_Z12wvSplitK_hf_I6__halfLi32ELi3ELi16ELi8ELi2ELi3EEviiiiiiPKT_S3_S3_PS1_ii,@function
_Z12wvSplitK_hf_I6__halfLi32ELi3ELi16ELi8ELi2ELi3EEviiiiiiPKT_S3_S3_PS1_ii: ; @_Z12wvSplitK_hf_I6__halfLi32ELi3ELi16ELi8ELi2ELi3EEviiiiiiPKT_S3_S3_PS1_ii
; %bb.0:
	s_load_dwordx2 s[22:23], s[0:1], 0x38
	s_load_dwordx2 s[16:17], s[0:1], 0x20
	s_load_dwordx4 s[8:11], s[0:1], 0x0
	s_load_dwordx2 s[18:19], s[0:1], 0x10
	v_bfe_u32 v4, v0, 10, 10
	s_waitcnt lgkmcnt(0)
	s_mul_i32 s2, s2, s22
	v_add_u32_e32 v1, s2, v4
	v_lshl_add_u32 v52, v1, 1, v1
	s_mov_b32 s4, 1
	v_add_u32_e32 v1, 3, v52
	s_mov_b32 s6, s4
	v_cmp_gt_u32_e32 vcc, s11, v52
	v_cmp_le_u32_e64 s[2:3], s11, v1
	s_mov_b32 s5, s4
	v_mov_b32_e32 v50, s6
	s_and_b64 s[12:13], vcc, s[2:3]
	v_mov_b32_e32 v49, s5
	v_mov_b32_e32 v48, s4
	s_and_saveexec_b64 s[2:3], s[12:13]
	s_cbranch_execz .LBB75_6
; %bb.1:
	s_add_i32 s7, s11, -3
	v_mov_b32_e32 v50, s6
	v_cmp_ne_u32_e32 vcc, s7, v52
	v_mov_b32_e32 v49, s5
	v_mov_b32_e32 v48, s4
	s_and_saveexec_b64 s[12:13], vcc
	s_cbranch_execz .LBB75_5
; %bb.2:
	v_subrev_u32_e32 v1, s7, v52
	v_cmp_lt_u32_e32 vcc, 1, v1
	s_mov_b64 s[14:15], 0
	s_mov_b64 s[20:21], 0
	v_cndmask_b32_e32 v2, 1, v1, vcc
	s_mov_b32 s5, s4
	s_mov_b32 s6, s4
.LBB75_3:                               ; =>This Inner Loop Header: Depth=1
	s_cmp_lg_u32 s20, 2
	s_cselect_b32 s6, s6, 0
	s_cmp_lg_u32 s20, 1
	s_cselect_b32 s5, s5, 0
	;; [unrolled: 2-line block ×3, first 2 shown]
	s_add_u32 s20, s20, 1
	s_addc_u32 s21, s21, 0
	v_cmp_eq_u32_e32 vcc, s20, v2
	v_mov_b32_e32 v50, s6
	s_or_b64 s[14:15], vcc, s[14:15]
	v_mov_b32_e32 v49, s5
	v_mov_b32_e32 v48, s4
	s_andn2_b64 exec, exec, s[14:15]
	s_cbranch_execnz .LBB75_3
; %bb.4:
	s_or_b64 exec, exec, s[14:15]
	v_mov_b32_e32 v52, s7
.LBB75_5:
	s_or_b64 exec, exec, s[12:13]
.LBB75_6:
	s_or_b64 exec, exec, s[2:3]
	v_and_b32_e32 v5, 0x3ff, v0
	v_lshlrev_b32_e32 v51, 3, v5
	s_mul_i32 s2, s10, 3
	v_lshl_add_u32 v6, v4, 8, v51
	s_min_u32 s4, s2, 0x8000
	v_cmp_gt_u32_e32 vcc, s4, v6
	s_and_saveexec_b64 s[2:3], vcc
	s_cbranch_execz .LBB75_15
; %bb.7:
	v_lshlrev_b32_e32 v0, 1, v6
	global_load_dwordx4 v[8:11], v0, s[16:17]
	v_add_u32_e32 v1, 0x1000, v6
	v_cmp_gt_u32_e32 vcc, s4, v1
	s_waitcnt vmcnt(0)
	ds_write_b128 v0, v[8:11]
	s_and_saveexec_b64 s[6:7], vcc
	s_xor_b64 s[6:7], exec, s[6:7]
	s_cbranch_execz .LBB75_15
; %bb.8:
	v_mov_b32_e32 v1, 0
	v_lshl_add_u64 v[2:3], s[16:17], 0, v[0:1]
	v_add_co_u32_e32 v8, vcc, 0x2000, v2
	v_add_u32_e32 v1, 0x2000, v6
	s_nop 0
	v_addc_co_u32_e32 v9, vcc, 0, v3, vcc
	global_load_dwordx4 v[8:11], v[8:9], off
	v_cmp_gt_u32_e32 vcc, s4, v1
	s_waitcnt vmcnt(0)
	ds_write_b128 v0, v[8:11] offset:8192
	s_and_saveexec_b64 s[6:7], vcc
	s_xor_b64 s[6:7], exec, s[6:7]
	s_cbranch_execz .LBB75_15
; %bb.9:
	v_add_co_u32_e32 v8, vcc, 0x4000, v2
	v_add_u32_e32 v1, 0x3000, v6
	s_nop 0
	v_addc_co_u32_e32 v9, vcc, 0, v3, vcc
	global_load_dwordx4 v[8:11], v[8:9], off
	v_cmp_gt_u32_e32 vcc, s4, v1
	s_waitcnt vmcnt(0)
	ds_write_b128 v0, v[8:11] offset:16384
	s_and_saveexec_b64 s[6:7], vcc
	s_xor_b64 s[6:7], exec, s[6:7]
	s_cbranch_execz .LBB75_15
; %bb.10:
	;; [unrolled: 12-line block ×6, first 2 shown]
	v_add_co_u32_e32 v2, vcc, 0xe000, v2
	s_nop 1
	v_addc_co_u32_e32 v3, vcc, 0, v3, vcc
	global_load_dwordx4 v[6:9], v[2:3], off
	s_waitcnt vmcnt(0)
	ds_write_b128 v0, v[6:9] offset:57344
.LBB75_15:
	s_or_b64 exec, exec, s[2:3]
	v_cmp_gt_u32_e32 vcc, s22, v4
	v_cmp_gt_u32_e64 s[2:3], s11, v52
	s_and_b64 s[2:3], vcc, s[2:3]
	s_waitcnt lgkmcnt(0)
	s_barrier
	s_and_saveexec_b64 s[4:5], s[2:3]
	s_cbranch_execz .LBB75_76
; %bb.16:
	s_load_dwordx4 s[12:15], s[0:1], 0x28
	s_load_dwordx2 s[20:21], s[0:1], 0x18
	s_cmp_lg_u32 s8, 0
	s_cselect_b64 s[2:3], -1, 0
	s_add_i32 s33, s8, -8
	s_add_i32 s36, s11, -1
	s_waitcnt lgkmcnt(0)
	s_cmp_lg_u64 s[12:13], 0
	s_cselect_b64 s[24:25], -1, 0
	s_abs_i32 s4, s19
	v_cvt_f32_u32_e32 v0, s18
	v_cvt_f32_u32_e32 v1, s4
	s_sub_i32 s5, 0, s18
	s_add_i32 s19, s11, -3
	v_rcp_iflag_f32_e32 v0, v0
	v_rcp_iflag_f32_e32 v1, v1
	s_mul_i32 s37, s22, s23
	v_cmp_eq_u32_e64 s[0:1], 31, v5
	v_mul_f32_e32 v0, 0x4f7ffffe, v0
	v_mul_f32_e32 v1, 0x4f7ffffe, v1
	v_cvt_u32_f32_e32 v0, v0
	v_cvt_u32_f32_e32 v1, v1
	s_mov_b64 s[22:23], 0
	s_mul_i32 s37, s37, 3
	v_mul_lo_u32 v2, s5, v0
	s_sub_i32 s5, 0, s4
	v_readfirstlane_b32 s6, v1
	s_mul_i32 s5, s5, s6
	s_mul_hi_u32 s5, s6, s5
	s_add_i32 s6, s6, s5
	s_sub_i32 s5, 1, s4
	s_cmp_lt_u32 s4, 2
	s_cselect_b32 s5, s5, 1
	s_sub_i32 s7, s5, s4
	s_cmp_ge_u32 s5, s4
	s_cselect_b32 s38, s7, s5
	s_lshr_b32 s5, s6, 31
	s_mul_i32 s5, s5, s4
	s_sub_i32 s5, 2, s5
	s_sub_i32 s6, s5, s4
	s_cmp_ge_u32 s5, s4
	s_cselect_b32 s5, s6, s5
	s_sub_i32 s6, s5, s4
	v_mul_hi_u32 v2, v0, v2
	s_cmp_ge_u32 s5, s4
	v_add_u32_e32 v70, v0, v2
	s_cselect_b32 s39, s6, s5
	s_lshl_b32 s40, s10, 1
	v_cndmask_b32_e64 v0, 0, 1, s[2:3]
	v_mov_b32_e32 v55, 0
	s_mul_i32 s38, s38, s18
	s_mul_i32 s39, s39, s18
	v_lshlrev_b32_e32 v71, 4, v5
	s_lshl_b32 s41, s10, 2
	v_add_u32_e32 v72, s40, v51
	v_add_u32_e32 v73, s10, v51
	v_cmp_ne_u32_e64 s[2:3], 1, v0
	s_movk_i32 s10, 0x7fff
	s_mov_b32 s26, 0
	s_branch .LBB75_19
.LBB75_17:                              ;   in Loop: Header=BB75_19 Depth=1
	s_or_b64 exec, exec, s[28:29]
	v_mov_b32_e32 v52, s19
.LBB75_18:                              ;   in Loop: Header=BB75_19 Depth=1
	s_or_b64 exec, exec, s[6:7]
	v_cmp_le_u32_e32 vcc, s11, v52
	s_or_b64 s[22:23], vcc, s[22:23]
	s_andn2_b64 exec, exec, s[22:23]
	s_cbranch_execz .LBB75_76
.LBB75_19:                              ; =>This Loop Header: Depth=1
                                        ;     Child Loop BB75_24 Depth 2
                                        ;     Child Loop BB75_66 Depth 2
	s_and_b64 vcc, exec, s[2:3]
	v_add_u32_e32 v58, 1, v52
	v_add_u32_e32 v56, 2, v52
	v_mov_b32_e32 v79, v55
	v_mov_b32_e32 v78, v55
	;; [unrolled: 1-line block ×9, first 2 shown]
	s_cbranch_vccnz .LBB75_50
; %bb.20:                               ;   in Loop: Header=BB75_19 Depth=1
	v_min_u32_e32 v0, s36, v52
	v_mul_lo_u32 v54, v0, s9
	v_min_u32_e32 v0, s36, v58
	v_min_u32_e32 v2, s36, v56
	v_mul_lo_u32 v0, v0, s9
	v_mov_b32_e32 v1, v55
	v_mul_lo_u32 v2, v2, s9
	v_mov_b32_e32 v3, v55
	v_mov_b32_e32 v59, 0
	v_lshlrev_b64 v[60:61], 1, v[54:55]
	v_lshlrev_b64 v[62:63], 1, v[0:1]
	;; [unrolled: 1-line block ×3, first 2 shown]
	v_mov_b32_e32 v80, v71
	v_mov_b32_e32 v57, 0
	;; [unrolled: 1-line block ×9, first 2 shown]
	s_mov_b32 s30, s26
	s_branch .LBB75_24
.LBB75_21:                              ;   in Loop: Header=BB75_24 Depth=2
	s_or_b64 exec, exec, s[28:29]
.LBB75_22:                              ;   in Loop: Header=BB75_24 Depth=2
	s_or_b64 exec, exec, s[6:7]
.LBB75_23:                              ;   in Loop: Header=BB75_24 Depth=2
	s_or_b64 exec, exec, s[4:5]
	s_waitcnt vmcnt(0) lgkmcnt(0)
	;;#ASMSTART
	v_dot2c_f32_f16 v79, v32, v20
	;;#ASMEND
	;;#ASMSTART
	v_dot2c_f32_f16 v78, v32, v12
	;;#ASMEND
	;;#ASMSTART
	v_dot2c_f32_f16 v77, v32, v16
	;;#ASMEND
	;;#ASMSTART
	v_dot2c_f32_f16 v76, v28, v20
	;;#ASMEND
	;;#ASMSTART
	v_dot2c_f32_f16 v75, v28, v12
	;;#ASMEND
	;;#ASMSTART
	v_dot2c_f32_f16 v74, v28, v16
	;;#ASMEND
	;;#ASMSTART
	v_dot2c_f32_f16 v59, v24, v20
	;;#ASMEND
	;;#ASMSTART
	v_dot2c_f32_f16 v57, v24, v12
	;;#ASMEND
	;;#ASMSTART
	v_dot2c_f32_f16 v53, v24, v16
	;;#ASMEND
	s_nop 0
	;;#ASMSTART
	v_dot2c_f32_f16 v79, v33, v21
	;;#ASMEND
	;;#ASMSTART
	v_dot2c_f32_f16 v78, v33, v13
	;;#ASMEND
	;;#ASMSTART
	v_dot2c_f32_f16 v77, v33, v17
	;;#ASMEND
	;;#ASMSTART
	v_dot2c_f32_f16 v76, v29, v21
	;;#ASMEND
	;;#ASMSTART
	v_dot2c_f32_f16 v75, v29, v13
	;;#ASMEND
	;;#ASMSTART
	v_dot2c_f32_f16 v74, v29, v17
	;;#ASMEND
	;;#ASMSTART
	v_dot2c_f32_f16 v59, v25, v21
	;;#ASMEND
	;;#ASMSTART
	v_dot2c_f32_f16 v57, v25, v13
	;;#ASMEND
	;;#ASMSTART
	v_dot2c_f32_f16 v53, v25, v17
	;;#ASMEND
	s_nop 0
	;; [unrolled: 28-line block ×5, first 2 shown]
	;;#ASMSTART
	v_dot2c_f32_f16 v79, v45, v9
	;;#ASMEND
	;;#ASMSTART
	v_dot2c_f32_f16 v78, v45, v5
	;;#ASMEND
	;; [unrolled: 3-line block ×9, first 2 shown]
	s_addk_i32 s30, 0x200
	;;#ASMSTART
	v_dot2c_f32_f16 v79, v46, v10
	;;#ASMEND
	;;#ASMSTART
	v_dot2c_f32_f16 v78, v46, v6
	;;#ASMEND
	;; [unrolled: 3-line block ×9, first 2 shown]
	s_cmp_ge_u32 s30, s8
	v_add_u32_e32 v80, 0x400, v80
	;;#ASMSTART
	v_dot2c_f32_f16 v79, v47, v11
	;;#ASMEND
	;;#ASMSTART
	v_dot2c_f32_f16 v78, v47, v7
	;;#ASMEND
	;; [unrolled: 3-line block ×9, first 2 shown]
	s_cbranch_scc1 .LBB75_50
.LBB75_24:                              ;   Parent Loop BB75_19 Depth=1
                                        ; =>  This Inner Loop Header: Depth=2
	v_add_u32_e32 v68, s30, v51
	v_min_u32_e32 v54, s33, v68
	v_lshl_add_u64 v[0:1], v[54:55], 1, s[20:21]
	v_add_u32_e32 v66, 0x100, v68
	v_lshl_add_u64 v[2:3], v[0:1], 0, v[60:61]
	v_min_u32_e32 v54, s33, v66
	v_lshl_add_u64 v[4:5], v[0:1], 0, v[62:63]
	global_load_dwordx4 v[20:23], v[2:3], off nt
	global_load_dwordx4 v[12:15], v[4:5], off nt
	v_lshl_add_u64 v[2:3], v[54:55], 1, s[20:21]
	v_lshl_add_u64 v[0:1], v[0:1], 0, v[64:65]
	;; [unrolled: 1-line block ×3, first 2 shown]
	s_waitcnt vmcnt(8)
	v_lshl_add_u64 v[24:25], v[2:3], 0, v[62:63]
	global_load_dwordx4 v[16:19], v[0:1], off nt
	global_load_dwordx4 v[8:11], v[4:5], off nt
	v_lshl_add_u64 v[26:27], v[2:3], 0, v[64:65]
	global_load_dwordx4 v[4:7], v[24:25], off nt
	global_load_dwordx4 v[0:3], v[26:27], off nt
	s_mov_b32 s27, s26
	v_cmp_gt_u32_e32 vcc, s8, v68
	v_mov_b64_e32 v[42:43], s[26:27]
	v_mov_b32_e32 v39, 0
	v_mov_b32_e32 v38, 0
	v_mov_b32_e32 v37, 0
	v_mov_b32_e32 v36, 0
	v_mov_b64_e32 v[40:41], s[26:27]
	v_mov_b64_e32 v[46:47], s[26:27]
	;; [unrolled: 1-line block ×9, first 2 shown]
	s_and_saveexec_b64 s[4:5], vcc
	s_cbranch_execz .LBB75_23
; %bb.25:                               ;   in Loop: Header=BB75_24 Depth=2
	v_cmp_lt_u32_e32 vcc, s10, v68
                                        ; implicit-def: $vgpr34_vgpr35
	s_and_saveexec_b64 s[6:7], vcc
	s_xor_b64 s[6:7], exec, s[6:7]
	s_cbranch_execz .LBB75_27
; %bb.26:                               ;   in Loop: Header=BB75_24 Depth=2
	v_mov_b32_e32 v69, v55
	v_lshl_add_u64 v[24:25], v[68:69], 1, s[16:17]
	global_load_dwordx4 v[32:35], v[24:25], off
.LBB75_27:                              ;   in Loop: Header=BB75_24 Depth=2
	s_andn2_saveexec_b64 s[6:7], s[6:7]
	s_cbranch_execz .LBB75_29
; %bb.28:                               ;   in Loop: Header=BB75_24 Depth=2
	s_waitcnt vmcnt(0)
	ds_read_b128 v[32:35], v80
.LBB75_29:                              ;   in Loop: Header=BB75_24 Depth=2
	s_or_b64 exec, exec, s[6:7]
	v_add_u32_e32 v54, s30, v73
	v_cmp_lt_u32_e32 vcc, s10, v54
                                        ; implicit-def: $vgpr30_vgpr31
	s_and_saveexec_b64 s[6:7], vcc
	s_xor_b64 s[6:7], exec, s[6:7]
	s_cbranch_execz .LBB75_31
; %bb.30:                               ;   in Loop: Header=BB75_24 Depth=2
	v_lshl_add_u64 v[24:25], v[54:55], 1, s[16:17]
	global_load_dwordx4 v[28:31], v[24:25], off
.LBB75_31:                              ;   in Loop: Header=BB75_24 Depth=2
	s_andn2_saveexec_b64 s[6:7], s[6:7]
	s_cbranch_execz .LBB75_33
; %bb.32:                               ;   in Loop: Header=BB75_24 Depth=2
	v_add_u32_e32 v24, s40, v80
	s_waitcnt vmcnt(0)
	ds_read_b128 v[28:31], v24
.LBB75_33:                              ;   in Loop: Header=BB75_24 Depth=2
	s_or_b64 exec, exec, s[6:7]
	v_add_u32_e32 v68, s30, v72
	v_cmp_lt_u32_e32 vcc, s10, v68
                                        ; implicit-def: $vgpr26_vgpr27
	s_and_saveexec_b64 s[6:7], vcc
	s_xor_b64 s[6:7], exec, s[6:7]
	s_cbranch_execz .LBB75_35
; %bb.34:                               ;   in Loop: Header=BB75_24 Depth=2
	v_mov_b32_e32 v69, v55
	v_lshl_add_u64 v[24:25], v[68:69], 1, s[16:17]
	global_load_dwordx4 v[24:27], v[24:25], off
.LBB75_35:                              ;   in Loop: Header=BB75_24 Depth=2
	s_andn2_saveexec_b64 s[6:7], s[6:7]
	s_cbranch_execz .LBB75_37
; %bb.36:                               ;   in Loop: Header=BB75_24 Depth=2
	s_waitcnt vmcnt(0)
	v_add_u32_e32 v26, s41, v80
	ds_read2_b32 v[24:25], v26 offset1:1
	ds_read2_b32 v[26:27], v26 offset0:2 offset1:3
.LBB75_37:                              ;   in Loop: Header=BB75_24 Depth=2
	s_or_b64 exec, exec, s[6:7]
	s_mov_b32 s27, s26
	v_cmp_gt_u32_e32 vcc, s8, v66
	v_mov_b32_e32 v39, 0
	v_mov_b64_e32 v[42:43], s[26:27]
	v_mov_b32_e32 v38, 0
	v_mov_b32_e32 v37, 0
	v_mov_b32_e32 v36, 0
	v_mov_b64_e32 v[40:41], s[26:27]
	v_mov_b64_e32 v[46:47], s[26:27]
	;; [unrolled: 1-line block ×3, first 2 shown]
	s_and_saveexec_b64 s[6:7], vcc
	s_cbranch_execz .LBB75_22
; %bb.38:                               ;   in Loop: Header=BB75_24 Depth=2
	v_cmp_lt_u32_e32 vcc, s10, v66
                                        ; implicit-def: $vgpr46_vgpr47
	s_and_saveexec_b64 s[28:29], vcc
	s_xor_b64 s[28:29], exec, s[28:29]
	s_cbranch_execz .LBB75_40
; %bb.39:                               ;   in Loop: Header=BB75_24 Depth=2
	v_mov_b32_e32 v67, v55
	v_lshl_add_u64 v[36:37], v[66:67], 1, s[16:17]
	global_load_dwordx4 v[44:47], v[36:37], off
.LBB75_40:                              ;   in Loop: Header=BB75_24 Depth=2
	s_andn2_saveexec_b64 s[28:29], s[28:29]
	s_cbranch_execz .LBB75_42
; %bb.41:                               ;   in Loop: Header=BB75_24 Depth=2
	s_waitcnt vmcnt(0)
	ds_read_b128 v[44:47], v80 offset:512
.LBB75_42:                              ;   in Loop: Header=BB75_24 Depth=2
	s_or_b64 exec, exec, s[28:29]
	v_add_u32_e32 v54, 0x100, v54
	v_cmp_lt_u32_e32 vcc, s10, v54
                                        ; implicit-def: $vgpr42_vgpr43
	s_and_saveexec_b64 s[28:29], vcc
	s_xor_b64 s[28:29], exec, s[28:29]
	s_cbranch_execz .LBB75_44
; %bb.43:                               ;   in Loop: Header=BB75_24 Depth=2
	v_lshl_add_u64 v[36:37], v[54:55], 1, s[16:17]
	global_load_dwordx4 v[40:43], v[36:37], off
.LBB75_44:                              ;   in Loop: Header=BB75_24 Depth=2
	s_andn2_saveexec_b64 s[28:29], s[28:29]
	s_cbranch_execz .LBB75_46
; %bb.45:                               ;   in Loop: Header=BB75_24 Depth=2
	v_add_u32_e32 v36, s40, v80
	s_waitcnt vmcnt(0)
	ds_read_b128 v[40:43], v36 offset:512
.LBB75_46:                              ;   in Loop: Header=BB75_24 Depth=2
	s_or_b64 exec, exec, s[28:29]
	v_add_u32_e32 v54, 0x100, v68
	v_cmp_lt_u32_e32 vcc, s10, v54
                                        ; implicit-def: $vgpr39
	s_and_saveexec_b64 s[28:29], vcc
	s_xor_b64 s[28:29], exec, s[28:29]
	s_cbranch_execz .LBB75_48
; %bb.47:                               ;   in Loop: Header=BB75_24 Depth=2
	v_lshl_add_u64 v[36:37], v[54:55], 1, s[16:17]
	global_load_dwordx4 v[36:39], v[36:37], off
.LBB75_48:                              ;   in Loop: Header=BB75_24 Depth=2
	s_andn2_saveexec_b64 s[28:29], s[28:29]
	s_cbranch_execz .LBB75_21
; %bb.49:                               ;   in Loop: Header=BB75_24 Depth=2
	s_waitcnt vmcnt(0)
	v_add_u32_e32 v38, s41, v80
	ds_read2_b32 v[36:37], v38 offset0:128 offset1:129
	ds_read2_b32 v[38:39], v38 offset0:130 offset1:131
	s_branch .LBB75_21
.LBB75_50:                              ;   in Loop: Header=BB75_19 Depth=1
	v_cvt_i32_f32_e32 v0, v79
	v_cvt_i32_f32_e32 v1, v78
	;; [unrolled: 1-line block ×4, first 2 shown]
	v_cvt_f32_i32_dpp v0, v0 row_shr:8 row_mask:0xf bank_mask:0xf bound_ctrl:1
	v_cvt_f32_i32_dpp v1, v1 row_shr:8 row_mask:0xf bank_mask:0xf bound_ctrl:1
	;; [unrolled: 1-line block ×4, first 2 shown]
	v_add_f32_e32 v0, v79, v0
	v_cvt_i32_f32_e32 v5, v0
	v_add_f32_e32 v1, v78, v1
	v_cvt_i32_f32_e32 v6, v1
	v_add_f32_e32 v2, v77, v2
	v_cvt_f32_i32_dpp v5, v5 row_shr:4 row_mask:0xf bank_mask:0xf bound_ctrl:1
	v_cvt_i32_f32_e32 v3, v76
	v_cvt_f32_i32_dpp v4, v6 row_shr:4 row_mask:0xf bank_mask:0xf bound_ctrl:1
	v_cvt_i32_f32_e32 v6, v2
	v_add_f32_e32 v0, v0, v5
	v_cvt_i32_f32_e32 v5, v0
	v_add_f32_e32 v1, v1, v4
	v_cvt_i32_f32_e32 v4, v1
	v_cvt_f32_i32_dpp v3, v3 row_shr:8 row_mask:0xf bank_mask:0xf bound_ctrl:1
	v_cvt_f32_i32_dpp v5, v5 row_shr:2 row_mask:0xf bank_mask:0xf bound_ctrl:1
	;; [unrolled: 1-line block ×4, first 2 shown]
	v_add_f32_e32 v3, v76, v3
	v_add_f32_e32 v0, v0, v5
	v_cvt_i32_f32_e32 v5, v0
	v_add_f32_e32 v1, v1, v4
	v_cvt_i32_f32_e32 v4, v1
	v_add_f32_e32 v2, v2, v6
	v_cvt_f32_i32_dpp v5, v5 row_shr:1 row_mask:0xf bank_mask:0xf bound_ctrl:1
	v_cvt_i32_f32_e32 v8, v3
	v_cvt_f32_i32_dpp v4, v4 row_shr:1 row_mask:0xf bank_mask:0xf bound_ctrl:1
	v_cvt_i32_f32_e32 v6, v2
	v_add_f32_e32 v0, v0, v5
	v_cvt_i32_f32_e32 v5, v0
	v_add_f32_e32 v1, v1, v4
	v_cvt_i32_f32_e32 v4, v1
	v_cvt_f32_i32_dpp v6, v6 row_shr:2 row_mask:0xf bank_mask:0xf bound_ctrl:1
	v_cvt_f32_i32_dpp v5, v5 row_bcast:15 row_mask:0xf bank_mask:0xf bound_ctrl:1
	v_cvt_f32_i32_dpp v10, v8 row_shr:4 row_mask:0xf bank_mask:0xf bound_ctrl:1
	v_cvt_f32_i32_dpp v9, v4 row_bcast:15 row_mask:0xf bank_mask:0xf bound_ctrl:1
	v_add_f32_e32 v2, v2, v6
	v_add_f32_e32 v4, v0, v5
	v_cvt_i32_f32_e32 v5, v4
	v_add_f32_e32 v0, v1, v9
	v_add_f32_e32 v1, v3, v10
	v_cvt_i32_f32_e32 v6, v2
	v_cvt_i32_f32_e32 v3, v1
	v_mov_b32_dpp v8, v5 row_bcast:31 row_mask:0xf bank_mask:0xf bound_ctrl:1
	v_add_f32_e32 v5, v75, v7
	v_cvt_f32_i32_dpp v6, v6 row_shr:1 row_mask:0xf bank_mask:0xf bound_ctrl:1
	v_cvt_i32_f32_e32 v7, v5
	v_cvt_f32_i32_dpp v3, v3 row_shr:2 row_mask:0xf bank_mask:0xf bound_ctrl:1
	v_cvt_i32_f32_e32 v9, v0
	v_add_f32_e32 v2, v2, v6
	v_cvt_f32_i32_dpp v6, v7 row_shr:4 row_mask:0xf bank_mask:0xf bound_ctrl:1
	v_add_f32_e32 v3, v1, v3
	v_cvt_i32_f32_e32 v7, v2
	v_cvt_i32_f32_e32 v1, v3
	v_add_f32_e32 v5, v5, v6
	v_cvt_i32_f32_e32 v6, v5
	v_cvt_f32_i32_dpp v10, v7 row_bcast:15 row_mask:0xf bank_mask:0xf bound_ctrl:1
	v_cvt_f32_i32_dpp v11, v1 row_shr:1 row_mask:0xf bank_mask:0xf bound_ctrl:1
	v_mov_b32_dpp v7, v9 row_bcast:31 row_mask:0xf bank_mask:0xf bound_ctrl:1
	v_cvt_f32_i32_dpp v6, v6 row_shr:2 row_mask:0xf bank_mask:0xf bound_ctrl:1
	v_add_f32_e32 v1, v2, v10
	v_add_f32_e32 v2, v3, v11
	v_cvt_i32_f32_e32 v3, v74
	v_add_f32_e32 v5, v5, v6
	v_cvt_i32_f32_e32 v6, v5
	v_cvt_i32_f32_e32 v9, v2
	v_cvt_f32_i32_dpp v3, v3 row_shr:8 row_mask:0xf bank_mask:0xf bound_ctrl:1
	v_cvt_i32_f32_e32 v10, v1
	v_cvt_f32_i32_dpp v6, v6 row_shr:1 row_mask:0xf bank_mask:0xf bound_ctrl:1
	v_cvt_f32_i32_dpp v9, v9 row_bcast:15 row_mask:0xf bank_mask:0xf bound_ctrl:1
	v_add_f32_e32 v3, v74, v3
	v_cvt_i32_f32_e32 v11, v3
	v_add_f32_e32 v5, v5, v6
	v_cvt_i32_f32_e32 v6, v5
	v_add_f32_e32 v2, v2, v9
	v_cvt_f32_i32_dpp v11, v11 row_shr:4 row_mask:0xf bank_mask:0xf bound_ctrl:1
	v_cvt_i32_f32_e32 v9, v59
	v_cvt_f32_i32_dpp v6, v6 row_bcast:15 row_mask:0xf bank_mask:0xf bound_ctrl:1
	v_cvt_i32_f32_e32 v13, v2
	v_add_f32_e32 v11, v3, v11
	v_cvt_i32_f32_e32 v12, v11
	v_cvt_f32_i32_dpp v9, v9 row_shr:8 row_mask:0xf bank_mask:0xf bound_ctrl:1
	v_add_f32_e32 v3, v5, v6
	v_cvt_i32_f32_e32 v6, v3
	v_cvt_f32_i32_dpp v5, v12 row_shr:2 row_mask:0xf bank_mask:0xf bound_ctrl:1
	v_add_f32_e32 v9, v59, v9
	v_cvt_i32_f32_e32 v14, v9
	v_mov_b32_dpp v12, v13 row_bcast:31 row_mask:0xf bank_mask:0xf bound_ctrl:1
	v_add_f32_e32 v5, v11, v5
	v_cvt_i32_f32_e32 v11, v5
	v_cvt_f32_i32_dpp v13, v14 row_shr:4 row_mask:0xf bank_mask:0xf bound_ctrl:1
	v_cvt_i32_f32_e32 v14, v57
	v_mov_b32_dpp v10, v10 row_bcast:31 row_mask:0xf bank_mask:0xf bound_ctrl:1
	v_cvt_f32_i32_dpp v11, v11 row_shr:1 row_mask:0xf bank_mask:0xf bound_ctrl:1
	v_add_f32_e32 v9, v9, v13
	v_cvt_i32_f32_e32 v13, v53
	v_cvt_f32_i32_dpp v14, v14 row_shr:8 row_mask:0xf bank_mask:0xf bound_ctrl:1
	v_add_f32_e32 v5, v5, v11
	v_cvt_i32_f32_e32 v15, v9
	v_cvt_f32_i32_dpp v11, v13 row_shr:8 row_mask:0xf bank_mask:0xf bound_ctrl:1
	v_add_f32_e32 v14, v57, v14
	v_cvt_i32_f32_e32 v17, v5
	v_cvt_f32_i32_dpp v13, v15 row_shr:2 row_mask:0xf bank_mask:0xf bound_ctrl:1
	v_add_f32_e32 v11, v53, v11
	v_cvt_i32_f32_e32 v15, v14
	v_cvt_i32_f32_e32 v16, v11
	v_add_f32_e32 v9, v9, v13
	v_cvt_f32_i32_dpp v17, v17 row_bcast:15 row_mask:0xf bank_mask:0xf bound_ctrl:1
	v_cvt_f32_i32_dpp v15, v15 row_shr:4 row_mask:0xf bank_mask:0xf bound_ctrl:1
	v_cvt_f32_i32_dpp v13, v16 row_shr:4 row_mask:0xf bank_mask:0xf bound_ctrl:1
	v_cvt_i32_f32_e32 v16, v9
	v_mov_b32_dpp v6, v6 row_bcast:31 row_mask:0xf bank_mask:0xf bound_ctrl:1
	v_add_f32_e32 v14, v14, v15
	v_add_f32_e32 v11, v11, v13
	v_cvt_i32_f32_e32 v15, v14
	v_cvt_i32_f32_e32 v13, v11
	v_cvt_f32_i32_dpp v16, v16 row_shr:1 row_mask:0xf bank_mask:0xf bound_ctrl:1
	v_cvt_f32_i32_dpp v15, v15 row_shr:2 row_mask:0xf bank_mask:0xf bound_ctrl:1
	;; [unrolled: 1-line block ×3, first 2 shown]
	v_add_f32_e32 v9, v9, v16
	v_cvt_i32_f32_e32 v16, v9
	v_add_f32_e32 v14, v14, v15
	v_add_f32_e32 v11, v11, v13
	v_cvt_i32_f32_e32 v15, v14
	v_cvt_i32_f32_e32 v13, v11
	s_waitcnt vmcnt(0)
	v_cvt_f32_i32_dpp v18, v15 row_shr:1 row_mask:0xf bank_mask:0xf bound_ctrl:1
	v_add_f32_e32 v15, v5, v17
	v_cvt_f32_i32_dpp v5, v13 row_shr:1 row_mask:0xf bank_mask:0xf bound_ctrl:1
	v_cvt_f32_i32_dpp v13, v16 row_bcast:15 row_mask:0xf bank_mask:0xf bound_ctrl:1
	v_add_f32_e32 v16, v14, v18
	v_cvt_i32_f32_e32 v14, v16
	v_add_f32_e32 v5, v11, v5
	v_cvt_i32_f32_e32 v11, v5
	v_cvt_i32_f32_e32 v17, v15
	v_cvt_f32_i32_dpp v18, v14 row_bcast:15 row_mask:0xf bank_mask:0xf bound_ctrl:1
	v_add_f32_e32 v14, v9, v13
	v_cvt_f32_i32_dpp v9, v11 row_bcast:15 row_mask:0xf bank_mask:0xf bound_ctrl:1
	v_cvt_i32_f32_e32 v13, v14
	v_add_f32_e32 v11, v16, v18
	v_cvt_i32_f32_e32 v18, v11
	v_add_f32_e32 v5, v5, v9
	v_cvt_i32_f32_e32 v9, v5
	v_mov_b32_dpp v17, v17 row_bcast:31 row_mask:0xf bank_mask:0xf bound_ctrl:1
	v_mov_b32_dpp v16, v13 row_bcast:31 row_mask:0xf bank_mask:0xf bound_ctrl:1
	;; [unrolled: 1-line block ×4, first 2 shown]
	s_and_saveexec_b64 s[28:29], s[0:1]
	s_cbranch_execz .LBB75_63
; %bb.51:                               ;   in Loop: Header=BB75_19 Depth=1
	s_andn2_b64 vcc, exec, s[24:25]
	v_mov_b32_e32 v26, 0
	v_mov_b32_e32 v25, 0
	;; [unrolled: 1-line block ×9, first 2 shown]
	s_cbranch_vccnz .LBB75_53
; %bb.52:                               ;   in Loop: Header=BB75_19 Depth=1
	v_mul_hi_u32 v18, v52, v70
	v_mul_lo_u32 v18, v18, s18
	v_sub_u32_e32 v18, v52, v18
	v_subrev_u32_e32 v19, s18, v18
	v_cmp_le_u32_e32 vcc, s18, v18
	v_mov_b32_e32 v21, v55
	v_mov_b32_e32 v33, v55
	v_cndmask_b32_e32 v18, v18, v19, vcc
	v_subrev_u32_e32 v19, s18, v18
	v_cmp_le_u32_e32 vcc, s18, v18
	s_nop 1
	v_cndmask_b32_e32 v54, v18, v19, vcc
	v_mul_hi_u32 v18, v58, v70
	v_mul_lo_u32 v18, v18, s18
	v_sub_u32_e32 v18, v58, v18
	v_subrev_u32_e32 v19, s18, v18
	v_cmp_le_u32_e32 vcc, s18, v18
	v_lshl_add_u64 v[28:29], v[54:55], 1, s[12:13]
	s_nop 0
	v_cndmask_b32_e32 v18, v18, v19, vcc
	v_subrev_u32_e32 v19, s18, v18
	v_cmp_le_u32_e32 vcc, s18, v18
	s_nop 1
	v_cndmask_b32_e32 v18, v18, v19, vcc
	v_mov_b32_e32 v19, v55
	v_lshl_add_u64 v[30:31], v[18:19], 1, s[12:13]
	v_mul_hi_u32 v19, v56, v70
	v_mul_lo_u32 v19, v19, s18
	v_sub_u32_e32 v19, v56, v19
	v_subrev_u32_e32 v20, s18, v19
	v_cmp_le_u32_e32 vcc, s18, v19
	s_nop 1
	v_cndmask_b32_e32 v19, v19, v20, vcc
	v_subrev_u32_e32 v20, s18, v19
	v_cmp_le_u32_e32 vcc, s18, v19
	s_nop 1
	v_cndmask_b32_e32 v32, v19, v20, vcc
	v_add_u32_e32 v20, s38, v54
	v_lshl_add_u64 v[36:37], v[20:21], 1, s[12:13]
	v_add_u32_e32 v20, s38, v18
	v_add_u32_e32 v54, s39, v54
	v_lshl_add_u64 v[38:39], v[20:21], 1, s[12:13]
	v_add_u32_e32 v20, s38, v32
	v_lshl_add_u64 v[42:43], v[54:55], 1, s[12:13]
	;; [unrolled: 2-line block ×3, first 2 shown]
	v_lshl_add_u64 v[40:41], v[20:21], 1, s[12:13]
	v_lshl_add_u64 v[44:45], v[54:55], 1, s[12:13]
	global_load_ushort v26, v[28:29], off
	global_load_ushort v25, v[30:31], off
	;; [unrolled: 1-line block ×8, first 2 shown]
	v_add_u32_e32 v54, s39, v32
	v_lshl_add_u64 v[28:29], v[54:55], 1, s[12:13]
	global_load_ushort v18, v[28:29], off
.LBB75_53:                              ;   in Loop: Header=BB75_19 Depth=1
	v_cmp_ne_u32_e32 vcc, 0, v48
	s_and_saveexec_b64 s[4:5], vcc
	s_cbranch_execnz .LBB75_68
; %bb.54:                               ;   in Loop: Header=BB75_19 Depth=1
	s_or_b64 exec, exec, s[4:5]
	v_cmp_ne_u32_e64 s[4:5], 0, v49
	s_and_saveexec_b64 s[6:7], s[4:5]
	s_cbranch_execnz .LBB75_69
.LBB75_55:                              ;   in Loop: Header=BB75_19 Depth=1
	s_or_b64 exec, exec, s[6:7]
	v_cmp_ne_u32_e64 s[6:7], 0, v50
	s_and_saveexec_b64 s[30:31], s[6:7]
	s_cbranch_execnz .LBB75_70
.LBB75_56:                              ;   in Loop: Header=BB75_19 Depth=1
	s_or_b64 exec, exec, s[30:31]
	v_add_u32_e32 v54, s11, v52
	s_and_saveexec_b64 s[30:31], vcc
	s_cbranch_execnz .LBB75_71
.LBB75_57:                              ;   in Loop: Header=BB75_19 Depth=1
	s_or_b64 exec, exec, s[30:31]
	s_and_saveexec_b64 s[30:31], s[4:5]
	s_cbranch_execnz .LBB75_72
.LBB75_58:                              ;   in Loop: Header=BB75_19 Depth=1
	s_or_b64 exec, exec, s[30:31]
	s_and_saveexec_b64 s[30:31], s[6:7]
	s_cbranch_execnz .LBB75_73
.LBB75_59:                              ;   in Loop: Header=BB75_19 Depth=1
	s_or_b64 exec, exec, s[30:31]
	v_add_u32_e32 v54, s11, v54
	s_and_saveexec_b64 s[30:31], vcc
	s_cbranch_execnz .LBB75_74
.LBB75_60:                              ;   in Loop: Header=BB75_19 Depth=1
	s_or_b64 exec, exec, s[30:31]
	s_and_saveexec_b64 s[30:31], s[4:5]
	s_cbranch_execnz .LBB75_75
.LBB75_61:                              ;   in Loop: Header=BB75_19 Depth=1
	s_or_b64 exec, exec, s[30:31]
	s_and_b64 exec, exec, s[6:7]
	s_cbranch_execz .LBB75_63
.LBB75_62:                              ;   in Loop: Header=BB75_19 Depth=1
	v_cvt_f32_i32_e32 v0, v9
	s_waitcnt vmcnt(0)
	v_cvt_f32_f16_e32 v1, v18
	v_add_u32_e32 v54, 2, v54
	v_add_f32_e32 v0, v5, v0
	v_add_f32_e32 v0, v0, v1
	v_cvt_f16_f32_e32 v2, v0
	v_lshl_add_u64 v[0:1], v[54:55], 1, s[14:15]
	global_store_short v[0:1], v2, off
.LBB75_63:                              ;   in Loop: Header=BB75_19 Depth=1
	s_or_b64 exec, exec, s[28:29]
	v_add_u32_e32 v52, s37, v52
	v_add_u32_e32 v0, 3, v52
	v_cmp_gt_u32_e32 vcc, s11, v52
	v_cmp_le_u32_e64 s[4:5], s11, v0
	s_and_b64 s[4:5], vcc, s[4:5]
	s_and_saveexec_b64 s[6:7], s[4:5]
	s_cbranch_execz .LBB75_18
; %bb.64:                               ;   in Loop: Header=BB75_19 Depth=1
	v_cmp_ne_u32_e32 vcc, s19, v52
	s_and_saveexec_b64 s[28:29], vcc
	s_cbranch_execz .LBB75_17
; %bb.65:                               ;   in Loop: Header=BB75_19 Depth=1
	v_subrev_u32_e32 v0, s19, v52
	v_cmp_lt_u32_e32 vcc, 1, v0
	s_mov_b64 s[30:31], 0
	s_mov_b64 s[34:35], 0
	v_cndmask_b32_e32 v0, 1, v0, vcc
.LBB75_66:                              ;   Parent Loop BB75_19 Depth=1
                                        ; =>  This Inner Loop Header: Depth=2
	s_cmp_lg_u32 s34, 2
	s_cselect_b64 vcc, -1, 0
	s_cmp_lg_u32 s34, 1
	v_cndmask_b32_e32 v50, 0, v50, vcc
	s_cselect_b64 vcc, -1, 0
	s_cmp_lg_u32 s34, 0
	v_cndmask_b32_e32 v49, 0, v49, vcc
	s_cselect_b64 vcc, -1, 0
	s_add_u32 s34, s34, 1
	s_addc_u32 s35, s35, 0
	v_cmp_eq_u32_e64 s[4:5], s34, v0
	s_or_b64 s[30:31], s[4:5], s[30:31]
	v_cndmask_b32_e32 v48, 0, v48, vcc
	s_andn2_b64 exec, exec, s[30:31]
	s_cbranch_execnz .LBB75_66
; %bb.67:                               ;   in Loop: Header=BB75_19 Depth=1
	s_or_b64 exec, exec, s[30:31]
	s_branch .LBB75_17
.LBB75_68:                              ;   in Loop: Header=BB75_19 Depth=1
	v_cvt_f32_i32_e32 v8, v8
	s_waitcnt vmcnt(8)
	v_cvt_f32_f16_e32 v26, v26
	v_mov_b32_e32 v53, v55
	v_add_f32_e32 v4, v4, v8
	v_add_f32_e32 v4, v4, v26
	v_cvt_f16_f32_e32 v4, v4
	v_lshl_add_u64 v[26:27], v[52:53], 1, s[14:15]
	global_store_short v[26:27], v4, off
	s_or_b64 exec, exec, s[4:5]
	v_cmp_ne_u32_e64 s[4:5], 0, v49
	s_and_saveexec_b64 s[6:7], s[4:5]
	s_cbranch_execz .LBB75_55
.LBB75_69:                              ;   in Loop: Header=BB75_19 Depth=1
	v_cvt_f32_i32_e32 v4, v7
	s_waitcnt vmcnt(7)
	v_cvt_f32_f16_e32 v7, v25
	v_mov_b32_e32 v59, v55
	v_lshl_add_u64 v[26:27], v[58:59], 1, s[14:15]
	v_add_f32_e32 v0, v0, v4
	v_add_f32_e32 v0, v0, v7
	v_cvt_f16_f32_e32 v0, v0
	global_store_short v[26:27], v0, off
	s_or_b64 exec, exec, s[6:7]
	v_cmp_ne_u32_e64 s[6:7], 0, v50
	s_and_saveexec_b64 s[30:31], s[6:7]
	s_cbranch_execz .LBB75_56
.LBB75_70:                              ;   in Loop: Header=BB75_19 Depth=1
	v_cvt_f32_i32_e32 v0, v10
	s_waitcnt vmcnt(6)
	v_cvt_f32_f16_e32 v4, v24
	v_mov_b32_e32 v57, v55
	v_add_f32_e32 v0, v1, v0
	v_add_f32_e32 v0, v0, v4
	v_cvt_f16_f32_e32 v4, v0
	v_lshl_add_u64 v[0:1], v[56:57], 1, s[14:15]
	global_store_short v[0:1], v4, off
	s_or_b64 exec, exec, s[30:31]
	v_add_u32_e32 v54, s11, v52
	s_and_saveexec_b64 s[30:31], vcc
	s_cbranch_execz .LBB75_57
.LBB75_71:                              ;   in Loop: Header=BB75_19 Depth=1
	v_cvt_f32_i32_e32 v0, v12
	s_waitcnt vmcnt(5)
	v_cvt_f32_f16_e32 v1, v23
	v_add_f32_e32 v0, v2, v0
	v_add_f32_e32 v0, v0, v1
	v_cvt_f16_f32_e32 v2, v0
	v_lshl_add_u64 v[0:1], v[54:55], 1, s[14:15]
	global_store_short v[0:1], v2, off
	s_or_b64 exec, exec, s[30:31]
	s_and_saveexec_b64 s[30:31], s[4:5]
	s_cbranch_execz .LBB75_58
.LBB75_72:                              ;   in Loop: Header=BB75_19 Depth=1
	v_cvt_f32_i32_e32 v0, v6
	s_waitcnt vmcnt(4)
	v_cvt_f32_f16_e32 v1, v22
	v_add_f32_e32 v0, v3, v0
	v_add_f32_e32 v0, v0, v1
	v_cvt_f16_f32_e32 v2, v0
	v_add_u32_e32 v0, 1, v54
	v_mov_b32_e32 v1, v55
	v_lshl_add_u64 v[0:1], v[0:1], 1, s[14:15]
	global_store_short v[0:1], v2, off
	s_or_b64 exec, exec, s[30:31]
	s_and_saveexec_b64 s[30:31], s[6:7]
	s_cbranch_execz .LBB75_59
.LBB75_73:                              ;   in Loop: Header=BB75_19 Depth=1
	v_cvt_f32_i32_e32 v0, v17
	s_waitcnt vmcnt(3)
	v_cvt_f32_f16_e32 v1, v21
	v_add_f32_e32 v0, v15, v0
	v_add_f32_e32 v0, v0, v1
	v_cvt_f16_f32_e32 v2, v0
	v_add_u32_e32 v0, 2, v54
	v_mov_b32_e32 v1, v55
	v_lshl_add_u64 v[0:1], v[0:1], 1, s[14:15]
	global_store_short v[0:1], v2, off
	s_or_b64 exec, exec, s[30:31]
	v_add_u32_e32 v54, s11, v54
	s_and_saveexec_b64 s[30:31], vcc
	s_cbranch_execz .LBB75_60
.LBB75_74:                              ;   in Loop: Header=BB75_19 Depth=1
	v_cvt_f32_i32_e32 v0, v16
	s_waitcnt vmcnt(2)
	v_cvt_f32_f16_e32 v1, v20
	v_add_f32_e32 v0, v14, v0
	v_add_f32_e32 v0, v0, v1
	v_cvt_f16_f32_e32 v2, v0
	v_lshl_add_u64 v[0:1], v[54:55], 1, s[14:15]
	global_store_short v[0:1], v2, off
	s_or_b64 exec, exec, s[30:31]
	s_and_saveexec_b64 s[30:31], s[4:5]
	s_cbranch_execz .LBB75_61
.LBB75_75:                              ;   in Loop: Header=BB75_19 Depth=1
	v_cvt_f32_i32_e32 v0, v13
	s_waitcnt vmcnt(1)
	v_cvt_f32_f16_e32 v1, v19
	v_add_f32_e32 v0, v11, v0
	v_add_f32_e32 v0, v0, v1
	v_cvt_f16_f32_e32 v2, v0
	v_add_u32_e32 v0, 1, v54
	v_mov_b32_e32 v1, v55
	v_lshl_add_u64 v[0:1], v[0:1], 1, s[14:15]
	global_store_short v[0:1], v2, off
	s_or_b64 exec, exec, s[30:31]
	s_and_b64 exec, exec, s[6:7]
	s_cbranch_execnz .LBB75_62
	s_branch .LBB75_63
.LBB75_76:
	s_endpgm
	.section	.rodata,"a",@progbits
	.p2align	6, 0x0
	.amdhsa_kernel _Z12wvSplitK_hf_I6__halfLi32ELi3ELi16ELi8ELi2ELi3EEviiiiiiPKT_S3_S3_PS1_ii
		.amdhsa_group_segment_fixed_size 65536
		.amdhsa_private_segment_fixed_size 0
		.amdhsa_kernarg_size 64
		.amdhsa_user_sgpr_count 2
		.amdhsa_user_sgpr_dispatch_ptr 0
		.amdhsa_user_sgpr_queue_ptr 0
		.amdhsa_user_sgpr_kernarg_segment_ptr 1
		.amdhsa_user_sgpr_dispatch_id 0
		.amdhsa_user_sgpr_kernarg_preload_length 0
		.amdhsa_user_sgpr_kernarg_preload_offset 0
		.amdhsa_user_sgpr_private_segment_size 0
		.amdhsa_uses_dynamic_stack 0
		.amdhsa_enable_private_segment 0
		.amdhsa_system_sgpr_workgroup_id_x 1
		.amdhsa_system_sgpr_workgroup_id_y 0
		.amdhsa_system_sgpr_workgroup_id_z 0
		.amdhsa_system_sgpr_workgroup_info 0
		.amdhsa_system_vgpr_workitem_id 1
		.amdhsa_next_free_vgpr 81
		.amdhsa_next_free_sgpr 42
		.amdhsa_accum_offset 84
		.amdhsa_reserve_vcc 1
		.amdhsa_float_round_mode_32 0
		.amdhsa_float_round_mode_16_64 0
		.amdhsa_float_denorm_mode_32 3
		.amdhsa_float_denorm_mode_16_64 3
		.amdhsa_dx10_clamp 1
		.amdhsa_ieee_mode 1
		.amdhsa_fp16_overflow 0
		.amdhsa_tg_split 0
		.amdhsa_exception_fp_ieee_invalid_op 0
		.amdhsa_exception_fp_denorm_src 0
		.amdhsa_exception_fp_ieee_div_zero 0
		.amdhsa_exception_fp_ieee_overflow 0
		.amdhsa_exception_fp_ieee_underflow 0
		.amdhsa_exception_fp_ieee_inexact 0
		.amdhsa_exception_int_div_zero 0
	.end_amdhsa_kernel
	.section	.text._Z12wvSplitK_hf_I6__halfLi32ELi3ELi16ELi8ELi2ELi3EEviiiiiiPKT_S3_S3_PS1_ii,"axG",@progbits,_Z12wvSplitK_hf_I6__halfLi32ELi3ELi16ELi8ELi2ELi3EEviiiiiiPKT_S3_S3_PS1_ii,comdat
.Lfunc_end75:
	.size	_Z12wvSplitK_hf_I6__halfLi32ELi3ELi16ELi8ELi2ELi3EEviiiiiiPKT_S3_S3_PS1_ii, .Lfunc_end75-_Z12wvSplitK_hf_I6__halfLi32ELi3ELi16ELi8ELi2ELi3EEviiiiiiPKT_S3_S3_PS1_ii
                                        ; -- End function
	.section	.AMDGPU.csdata,"",@progbits
; Kernel info:
; codeLenInByte = 4560
; NumSgprs: 48
; NumVgprs: 81
; NumAgprs: 0
; TotalNumVgprs: 81
; ScratchSize: 0
; MemoryBound: 1
; FloatMode: 240
; IeeeMode: 1
; LDSByteSize: 65536 bytes/workgroup (compile time only)
; SGPRBlocks: 5
; VGPRBlocks: 10
; NumSGPRsForWavesPerEU: 48
; NumVGPRsForWavesPerEU: 81
; AccumOffset: 84
; Occupancy: 2
; WaveLimiterHint : 0
; COMPUTE_PGM_RSRC2:SCRATCH_EN: 0
; COMPUTE_PGM_RSRC2:USER_SGPR: 2
; COMPUTE_PGM_RSRC2:TRAP_HANDLER: 0
; COMPUTE_PGM_RSRC2:TGID_X_EN: 1
; COMPUTE_PGM_RSRC2:TGID_Y_EN: 0
; COMPUTE_PGM_RSRC2:TGID_Z_EN: 0
; COMPUTE_PGM_RSRC2:TIDIG_COMP_CNT: 1
; COMPUTE_PGM_RSRC3_GFX90A:ACCUM_OFFSET: 20
; COMPUTE_PGM_RSRC3_GFX90A:TG_SPLIT: 0
	.section	.text._Z16wvSplitK_hf_big_I6__halfLi32ELi3ELi16ELi8ELi2ELi3EEviiiiiiPKT_S3_S3_PS1_ii,"axG",@progbits,_Z16wvSplitK_hf_big_I6__halfLi32ELi3ELi16ELi8ELi2ELi3EEviiiiiiPKT_S3_S3_PS1_ii,comdat
	.protected	_Z16wvSplitK_hf_big_I6__halfLi32ELi3ELi16ELi8ELi2ELi3EEviiiiiiPKT_S3_S3_PS1_ii ; -- Begin function _Z16wvSplitK_hf_big_I6__halfLi32ELi3ELi16ELi8ELi2ELi3EEviiiiiiPKT_S3_S3_PS1_ii
	.globl	_Z16wvSplitK_hf_big_I6__halfLi32ELi3ELi16ELi8ELi2ELi3EEviiiiiiPKT_S3_S3_PS1_ii
	.p2align	8
	.type	_Z16wvSplitK_hf_big_I6__halfLi32ELi3ELi16ELi8ELi2ELi3EEviiiiiiPKT_S3_S3_PS1_ii,@function
_Z16wvSplitK_hf_big_I6__halfLi32ELi3ELi16ELi8ELi2ELi3EEviiiiiiPKT_S3_S3_PS1_ii: ; @_Z16wvSplitK_hf_big_I6__halfLi32ELi3ELi16ELi8ELi2ELi3EEviiiiiiPKT_S3_S3_PS1_ii
; %bb.0:
	s_load_dwordx2 s[8:9], s[0:1], 0x38
	v_bfe_u32 v1, v0, 10, 10
	s_waitcnt lgkmcnt(0)
	v_cmp_gt_u32_e32 vcc, s8, v1
	s_and_saveexec_b64 s[4:5], vcc
	s_cbranch_execz .LBB76_58
; %bb.1:
	s_load_dwordx4 s[20:23], s[0:1], 0x0
	s_mul_i32 s2, s2, s8
	v_add_u32_e32 v2, s2, v1
	v_lshl_add_u32 v52, v2, 1, v2
	s_mov_b32 s4, 1
	v_add_u32_e32 v2, 3, v52
	s_mov_b32 s6, s4
	s_waitcnt lgkmcnt(0)
	v_cmp_gt_u32_e32 vcc, s23, v52
	v_cmp_le_u32_e64 s[2:3], s23, v2
	s_mov_b32 s5, s4
	v_mov_b32_e32 v50, s6
	s_and_b64 s[10:11], vcc, s[2:3]
	v_mov_b32_e32 v49, s5
	v_mov_b32_e32 v48, s4
	s_and_saveexec_b64 s[2:3], s[10:11]
	s_cbranch_execz .LBB76_7
; %bb.2:
	s_add_i32 s7, s23, -3
	v_mov_b32_e32 v50, s6
	v_cmp_ne_u32_e32 vcc, s7, v52
	v_mov_b32_e32 v49, s5
	v_mov_b32_e32 v48, s4
	s_and_saveexec_b64 s[10:11], vcc
	s_cbranch_execz .LBB76_6
; %bb.3:
	v_subrev_u32_e32 v2, s7, v52
	v_cmp_lt_u32_e32 vcc, 1, v2
	s_mov_b64 s[12:13], 0
	s_mov_b64 s[14:15], 0
	v_cndmask_b32_e32 v2, 1, v2, vcc
	s_mov_b32 s5, s4
	s_mov_b32 s6, s4
.LBB76_4:                               ; =>This Inner Loop Header: Depth=1
	s_cmp_lg_u32 s14, 2
	s_cselect_b32 s6, s6, 0
	s_cmp_lg_u32 s14, 1
	s_cselect_b32 s5, s5, 0
	;; [unrolled: 2-line block ×3, first 2 shown]
	s_add_u32 s14, s14, 1
	s_addc_u32 s15, s15, 0
	v_cmp_eq_u32_e32 vcc, s14, v2
	v_mov_b32_e32 v50, s6
	s_or_b64 s[12:13], vcc, s[12:13]
	v_mov_b32_e32 v49, s5
	v_mov_b32_e32 v48, s4
	s_andn2_b64 exec, exec, s[12:13]
	s_cbranch_execnz .LBB76_4
; %bb.5:
	s_or_b64 exec, exec, s[12:13]
	v_mov_b32_e32 v52, s7
.LBB76_6:
	s_or_b64 exec, exec, s[10:11]
.LBB76_7:
	s_or_b64 exec, exec, s[2:3]
	s_mul_i32 s44, s8, 3
	s_abs_i32 s2, s44
	v_cvt_f32_u32_e32 v2, s2
	s_sub_i32 s5, 0, s2
	s_abs_i32 s4, s23
	s_ashr_i32 s3, s23, 31
	v_rcp_iflag_f32_e32 v2, v2
	s_nop 0
	v_mul_f32_e32 v2, 0x4f7ffffe, v2
	v_cvt_u32_f32_e32 v2, v2
	s_nop 0
	v_readfirstlane_b32 s6, v2
	s_mul_i32 s5, s5, s6
	s_mul_hi_u32 s5, s6, s5
	s_add_i32 s6, s6, s5
	s_mul_hi_u32 s5, s4, s6
	s_mul_i32 s5, s5, s2
	s_sub_i32 s4, s4, s5
	s_sub_i32 s5, s4, s2
	s_cmp_ge_u32 s4, s2
	s_cselect_b32 s4, s5, s4
	s_sub_i32 s5, s4, s2
	s_cmp_ge_u32 s4, s2
	s_cselect_b32 s2, s5, s4
	s_xor_b32 s2, s2, s3
	s_sub_i32 s2, s2, s3
	s_add_i32 s3, s44, s23
	s_sub_i32 s3, s3, s2
	s_cmp_eq_u32 s2, 0
	s_cselect_b32 s33, s23, s3
	v_cmp_gt_u32_e32 vcc, s33, v52
	s_and_b64 exec, exec, vcc
	s_cbranch_execz .LBB76_58
; %bb.8:
	s_load_dwordx8 s[12:19], s[0:1], 0x10
	s_min_u32 s40, s22, 0x2a00
	s_cmp_lg_u32 s20, 0
	s_cselect_b64 s[2:3], -1, 0
	s_cmp_lg_u32 s22, 0
	s_cselect_b64 s[4:5], -1, 0
	s_lshl_b32 s41, s8, 8
	s_add_i32 s42, s20, -8
	s_add_i32 s43, s23, -1
	s_waitcnt lgkmcnt(0)
	s_cmp_lg_u64 s[18:19], 0
	s_cselect_b64 s[26:27], -1, 0
	s_abs_i32 s6, s13
	v_cvt_f32_u32_e32 v2, s12
	v_cvt_f32_u32_e32 v3, s6
	s_sub_i32 s7, 0, s12
	s_mul_i32 s44, s44, s9
	v_rcp_iflag_f32_e32 v2, v2
	v_rcp_iflag_f32_e32 v3, v3
	s_add_i32 s13, s23, -3
	s_load_dwordx2 s[10:11], s[0:1], 0x30
	v_mul_f32_e32 v2, 0x4f7ffffe, v2
	v_mul_f32_e32 v3, 0x4f7ffffe, v3
	v_cvt_u32_f32_e32 v2, v2
	v_cvt_u32_f32_e32 v3, v3
	v_and_b32_e32 v0, 0x3ff, v0
	v_lshlrev_b32_e32 v51, 3, v0
	v_mul_lo_u32 v4, s7, v2
	s_sub_i32 s7, 0, s6
	v_readfirstlane_b32 s9, v3
	s_mul_i32 s7, s7, s9
	s_mul_hi_u32 s7, s9, s7
	s_add_i32 s9, s9, s7
	s_sub_i32 s7, 1, s6
	s_cmp_lt_u32 s6, 2
	s_cselect_b32 s7, s7, 1
	s_sub_i32 s28, s7, s6
	s_cmp_ge_u32 s7, s6
	s_cselect_b32 s45, s28, s7
	s_lshr_b32 s7, s9, 31
	s_mul_i32 s7, s7, s6
	s_sub_i32 s7, 2, s7
	s_sub_i32 s9, s7, s6
	s_cmp_ge_u32 s7, s6
	s_cselect_b32 s7, s9, s7
	v_cmp_eq_u32_e64 s[0:1], 31, v0
	s_sub_i32 s9, s7, s6
	v_lshlrev_b32_e32 v0, 4, v0
	s_cmp_ge_u32 s7, s6
	v_lshl_add_u32 v63, v1, 9, v0
	v_cndmask_b32_e64 v0, 0, 1, s[2:3]
	v_mul_hi_u32 v4, v2, v4
	s_cselect_b32 s46, s9, s7
	s_waitcnt lgkmcnt(0)
	s_add_u32 s28, s10, 2
	v_lshl_add_u32 v64, v1, 8, v51
	v_cmp_ne_u32_e64 s[2:3], 1, v0
	v_cndmask_b32_e64 v0, 0, 1, s[4:5]
	s_mov_b64 s[24:25], 0
	v_add_u32_e32 v62, v2, v4
	v_mov_b32_e32 v55, 0
	s_mul_i32 s45, s45, s12
	s_mul_i32 s46, s46, s12
	s_addc_u32 s29, s11, 0
	s_lshl_b32 s47, s40, 2
	s_lshl_b32 s48, s8, 9
	;; [unrolled: 1-line block ×3, first 2 shown]
	v_lshl_add_u32 v65, s22, 1, v64
	v_add_u32_e32 v66, s22, v64
	v_cmp_ne_u32_e64 s[4:5], 1, v0
	s_branch .LBB76_12
.LBB76_9:                               ;   in Loop: Header=BB76_12 Depth=1
	s_or_b64 exec, exec, s[34:35]
	v_mov_b32_e32 v52, s13
.LBB76_10:                              ;   in Loop: Header=BB76_12 Depth=1
	s_or_b64 exec, exec, s[8:9]
.LBB76_11:                              ;   in Loop: Header=BB76_12 Depth=1
	s_or_b64 exec, exec, s[30:31]
	v_cmp_le_u32_e32 vcc, s33, v52
	s_or_b64 s[24:25], vcc, s[24:25]
	s_andn2_b64 exec, exec, s[24:25]
	s_cbranch_execz .LBB76_58
.LBB76_12:                              ; =>This Loop Header: Depth=1
                                        ;     Child Loop BB76_17 Depth 2
                                        ;       Child Loop BB76_22 Depth 3
                                        ;     Child Loop BB76_48 Depth 2
	s_mov_b32 s36, 0
	s_and_b64 vcc, exec, s[2:3]
	v_mov_b32_e32 v74, v55
	v_mov_b32_e32 v73, v55
	;; [unrolled: 1-line block ×9, first 2 shown]
	s_cbranch_vccnz .LBB76_29
; %bb.13:                               ;   in Loop: Header=BB76_12 Depth=1
	v_min_u32_e32 v0, s43, v52
	v_mul_lo_u32 v54, v0, s21
	v_add_u32_e32 v0, 1, v52
	v_add_u32_e32 v2, 2, v52
	v_min_u32_e32 v0, s43, v0
	v_min_u32_e32 v2, s43, v2
	v_mul_lo_u32 v0, v0, s21
	v_mov_b32_e32 v1, v55
	v_mul_lo_u32 v2, v2, s21
	v_mov_b32_e32 v3, v55
	v_cmp_gt_u32_e64 s[6:7], s23, v52
	v_mov_b32_e32 v68, 0
	v_lshlrev_b64 v[56:57], 1, v[54:55]
	v_lshlrev_b64 v[58:59], 1, v[0:1]
	v_lshlrev_b64 v[60:61], 1, v[2:3]
	v_mov_b32_e32 v67, 0
	v_mov_b32_e32 v53, 0
	;; [unrolled: 1-line block ×8, first 2 shown]
	s_mov_b32 s37, 0
	s_branch .LBB76_17
.LBB76_14:                              ;   in Loop: Header=BB76_17 Depth=2
	s_or_b64 exec, exec, s[34:35]
.LBB76_15:                              ;   in Loop: Header=BB76_17 Depth=2
	s_or_b64 exec, exec, s[30:31]
	s_waitcnt vmcnt(5) lgkmcnt(2)
	;;#ASMSTART
	v_dot2c_f32_f16 v74, v44, v32
	;;#ASMEND
	s_waitcnt vmcnt(4)
	;;#ASMSTART
	v_dot2c_f32_f16 v73, v44, v28
	;;#ASMEND
	s_waitcnt vmcnt(3)
	;;#ASMSTART
	v_dot2c_f32_f16 v72, v44, v24
	;;#ASMEND
	s_waitcnt lgkmcnt(1)
	;;#ASMSTART
	v_dot2c_f32_f16 v71, v40, v32
	;;#ASMEND
	;;#ASMSTART
	v_dot2c_f32_f16 v70, v40, v28
	;;#ASMEND
	;; [unrolled: 3-line block ×3, first 2 shown]
	s_waitcnt lgkmcnt(0)
	;;#ASMSTART
	v_dot2c_f32_f16 v68, v36, v32
	;;#ASMEND
	;;#ASMSTART
	v_dot2c_f32_f16 v67, v36, v28
	;;#ASMEND
	;;#ASMSTART
	v_dot2c_f32_f16 v53, v36, v24
	;;#ASMEND
	;;#ASMSTART
	v_dot2c_f32_f16 v74, v45, v33
	;;#ASMEND
	;;#ASMSTART
	v_dot2c_f32_f16 v73, v45, v29
	;;#ASMEND
	;;#ASMSTART
	v_dot2c_f32_f16 v72, v45, v25
	;;#ASMEND
	;;#ASMSTART
	v_dot2c_f32_f16 v71, v41, v33
	;;#ASMEND
	;;#ASMSTART
	v_dot2c_f32_f16 v70, v41, v29
	;;#ASMEND
	;;#ASMSTART
	v_dot2c_f32_f16 v69, v41, v25
	;;#ASMEND
	s_nop 0
	;;#ASMSTART
	v_dot2c_f32_f16 v68, v37, v33
	;;#ASMEND
	;;#ASMSTART
	v_dot2c_f32_f16 v67, v37, v29
	;;#ASMEND
	;;#ASMSTART
	v_dot2c_f32_f16 v53, v37, v25
	;;#ASMEND
	;;#ASMSTART
	v_dot2c_f32_f16 v74, v46, v34
	;;#ASMEND
	;;#ASMSTART
	v_dot2c_f32_f16 v73, v46, v30
	;;#ASMEND
	;;#ASMSTART
	v_dot2c_f32_f16 v72, v46, v26
	;;#ASMEND
	;;#ASMSTART
	v_dot2c_f32_f16 v71, v42, v34
	;;#ASMEND
	;;#ASMSTART
	v_dot2c_f32_f16 v70, v42, v30
	;;#ASMEND
	;;#ASMSTART
	v_dot2c_f32_f16 v69, v42, v26
	;;#ASMEND
	s_nop 0
	;; [unrolled: 28-line block ×3, first 2 shown]
	;;#ASMSTART
	v_dot2c_f32_f16 v68, v39, v35
	;;#ASMEND
	;;#ASMSTART
	v_dot2c_f32_f16 v67, v39, v31
	;;#ASMEND
	;; [unrolled: 3-line block ×3, first 2 shown]
	s_waitcnt vmcnt(2)
	;;#ASMSTART
	v_dot2c_f32_f16 v74, v20, v8
	;;#ASMEND
	s_waitcnt vmcnt(1)
	;;#ASMSTART
	v_dot2c_f32_f16 v73, v20, v4
	;;#ASMEND
	;; [unrolled: 4-line block ×3, first 2 shown]
	;;#ASMSTART
	v_dot2c_f32_f16 v71, v16, v8
	;;#ASMEND
	;;#ASMSTART
	v_dot2c_f32_f16 v70, v16, v4
	;;#ASMEND
	;;#ASMSTART
	v_dot2c_f32_f16 v69, v16, v0
	;;#ASMEND
	;;#ASMSTART
	v_dot2c_f32_f16 v68, v12, v8
	;;#ASMEND
	;;#ASMSTART
	v_dot2c_f32_f16 v67, v12, v4
	;;#ASMEND
	;;#ASMSTART
	v_dot2c_f32_f16 v53, v12, v0
	;;#ASMEND
	;;#ASMSTART
	v_dot2c_f32_f16 v74, v21, v9
	;;#ASMEND
	;;#ASMSTART
	v_dot2c_f32_f16 v73, v21, v5
	;;#ASMEND
	s_nop 0
	;;#ASMSTART
	v_dot2c_f32_f16 v72, v21, v1
	;;#ASMEND
	;;#ASMSTART
	v_dot2c_f32_f16 v71, v17, v9
	;;#ASMEND
	;;#ASMSTART
	v_dot2c_f32_f16 v70, v17, v5
	;;#ASMEND
	;;#ASMSTART
	v_dot2c_f32_f16 v69, v17, v1
	;;#ASMEND
	;;#ASMSTART
	v_dot2c_f32_f16 v68, v13, v9
	;;#ASMEND
	;;#ASMSTART
	v_dot2c_f32_f16 v67, v13, v5
	;;#ASMEND
	;;#ASMSTART
	v_dot2c_f32_f16 v53, v13, v1
	;;#ASMEND
	;;#ASMSTART
	v_dot2c_f32_f16 v74, v22, v10
	;;#ASMEND
	;;#ASMSTART
	v_dot2c_f32_f16 v73, v22, v6
	;;#ASMEND
	s_nop 0
	;;#ASMSTART
	v_dot2c_f32_f16 v72, v22, v2
	;;#ASMEND
	;;#ASMSTART
	v_dot2c_f32_f16 v71, v18, v10
	;;#ASMEND
	;;#ASMSTART
	v_dot2c_f32_f16 v70, v18, v6
	;;#ASMEND
	;;#ASMSTART
	v_dot2c_f32_f16 v69, v18, v2
	;;#ASMEND
	;;#ASMSTART
	v_dot2c_f32_f16 v68, v14, v10
	;;#ASMEND
	;;#ASMSTART
	v_dot2c_f32_f16 v67, v14, v6
	;;#ASMEND
	;;#ASMSTART
	v_dot2c_f32_f16 v53, v14, v2
	;;#ASMEND
	;;#ASMSTART
	v_dot2c_f32_f16 v74, v23, v11
	;;#ASMEND
	;;#ASMSTART
	v_dot2c_f32_f16 v73, v23, v7
	;;#ASMEND
	s_nop 0
	;;#ASMSTART
	v_dot2c_f32_f16 v72, v23, v3
	;;#ASMEND
	;;#ASMSTART
	v_dot2c_f32_f16 v71, v19, v11
	;;#ASMEND
	;;#ASMSTART
	v_dot2c_f32_f16 v70, v19, v7
	;;#ASMEND
	;; [unrolled: 3-line block ×6, first 2 shown]
.LBB76_16:                              ;   in Loop: Header=BB76_17 Depth=2
	s_or_b64 exec, exec, s[8:9]
	s_addk_i32 s37, 0x200
	s_cmp_ge_u32 s37, s20
	s_cbranch_scc1 .LBB76_29
.LBB76_17:                              ;   Parent Loop BB76_12 Depth=1
                                        ; =>  This Loop Header: Depth=2
                                        ;       Child Loop BB76_22 Depth 3
	s_cmp_eq_u32 s37, 0
	s_cselect_b64 s[8:9], -1, 0
	s_add_i32 s30, s36, s40
	s_cmp_eq_u32 s37, s30
	s_cselect_b64 s[34:35], -1, 0
	s_or_b64 s[34:35], s[8:9], s[34:35]
	s_andn2_b64 vcc, exec, s[34:35]
	s_cbranch_vccz .LBB76_19
; %bb.18:                               ;   in Loop: Header=BB76_17 Depth=2
	s_and_saveexec_b64 s[8:9], s[6:7]
	s_cbranch_execz .LBB76_16
	s_branch .LBB76_26
.LBB76_19:                              ;   in Loop: Header=BB76_17 Depth=2
	s_and_b64 s[8:9], s[8:9], exec
	s_cselect_b32 s36, s36, s30
	s_and_b64 vcc, exec, s[4:5]
	s_barrier
	s_cbranch_vccnz .LBB76_25
; %bb.20:                               ;   in Loop: Header=BB76_17 Depth=2
	v_add_u32_e32 v0, s36, v65
	v_add_u32_e32 v1, s36, v66
	;; [unrolled: 1-line block ×3, first 2 shown]
	s_mov_b32 s38, 0
	s_mov_b64 s[30:31], 0
	v_mov_b32_e32 v3, v63
                                        ; implicit-def: $sgpr34_sgpr35
	s_branch .LBB76_22
.LBB76_21:                              ;   in Loop: Header=BB76_22 Depth=3
	s_or_b64 exec, exec, s[8:9]
	s_and_b64 s[8:9], exec, s[34:35]
	s_or_b64 s[30:31], s[8:9], s[30:31]
	s_andn2_b64 exec, exec, s[30:31]
	s_cbranch_execz .LBB76_24
.LBB76_22:                              ;   Parent Loop BB76_12 Depth=1
                                        ;     Parent Loop BB76_17 Depth=2
                                        ; =>    This Inner Loop Header: Depth=3
	v_add_u32_e32 v4, s38, v64
	v_add_u32_e32 v54, s38, v2
	v_cmp_gt_u32_e32 vcc, s22, v54
	v_cmp_gt_u32_e64 s[8:9], s40, v4
	s_and_b64 s[50:51], s[8:9], vcc
	s_or_b64 s[34:35], s[34:35], exec
	s_and_saveexec_b64 s[8:9], s[50:51]
	s_cbranch_execz .LBB76_21
; %bb.23:                               ;   in Loop: Header=BB76_22 Depth=3
	v_lshl_add_u64 v[12:13], v[54:55], 1, s[16:17]
	v_add_u32_e32 v54, s38, v1
	v_lshl_add_u64 v[14:15], v[54:55], 1, s[16:17]
	v_add_u32_e32 v54, s38, v0
	global_load_dwordx4 v[4:7], v[12:13], off
	global_load_dwordx4 v[8:11], v[14:15], off
	v_lshl_add_u64 v[12:13], v[54:55], 1, s[16:17]
	global_load_dwordx4 v[12:15], v[12:13], off
	s_add_i32 s38, s38, s41
	s_cmp_ge_u32 s38, s40
	s_cselect_b64 s[50:51], -1, 0
	s_andn2_b64 s[34:35], s[34:35], exec
	s_and_b64 s[50:51], s[50:51], exec
	v_add_u32_e32 v16, s49, v3
	v_add_u32_e32 v17, s47, v3
	s_or_b64 s[34:35], s[34:35], s[50:51]
	s_waitcnt vmcnt(2)
	ds_write_b128 v3, v[4:7]
	v_add_u32_e32 v3, s48, v3
	s_waitcnt vmcnt(1)
	ds_write2_b64 v16, v[8:9], v[10:11] offset1:1
	s_waitcnt vmcnt(0)
	ds_write2_b32 v17, v12, v13 offset1:1
	ds_write2_b32 v17, v14, v15 offset0:2 offset1:3
	s_branch .LBB76_21
.LBB76_24:                              ;   in Loop: Header=BB76_17 Depth=2
	s_or_b64 exec, exec, s[30:31]
.LBB76_25:                              ;   in Loop: Header=BB76_17 Depth=2
	s_waitcnt lgkmcnt(0)
	s_barrier
	s_and_saveexec_b64 s[8:9], s[6:7]
	s_cbranch_execz .LBB76_16
.LBB76_26:                              ;   in Loop: Header=BB76_17 Depth=2
	v_add_u32_e32 v75, s37, v51
	v_min_u32_e32 v54, s42, v75
	v_lshl_add_u64 v[0:1], v[54:55], 1, s[14:15]
	v_add_u32_e32 v76, 0x100, v75
	v_lshl_add_u64 v[2:3], v[0:1], 0, v[56:57]
	v_min_u32_e32 v54, s42, v76
	v_lshl_add_u64 v[4:5], v[0:1], 0, v[58:59]
	global_load_dwordx4 v[32:35], v[2:3], off nt
	global_load_dwordx4 v[28:31], v[4:5], off nt
	v_lshl_add_u64 v[2:3], v[54:55], 1, s[14:15]
	v_lshl_add_u64 v[0:1], v[0:1], 0, v[60:61]
	;; [unrolled: 1-line block ×4, first 2 shown]
	global_load_dwordx4 v[24:27], v[0:1], off nt
	global_load_dwordx4 v[8:11], v[4:5], off nt
	v_lshl_add_u64 v[14:15], v[2:3], 0, v[60:61]
	global_load_dwordx4 v[4:7], v[12:13], off nt
	global_load_dwordx4 v[0:3], v[14:15], off nt
	v_cmp_gt_u32_e32 vcc, s20, v75
	v_mov_b32_e32 v44, 0
	v_mov_b32_e32 v45, 0
	;; [unrolled: 1-line block ×12, first 2 shown]
	s_waitcnt vmcnt(7)
	v_mov_b32_e32 v20, 0
	v_mov_b32_e32 v21, 0
	;; [unrolled: 1-line block ×7, first 2 shown]
	s_waitcnt vmcnt(6)
	v_mov_b32_e32 v19, 0
	v_mov_b32_e32 v12, 0
	;; [unrolled: 1-line block ×5, first 2 shown]
	s_and_saveexec_b64 s[30:31], vcc
	s_cbranch_execz .LBB76_15
; %bb.27:                               ;   in Loop: Header=BB76_17 Depth=2
	v_subrev_u32_e32 v12, s36, v75
	v_lshlrev_b32_e32 v77, 1, v12
	v_add_u32_e32 v75, s49, v77
	v_add_u32_e32 v54, s49, v75
	ds_read_b128 v[44:47], v77
	ds_read_b128 v[40:43], v75
	;; [unrolled: 1-line block ×3, first 2 shown]
	v_cmp_gt_u32_e32 vcc, s20, v76
	v_mov_b32_e32 v15, 0
	v_mov_b32_e32 v14, 0
	;; [unrolled: 1-line block ×12, first 2 shown]
	s_and_saveexec_b64 s[34:35], vcc
	s_cbranch_execz .LBB76_14
; %bb.28:                               ;   in Loop: Header=BB76_17 Depth=2
	ds_read_b128 v[20:23], v77 offset:512
	ds_read_b128 v[16:19], v75 offset:512
	;; [unrolled: 1-line block ×3, first 2 shown]
	s_branch .LBB76_14
.LBB76_29:                              ;   in Loop: Header=BB76_12 Depth=1
	v_cmp_le_u32_e32 vcc, s23, v52
	s_and_saveexec_b64 s[6:7], vcc
	s_xor_b64 s[6:7], exec, s[6:7]
; %bb.30:                               ;   in Loop: Header=BB76_12 Depth=1
	v_add_u32_e32 v52, s44, v52
                                        ; implicit-def: $vgpr74
                                        ; implicit-def: $vgpr73
                                        ; implicit-def: $vgpr72
                                        ; implicit-def: $vgpr71
                                        ; implicit-def: $vgpr70
                                        ; implicit-def: $vgpr69
                                        ; implicit-def: $vgpr53
                                        ; implicit-def: $vgpr67
                                        ; implicit-def: $vgpr68
; %bb.31:                               ;   in Loop: Header=BB76_12 Depth=1
	s_andn2_saveexec_b64 s[30:31], s[6:7]
	s_cbranch_execz .LBB76_11
; %bb.32:                               ;   in Loop: Header=BB76_12 Depth=1
	v_cvt_i32_f32_e32 v0, v74
	v_cvt_i32_f32_e32 v1, v73
	;; [unrolled: 1-line block ×4, first 2 shown]
	v_cvt_f32_i32_dpp v0, v0 row_shr:8 row_mask:0xf bank_mask:0xf bound_ctrl:1
	v_cvt_f32_i32_dpp v1, v1 row_shr:8 row_mask:0xf bank_mask:0xf bound_ctrl:1
	v_cvt_f32_i32_dpp v2, v2 row_shr:8 row_mask:0xf bank_mask:0xf bound_ctrl:1
	v_cvt_f32_i32_dpp v3, v3 row_shr:8 row_mask:0xf bank_mask:0xf bound_ctrl:1
	v_add_f32_e32 v0, v74, v0
	v_cvt_i32_f32_e32 v5, v0
	v_add_f32_e32 v1, v73, v1
	v_cvt_i32_f32_e32 v6, v1
	v_add_f32_e32 v2, v72, v2
	v_cvt_f32_i32_dpp v5, v5 row_shr:4 row_mask:0xf bank_mask:0xf bound_ctrl:1
	v_cvt_i32_f32_e32 v7, v2
	v_cvt_f32_i32_dpp v6, v6 row_shr:4 row_mask:0xf bank_mask:0xf bound_ctrl:1
	v_add_f32_e32 v3, v71, v3
	v_add_f32_e32 v0, v0, v5
	v_cvt_i32_f32_e32 v5, v0
	v_add_f32_e32 v1, v1, v6
	v_cvt_i32_f32_e32 v6, v1
	v_cvt_i32_f32_e32 v4, v70
	v_cvt_f32_i32_dpp v5, v5 row_shr:2 row_mask:0xf bank_mask:0xf bound_ctrl:1
	v_cvt_i32_f32_e32 v8, v3
	v_cvt_f32_i32_dpp v6, v6 row_shr:2 row_mask:0xf bank_mask:0xf bound_ctrl:1
	v_cvt_f32_i32_dpp v7, v7 row_shr:4 row_mask:0xf bank_mask:0xf bound_ctrl:1
	v_add_f32_e32 v0, v0, v5
	v_cvt_i32_f32_e32 v5, v0
	v_add_f32_e32 v1, v1, v6
	v_cvt_i32_f32_e32 v6, v1
	v_cvt_f32_i32_dpp v4, v4 row_shr:8 row_mask:0xf bank_mask:0xf bound_ctrl:1
	v_cvt_f32_i32_dpp v5, v5 row_shr:1 row_mask:0xf bank_mask:0xf bound_ctrl:1
	;; [unrolled: 1-line block ×4, first 2 shown]
	v_add_f32_e32 v2, v2, v7
	v_add_f32_e32 v0, v0, v5
	v_cvt_i32_f32_e32 v5, v0
	v_add_f32_e32 v1, v1, v6
	v_cvt_i32_f32_e32 v6, v1
	v_cvt_i32_f32_e32 v7, v2
	v_cvt_f32_i32_dpp v5, v5 row_bcast:15 row_mask:0xf bank_mask:0xf bound_ctrl:1
	v_add_f32_e32 v4, v70, v4
	v_cvt_f32_i32_dpp v6, v6 row_bcast:15 row_mask:0xf bank_mask:0xf bound_ctrl:1
	v_cvt_f32_i32_dpp v7, v7 row_shr:2 row_mask:0xf bank_mask:0xf bound_ctrl:1
	v_add_f32_e32 v5, v0, v5
	v_cvt_i32_f32_e32 v0, v5
	v_add_f32_e32 v1, v1, v6
	v_cvt_i32_f32_e32 v6, v4
	v_add_f32_e32 v2, v2, v7
	v_mov_b32_dpp v9, v0 row_bcast:31 row_mask:0xf bank_mask:0xf bound_ctrl:1
	v_add_f32_e32 v0, v3, v8
	v_cvt_i32_f32_e32 v3, v0
	v_cvt_f32_i32_dpp v6, v6 row_shr:4 row_mask:0xf bank_mask:0xf bound_ctrl:1
	v_cvt_i32_f32_e32 v7, v2
	v_cvt_i32_f32_e32 v8, v1
	v_cvt_f32_i32_dpp v3, v3 row_shr:2 row_mask:0xf bank_mask:0xf bound_ctrl:1
	v_add_f32_e32 v4, v4, v6
	v_cvt_i32_f32_e32 v6, v4
	v_cvt_f32_i32_dpp v7, v7 row_shr:1 row_mask:0xf bank_mask:0xf bound_ctrl:1
	v_add_f32_e32 v0, v0, v3
	;; [unrolled: 3-line block ×4, first 2 shown]
	v_cvt_i32_f32_e32 v6, v4
	v_cvt_f32_i32_dpp v7, v7 row_bcast:15 row_mask:0xf bank_mask:0xf bound_ctrl:1
	v_add_f32_e32 v0, v0, v3
	v_cvt_i32_f32_e32 v3, v69
	v_cvt_f32_i32_dpp v6, v6 row_shr:1 row_mask:0xf bank_mask:0xf bound_ctrl:1
	v_add_f32_e32 v2, v2, v7
	v_cvt_i32_f32_e32 v7, v0
	v_cvt_f32_i32_dpp v3, v3 row_shr:8 row_mask:0xf bank_mask:0xf bound_ctrl:1
	v_cvt_i32_f32_e32 v10, v2
	v_add_f32_e32 v4, v4, v6
	v_cvt_f32_i32_dpp v7, v7 row_bcast:15 row_mask:0xf bank_mask:0xf bound_ctrl:1
	v_add_f32_e32 v12, v69, v3
	v_cvt_i32_f32_e32 v3, v12
	v_cvt_i32_f32_e32 v6, v4
	v_mov_b32_dpp v11, v10 row_bcast:31 row_mask:0xf bank_mask:0xf bound_ctrl:1
	v_mov_b32_dpp v8, v8 row_bcast:31 row_mask:0xf bank_mask:0xf bound_ctrl:1
	v_cvt_f32_i32_dpp v10, v3 row_shr:4 row_mask:0xf bank_mask:0xf bound_ctrl:1
	v_add_f32_e32 v3, v0, v7
	v_cvt_f32_i32_dpp v0, v6 row_bcast:15 row_mask:0xf bank_mask:0xf bound_ctrl:1
	v_cvt_i32_f32_e32 v6, v68
	v_add_f32_e32 v7, v12, v10
	v_cvt_i32_f32_e32 v10, v7
	v_add_f32_e32 v4, v4, v0
	v_cvt_f32_i32_dpp v6, v6 row_shr:8 row_mask:0xf bank_mask:0xf bound_ctrl:1
	v_cvt_i32_f32_e32 v12, v3
	v_cvt_f32_i32_dpp v0, v10 row_shr:2 row_mask:0xf bank_mask:0xf bound_ctrl:1
	v_cvt_i32_f32_e32 v10, v4
	v_add_f32_e32 v6, v68, v6
	v_cvt_i32_f32_e32 v14, v6
	v_add_f32_e32 v0, v7, v0
	v_cvt_i32_f32_e32 v15, v0
	v_mov_b32_dpp v13, v12 row_bcast:31 row_mask:0xf bank_mask:0xf bound_ctrl:1
	v_cvt_f32_i32_dpp v12, v14 row_shr:4 row_mask:0xf bank_mask:0xf bound_ctrl:1
	v_mov_b32_dpp v7, v10 row_bcast:31 row_mask:0xf bank_mask:0xf bound_ctrl:1
	v_cvt_f32_i32_dpp v10, v15 row_shr:1 row_mask:0xf bank_mask:0xf bound_ctrl:1
	v_cvt_i32_f32_e32 v14, v67
	v_add_f32_e32 v6, v6, v12
	v_cvt_i32_f32_e32 v12, v53
	v_add_f32_e32 v0, v0, v10
	v_cvt_f32_i32_dpp v14, v14 row_shr:8 row_mask:0xf bank_mask:0xf bound_ctrl:1
	v_cvt_i32_f32_e32 v15, v6
	v_cvt_f32_i32_dpp v10, v12 row_shr:8 row_mask:0xf bank_mask:0xf bound_ctrl:1
	v_cvt_i32_f32_e32 v17, v0
	v_add_f32_e32 v14, v67, v14
	v_cvt_f32_i32_dpp v12, v15 row_shr:2 row_mask:0xf bank_mask:0xf bound_ctrl:1
	v_add_f32_e32 v10, v53, v10
	v_cvt_i32_f32_e32 v15, v14
	v_cvt_i32_f32_e32 v16, v10
	v_add_f32_e32 v6, v6, v12
	v_cvt_f32_i32_dpp v17, v17 row_bcast:15 row_mask:0xf bank_mask:0xf bound_ctrl:1
	v_cvt_f32_i32_dpp v15, v15 row_shr:4 row_mask:0xf bank_mask:0xf bound_ctrl:1
	v_cvt_f32_i32_dpp v12, v16 row_shr:4 row_mask:0xf bank_mask:0xf bound_ctrl:1
	v_cvt_i32_f32_e32 v16, v6
	v_add_f32_e32 v14, v14, v15
	v_add_f32_e32 v10, v10, v12
	v_cvt_i32_f32_e32 v15, v14
	v_cvt_i32_f32_e32 v12, v10
	v_cvt_f32_i32_dpp v16, v16 row_shr:1 row_mask:0xf bank_mask:0xf bound_ctrl:1
	v_cvt_f32_i32_dpp v15, v15 row_shr:2 row_mask:0xf bank_mask:0xf bound_ctrl:1
	;; [unrolled: 1-line block ×3, first 2 shown]
	v_add_f32_e32 v6, v6, v16
	v_add_f32_e32 v16, v0, v17
	;; [unrolled: 1-line block ×4, first 2 shown]
	v_cvt_i32_f32_e32 v15, v14
	v_cvt_i32_f32_e32 v12, v10
	;; [unrolled: 1-line block ×4, first 2 shown]
	v_cvt_f32_i32_dpp v15, v15 row_shr:1 row_mask:0xf bank_mask:0xf bound_ctrl:1
	v_cvt_f32_i32_dpp v0, v12 row_shr:1 row_mask:0xf bank_mask:0xf bound_ctrl:1
	v_cvt_f32_i32_dpp v12, v18 row_bcast:15 row_mask:0xf bank_mask:0xf bound_ctrl:1
	v_add_f32_e32 v14, v14, v15
	v_add_f32_e32 v0, v10, v0
	v_cvt_i32_f32_e32 v15, v14
	v_cvt_i32_f32_e32 v10, v0
	s_nop 0
	v_cvt_f32_i32_dpp v18, v15 row_bcast:15 row_mask:0xf bank_mask:0xf bound_ctrl:1
	v_add_f32_e32 v15, v6, v12
	v_cvt_f32_i32_dpp v6, v10 row_bcast:15 row_mask:0xf bank_mask:0xf bound_ctrl:1
	v_cvt_i32_f32_e32 v10, v15
	v_add_f32_e32 v12, v14, v18
	v_cvt_i32_f32_e32 v14, v12
	v_add_f32_e32 v6, v0, v6
	v_cvt_i32_f32_e32 v0, v6
	v_mov_b32_dpp v18, v17 row_bcast:31 row_mask:0xf bank_mask:0xf bound_ctrl:1
	v_mov_b32_dpp v17, v10 row_bcast:31 row_mask:0xf bank_mask:0xf bound_ctrl:1
	;; [unrolled: 1-line block ×4, first 2 shown]
	s_and_saveexec_b64 s[34:35], s[0:1]
	s_cbranch_execz .LBB76_45
; %bb.33:                               ;   in Loop: Header=BB76_12 Depth=1
	s_andn2_b64 vcc, exec, s[26:27]
	s_waitcnt vmcnt(8)
	v_mov_b32_e32 v27, 0
	v_add_u32_e32 v0, 2, v52
	s_waitcnt vmcnt(7)
	v_mov_b32_e32 v26, 0
	s_waitcnt vmcnt(6)
	v_mov_b32_e32 v25, 0
	;; [unrolled: 2-line block ×8, first 2 shown]
	s_cbranch_vccnz .LBB76_35
; %bb.34:                               ;   in Loop: Header=BB76_12 Depth=1
	v_mul_hi_u32 v19, v52, v62
	v_mul_lo_u32 v19, v19, s12
	v_sub_u32_e32 v19, v52, v19
	v_subrev_u32_e32 v20, s12, v19
	v_cmp_le_u32_e32 vcc, s12, v19
	v_mov_b32_e32 v21, v55
	v_mov_b32_e32 v23, v55
	v_cndmask_b32_e32 v19, v19, v20, vcc
	v_subrev_u32_e32 v20, s12, v19
	v_cmp_le_u32_e32 vcc, s12, v19
	v_mov_b32_e32 v33, v55
	s_nop 0
	v_cndmask_b32_e32 v54, v19, v20, vcc
	v_add_u32_e32 v19, 1, v52
	v_mul_hi_u32 v20, v19, v62
	v_mul_lo_u32 v20, v20, s12
	v_sub_u32_e32 v19, v19, v20
	v_subrev_u32_e32 v20, s12, v19
	v_cmp_le_u32_e32 vcc, s12, v19
	v_add_u32_e32 v22, s45, v54
	v_lshl_add_u64 v[28:29], v[54:55], 1, s[18:19]
	v_cndmask_b32_e32 v19, v19, v20, vcc
	v_subrev_u32_e32 v20, s12, v19
	v_cmp_le_u32_e32 vcc, s12, v19
	v_lshl_add_u64 v[36:37], v[22:23], 1, s[18:19]
	v_add_u32_e32 v54, s46, v54
	v_cndmask_b32_e32 v20, v19, v20, vcc
	v_mul_hi_u32 v19, v0, v62
	v_mul_lo_u32 v19, v19, s12
	v_sub_u32_e32 v19, v0, v19
	v_lshl_add_u64 v[30:31], v[20:21], 1, s[18:19]
	v_subrev_u32_e32 v21, s12, v19
	v_cmp_le_u32_e32 vcc, s12, v19
	v_add_u32_e32 v22, s45, v20
	v_lshl_add_u64 v[38:39], v[22:23], 1, s[18:19]
	v_cndmask_b32_e32 v19, v19, v21, vcc
	v_subrev_u32_e32 v21, s12, v19
	v_cmp_le_u32_e32 vcc, s12, v19
	v_lshl_add_u64 v[42:43], v[54:55], 1, s[18:19]
	v_add_u32_e32 v54, s46, v20
	v_cndmask_b32_e32 v32, v19, v21, vcc
	v_add_u32_e32 v22, s45, v32
	v_lshl_add_u64 v[34:35], v[32:33], 1, s[18:19]
	v_lshl_add_u64 v[40:41], v[22:23], 1, s[18:19]
	;; [unrolled: 1-line block ×3, first 2 shown]
	global_load_ushort v27, v[28:29], off
	global_load_ushort v26, v[30:31], off
	;; [unrolled: 1-line block ×8, first 2 shown]
	v_add_u32_e32 v54, s46, v32
	v_lshl_add_u64 v[28:29], v[54:55], 1, s[18:19]
	global_load_ushort v19, v[28:29], off
.LBB76_35:                              ;   in Loop: Header=BB76_12 Depth=1
	v_cmp_ne_u32_e32 vcc, 0, v48
	s_and_saveexec_b64 s[6:7], vcc
	s_cbranch_execnz .LBB76_50
; %bb.36:                               ;   in Loop: Header=BB76_12 Depth=1
	s_or_b64 exec, exec, s[6:7]
	v_cmp_ne_u32_e64 s[6:7], 0, v49
	s_and_saveexec_b64 s[8:9], s[6:7]
	s_cbranch_execnz .LBB76_51
.LBB76_37:                              ;   in Loop: Header=BB76_12 Depth=1
	s_or_b64 exec, exec, s[8:9]
	v_cmp_ne_u32_e64 s[8:9], 0, v50
	s_and_saveexec_b64 s[36:37], s[8:9]
	s_cbranch_execnz .LBB76_52
.LBB76_38:                              ;   in Loop: Header=BB76_12 Depth=1
	s_or_b64 exec, exec, s[36:37]
	v_add_u32_e32 v54, s23, v52
	s_and_saveexec_b64 s[36:37], vcc
	s_cbranch_execnz .LBB76_53
.LBB76_39:                              ;   in Loop: Header=BB76_12 Depth=1
	s_or_b64 exec, exec, s[36:37]
	s_and_saveexec_b64 s[36:37], s[6:7]
	s_cbranch_execnz .LBB76_54
.LBB76_40:                              ;   in Loop: Header=BB76_12 Depth=1
	s_or_b64 exec, exec, s[36:37]
	s_and_saveexec_b64 s[36:37], s[8:9]
	s_cbranch_execnz .LBB76_55
.LBB76_41:                              ;   in Loop: Header=BB76_12 Depth=1
	s_or_b64 exec, exec, s[36:37]
	v_add_u32_e32 v54, s23, v54
	s_and_saveexec_b64 s[36:37], vcc
	s_cbranch_execnz .LBB76_56
.LBB76_42:                              ;   in Loop: Header=BB76_12 Depth=1
	s_or_b64 exec, exec, s[36:37]
	s_and_saveexec_b64 s[36:37], s[6:7]
	s_cbranch_execnz .LBB76_57
.LBB76_43:                              ;   in Loop: Header=BB76_12 Depth=1
	s_or_b64 exec, exec, s[36:37]
	s_and_b64 exec, exec, s[8:9]
	s_cbranch_execz .LBB76_45
.LBB76_44:                              ;   in Loop: Header=BB76_12 Depth=1
	v_cvt_f32_i32_e32 v0, v10
	s_waitcnt vmcnt(0)
	v_cvt_f32_f16_e32 v1, v19
	v_add_u32_e32 v54, 2, v54
	v_add_f32_e32 v0, v6, v0
	v_add_f32_e32 v0, v0, v1
	v_cvt_f16_f32_e32 v2, v0
	v_lshl_add_u64 v[0:1], v[54:55], 1, s[10:11]
	global_store_short v[0:1], v2, off
.LBB76_45:                              ;   in Loop: Header=BB76_12 Depth=1
	s_or_b64 exec, exec, s[34:35]
	v_add_u32_e32 v52, s44, v52
	v_add_u32_e32 v0, 3, v52
	v_cmp_gt_u32_e32 vcc, s23, v52
	v_cmp_le_u32_e64 s[6:7], s23, v0
	s_and_b64 s[6:7], vcc, s[6:7]
	s_and_saveexec_b64 s[8:9], s[6:7]
	s_cbranch_execz .LBB76_10
; %bb.46:                               ;   in Loop: Header=BB76_12 Depth=1
	v_cmp_ne_u32_e32 vcc, s13, v52
	s_and_saveexec_b64 s[34:35], vcc
	s_cbranch_execz .LBB76_9
; %bb.47:                               ;   in Loop: Header=BB76_12 Depth=1
	v_subrev_u32_e32 v0, s13, v52
	v_cmp_lt_u32_e32 vcc, 1, v0
	s_mov_b64 s[36:37], 0
	s_mov_b64 s[38:39], 0
	v_cndmask_b32_e32 v0, 1, v0, vcc
.LBB76_48:                              ;   Parent Loop BB76_12 Depth=1
                                        ; =>  This Inner Loop Header: Depth=2
	s_cmp_lg_u32 s38, 2
	s_cselect_b64 vcc, -1, 0
	s_cmp_lg_u32 s38, 1
	v_cndmask_b32_e32 v50, 0, v50, vcc
	s_cselect_b64 vcc, -1, 0
	s_cmp_lg_u32 s38, 0
	v_cndmask_b32_e32 v49, 0, v49, vcc
	s_cselect_b64 vcc, -1, 0
	s_add_u32 s38, s38, 1
	s_addc_u32 s39, s39, 0
	v_cmp_eq_u32_e64 s[6:7], s38, v0
	s_or_b64 s[36:37], s[6:7], s[36:37]
	v_cndmask_b32_e32 v48, 0, v48, vcc
	s_andn2_b64 exec, exec, s[36:37]
	s_cbranch_execnz .LBB76_48
; %bb.49:                               ;   in Loop: Header=BB76_12 Depth=1
	s_or_b64 exec, exec, s[36:37]
	s_branch .LBB76_9
.LBB76_50:                              ;   in Loop: Header=BB76_12 Depth=1
	v_cvt_f32_i32_e32 v9, v9
	s_waitcnt vmcnt(8)
	v_cvt_f32_f16_e32 v27, v27
	v_mov_b32_e32 v53, v55
	v_lshl_add_u64 v[28:29], v[52:53], 1, s[10:11]
	v_add_f32_e32 v5, v5, v9
	v_add_f32_e32 v5, v5, v27
	v_cvt_f16_f32_e32 v5, v5
	global_store_short v[28:29], v5, off
	s_or_b64 exec, exec, s[6:7]
	v_cmp_ne_u32_e64 s[6:7], 0, v49
	s_and_saveexec_b64 s[8:9], s[6:7]
	s_cbranch_execz .LBB76_37
.LBB76_51:                              ;   in Loop: Header=BB76_12 Depth=1
	v_cvt_f32_i32_e32 v5, v8
	s_waitcnt vmcnt(7)
	v_cvt_f32_f16_e32 v8, v26
	v_mov_b32_e32 v53, v55
	v_add_f32_e32 v1, v1, v5
	v_add_f32_e32 v1, v1, v8
	v_cvt_f16_f32_e32 v1, v1
	v_lshl_add_u64 v[8:9], v[52:53], 1, s[28:29]
	global_store_short v[8:9], v1, off
	s_or_b64 exec, exec, s[8:9]
	v_cmp_ne_u32_e64 s[8:9], 0, v50
	s_and_saveexec_b64 s[36:37], s[8:9]
	s_cbranch_execz .LBB76_38
.LBB76_52:                              ;   in Loop: Header=BB76_12 Depth=1
	v_cvt_f32_i32_e32 v1, v11
	s_waitcnt vmcnt(6)
	v_cvt_f32_f16_e32 v5, v25
	v_add_f32_e32 v1, v2, v1
	v_add_f32_e32 v1, v1, v5
	v_cvt_f16_f32_e32 v2, v1
	v_mov_b32_e32 v1, v55
	v_lshl_add_u64 v[0:1], v[0:1], 1, s[10:11]
	global_store_short v[0:1], v2, off
	s_or_b64 exec, exec, s[36:37]
	v_add_u32_e32 v54, s23, v52
	s_and_saveexec_b64 s[36:37], vcc
	s_cbranch_execz .LBB76_39
.LBB76_53:                              ;   in Loop: Header=BB76_12 Depth=1
	v_cvt_f32_i32_e32 v0, v13
	s_waitcnt vmcnt(5)
	v_cvt_f32_f16_e32 v1, v24
	v_add_f32_e32 v0, v3, v0
	v_add_f32_e32 v0, v0, v1
	v_cvt_f16_f32_e32 v2, v0
	v_lshl_add_u64 v[0:1], v[54:55], 1, s[10:11]
	global_store_short v[0:1], v2, off
	s_or_b64 exec, exec, s[36:37]
	s_and_saveexec_b64 s[36:37], s[6:7]
	s_cbranch_execz .LBB76_40
.LBB76_54:                              ;   in Loop: Header=BB76_12 Depth=1
	v_cvt_f32_i32_e32 v0, v7
	s_waitcnt vmcnt(4)
	v_cvt_f32_f16_e32 v1, v23
	v_add_f32_e32 v0, v4, v0
	v_add_f32_e32 v0, v0, v1
	v_cvt_f16_f32_e32 v2, v0
	v_add_u32_e32 v0, 1, v54
	v_mov_b32_e32 v1, v55
	v_lshl_add_u64 v[0:1], v[0:1], 1, s[10:11]
	global_store_short v[0:1], v2, off
	s_or_b64 exec, exec, s[36:37]
	s_and_saveexec_b64 s[36:37], s[8:9]
	s_cbranch_execz .LBB76_41
.LBB76_55:                              ;   in Loop: Header=BB76_12 Depth=1
	v_cvt_f32_i32_e32 v0, v18
	s_waitcnt vmcnt(3)
	v_cvt_f32_f16_e32 v1, v22
	v_add_f32_e32 v0, v16, v0
	v_add_f32_e32 v0, v0, v1
	v_cvt_f16_f32_e32 v2, v0
	v_add_u32_e32 v0, 2, v54
	v_mov_b32_e32 v1, v55
	v_lshl_add_u64 v[0:1], v[0:1], 1, s[10:11]
	global_store_short v[0:1], v2, off
	s_or_b64 exec, exec, s[36:37]
	v_add_u32_e32 v54, s23, v54
	s_and_saveexec_b64 s[36:37], vcc
	s_cbranch_execz .LBB76_42
.LBB76_56:                              ;   in Loop: Header=BB76_12 Depth=1
	v_cvt_f32_i32_e32 v0, v17
	s_waitcnt vmcnt(2)
	v_cvt_f32_f16_e32 v1, v21
	v_add_f32_e32 v0, v15, v0
	v_add_f32_e32 v0, v0, v1
	v_cvt_f16_f32_e32 v2, v0
	v_lshl_add_u64 v[0:1], v[54:55], 1, s[10:11]
	global_store_short v[0:1], v2, off
	s_or_b64 exec, exec, s[36:37]
	s_and_saveexec_b64 s[36:37], s[6:7]
	s_cbranch_execz .LBB76_43
.LBB76_57:                              ;   in Loop: Header=BB76_12 Depth=1
	v_cvt_f32_i32_e32 v0, v14
	s_waitcnt vmcnt(1)
	v_cvt_f32_f16_e32 v1, v20
	v_add_f32_e32 v0, v12, v0
	v_add_f32_e32 v0, v0, v1
	v_cvt_f16_f32_e32 v2, v0
	v_add_u32_e32 v0, 1, v54
	v_mov_b32_e32 v1, v55
	v_lshl_add_u64 v[0:1], v[0:1], 1, s[10:11]
	global_store_short v[0:1], v2, off
	s_or_b64 exec, exec, s[36:37]
	s_and_b64 exec, exec, s[8:9]
	s_cbranch_execnz .LBB76_44
	s_branch .LBB76_45
.LBB76_58:
	s_endpgm
	.section	.rodata,"a",@progbits
	.p2align	6, 0x0
	.amdhsa_kernel _Z16wvSplitK_hf_big_I6__halfLi32ELi3ELi16ELi8ELi2ELi3EEviiiiiiPKT_S3_S3_PS1_ii
		.amdhsa_group_segment_fixed_size 65536
		.amdhsa_private_segment_fixed_size 0
		.amdhsa_kernarg_size 64
		.amdhsa_user_sgpr_count 2
		.amdhsa_user_sgpr_dispatch_ptr 0
		.amdhsa_user_sgpr_queue_ptr 0
		.amdhsa_user_sgpr_kernarg_segment_ptr 1
		.amdhsa_user_sgpr_dispatch_id 0
		.amdhsa_user_sgpr_kernarg_preload_length 0
		.amdhsa_user_sgpr_kernarg_preload_offset 0
		.amdhsa_user_sgpr_private_segment_size 0
		.amdhsa_uses_dynamic_stack 0
		.amdhsa_enable_private_segment 0
		.amdhsa_system_sgpr_workgroup_id_x 1
		.amdhsa_system_sgpr_workgroup_id_y 0
		.amdhsa_system_sgpr_workgroup_id_z 0
		.amdhsa_system_sgpr_workgroup_info 0
		.amdhsa_system_vgpr_workitem_id 1
		.amdhsa_next_free_vgpr 78
		.amdhsa_next_free_sgpr 52
		.amdhsa_accum_offset 80
		.amdhsa_reserve_vcc 1
		.amdhsa_float_round_mode_32 0
		.amdhsa_float_round_mode_16_64 0
		.amdhsa_float_denorm_mode_32 3
		.amdhsa_float_denorm_mode_16_64 3
		.amdhsa_dx10_clamp 1
		.amdhsa_ieee_mode 1
		.amdhsa_fp16_overflow 0
		.amdhsa_tg_split 0
		.amdhsa_exception_fp_ieee_invalid_op 0
		.amdhsa_exception_fp_denorm_src 0
		.amdhsa_exception_fp_ieee_div_zero 0
		.amdhsa_exception_fp_ieee_overflow 0
		.amdhsa_exception_fp_ieee_underflow 0
		.amdhsa_exception_fp_ieee_inexact 0
		.amdhsa_exception_int_div_zero 0
	.end_amdhsa_kernel
	.section	.text._Z16wvSplitK_hf_big_I6__halfLi32ELi3ELi16ELi8ELi2ELi3EEviiiiiiPKT_S3_S3_PS1_ii,"axG",@progbits,_Z16wvSplitK_hf_big_I6__halfLi32ELi3ELi16ELi8ELi2ELi3EEviiiiiiPKT_S3_S3_PS1_ii,comdat
.Lfunc_end76:
	.size	_Z16wvSplitK_hf_big_I6__halfLi32ELi3ELi16ELi8ELi2ELi3EEviiiiiiPKT_S3_S3_PS1_ii, .Lfunc_end76-_Z16wvSplitK_hf_big_I6__halfLi32ELi3ELi16ELi8ELi2ELi3EEviiiiiiPKT_S3_S3_PS1_ii
                                        ; -- End function
	.section	.AMDGPU.csdata,"",@progbits
; Kernel info:
; codeLenInByte = 4344
; NumSgprs: 58
; NumVgprs: 78
; NumAgprs: 0
; TotalNumVgprs: 78
; ScratchSize: 0
; MemoryBound: 0
; FloatMode: 240
; IeeeMode: 1
; LDSByteSize: 65536 bytes/workgroup (compile time only)
; SGPRBlocks: 7
; VGPRBlocks: 9
; NumSGPRsForWavesPerEU: 58
; NumVGPRsForWavesPerEU: 78
; AccumOffset: 80
; Occupancy: 2
; WaveLimiterHint : 0
; COMPUTE_PGM_RSRC2:SCRATCH_EN: 0
; COMPUTE_PGM_RSRC2:USER_SGPR: 2
; COMPUTE_PGM_RSRC2:TRAP_HANDLER: 0
; COMPUTE_PGM_RSRC2:TGID_X_EN: 1
; COMPUTE_PGM_RSRC2:TGID_Y_EN: 0
; COMPUTE_PGM_RSRC2:TGID_Z_EN: 0
; COMPUTE_PGM_RSRC2:TIDIG_COMP_CNT: 1
; COMPUTE_PGM_RSRC3_GFX90A:ACCUM_OFFSET: 19
; COMPUTE_PGM_RSRC3_GFX90A:TG_SPLIT: 0
	.section	.text._Z16wvSplitK_hf_sml_I6__halfLi32ELi4ELi16ELi8ELi1ELi3EEviiiiiiPKT_S3_S3_PS1_ii,"axG",@progbits,_Z16wvSplitK_hf_sml_I6__halfLi32ELi4ELi16ELi8ELi1ELi3EEviiiiiiPKT_S3_S3_PS1_ii,comdat
	.protected	_Z16wvSplitK_hf_sml_I6__halfLi32ELi4ELi16ELi8ELi1ELi3EEviiiiiiPKT_S3_S3_PS1_ii ; -- Begin function _Z16wvSplitK_hf_sml_I6__halfLi32ELi4ELi16ELi8ELi1ELi3EEviiiiiiPKT_S3_S3_PS1_ii
	.globl	_Z16wvSplitK_hf_sml_I6__halfLi32ELi4ELi16ELi8ELi1ELi3EEviiiiiiPKT_S3_S3_PS1_ii
	.p2align	8
	.type	_Z16wvSplitK_hf_sml_I6__halfLi32ELi4ELi16ELi8ELi1ELi3EEviiiiiiPKT_S3_S3_PS1_ii,@function
_Z16wvSplitK_hf_sml_I6__halfLi32ELi4ELi16ELi8ELi1ELi3EEviiiiiiPKT_S3_S3_PS1_ii: ; @_Z16wvSplitK_hf_sml_I6__halfLi32ELi4ELi16ELi8ELi1ELi3EEviiiiiiPKT_S3_S3_PS1_ii
; %bb.0:
	s_load_dwordx4 s[4:7], s[0:1], 0x0
	v_and_b32_e32 v4, 0x3ff, v0
	v_bfe_u32 v5, v0, 10, 10
	v_lshlrev_b32_e32 v40, 3, v4
	v_lshl_add_u32 v6, v5, 8, v40
	s_waitcnt lgkmcnt(0)
	s_mul_i32 s3, s6, 3
	s_min_u32 s3, s3, 0x8000
	v_cmp_gt_u32_e32 vcc, s3, v6
	s_and_saveexec_b64 s[8:9], vcc
	s_cbranch_execz .LBB77_9
; %bb.1:
	s_load_dwordx2 s[10:11], s[0:1], 0x20
	v_lshlrev_b32_e32 v0, 1, v6
	v_add_u32_e32 v1, 0x1000, v6
	v_cmp_gt_u32_e32 vcc, s3, v1
	s_waitcnt lgkmcnt(0)
	global_load_dwordx4 v[8:11], v0, s[10:11]
	s_waitcnt vmcnt(0)
	ds_write_b128 v0, v[8:11]
	s_and_saveexec_b64 s[12:13], vcc
	s_xor_b64 s[12:13], exec, s[12:13]
	s_cbranch_execz .LBB77_9
; %bb.2:
	v_mov_b32_e32 v1, 0
	v_lshl_add_u64 v[2:3], s[10:11], 0, v[0:1]
	v_add_co_u32_e32 v8, vcc, 0x2000, v2
	v_add_u32_e32 v1, 0x2000, v6
	s_nop 0
	v_addc_co_u32_e32 v9, vcc, 0, v3, vcc
	global_load_dwordx4 v[8:11], v[8:9], off
	v_cmp_gt_u32_e32 vcc, s3, v1
	s_waitcnt vmcnt(0)
	ds_write_b128 v0, v[8:11] offset:8192
	s_and_saveexec_b64 s[10:11], vcc
	s_xor_b64 s[10:11], exec, s[10:11]
	s_cbranch_execz .LBB77_9
; %bb.3:
	v_add_co_u32_e32 v8, vcc, 0x4000, v2
	v_add_u32_e32 v1, 0x3000, v6
	s_nop 0
	v_addc_co_u32_e32 v9, vcc, 0, v3, vcc
	global_load_dwordx4 v[8:11], v[8:9], off
	v_cmp_gt_u32_e32 vcc, s3, v1
	s_waitcnt vmcnt(0)
	ds_write_b128 v0, v[8:11] offset:16384
	s_and_saveexec_b64 s[10:11], vcc
	s_xor_b64 s[10:11], exec, s[10:11]
	s_cbranch_execz .LBB77_9
; %bb.4:
	;; [unrolled: 12-line block ×6, first 2 shown]
	v_add_co_u32_e32 v2, vcc, 0xe000, v2
	s_nop 1
	v_addc_co_u32_e32 v3, vcc, 0, v3, vcc
	global_load_dwordx4 v[6:9], v[2:3], off
	s_waitcnt vmcnt(0)
	ds_write_b128 v0, v[6:9] offset:57344
.LBB77_9:
	s_or_b64 exec, exec, s[8:9]
	s_load_dwordx2 s[16:17], s[0:1], 0x38
	s_waitcnt lgkmcnt(0)
	s_barrier
	v_cmp_gt_u32_e32 vcc, s16, v5
	s_and_saveexec_b64 s[8:9], vcc
	s_cbranch_execz .LBB77_24
; %bb.10:
	s_load_dwordx2 s[12:13], s[0:1], 0x10
	s_mul_i32 s2, s2, s16
	v_add_lshl_u32 v24, s2, v5, 2
	v_cmp_gt_u32_e32 vcc, s7, v24
	s_and_b64 exec, exec, vcc
	s_cbranch_execz .LBB77_24
; %bb.11:
	s_load_dwordx4 s[8:11], s[0:1], 0x28
	s_load_dwordx2 s[14:15], s[0:1], 0x18
	s_cmp_lg_u32 s4, 0
	s_cselect_b64 s[2:3], -1, 0
	s_add_i32 s24, s4, -8
	s_add_i32 s25, s7, -1
	s_waitcnt lgkmcnt(0)
	s_cmp_lg_u64 s[8:9], 0
	s_cselect_b64 s[18:19], -1, 0
	s_abs_i32 s21, s13
	v_cvt_f32_u32_e32 v0, s12
	v_cvt_f32_u32_e32 v1, s21
	s_mul_i32 s20, s16, s17
	s_lshl_b32 s13, s20, 2
	v_rcp_iflag_f32_e32 v0, v0
	v_rcp_iflag_f32_e32 v1, v1
	s_sub_i32 s20, 0, s12
	v_cmp_eq_u32_e64 s[0:1], 31, v4
	v_mul_f32_e32 v0, 0x4f7ffffe, v0
	v_mul_f32_e32 v1, 0x4f7ffffe, v1
	v_cvt_u32_f32_e32 v0, v0
	v_cvt_u32_f32_e32 v1, v1
	s_mov_b64 s[16:17], 0
	v_mov_b32_e32 v27, 0
	v_mul_lo_u32 v2, s20, v0
	s_sub_i32 s20, 0, s21
	v_readfirstlane_b32 s22, v1
	s_mul_i32 s20, s20, s22
	s_mul_hi_u32 s20, s22, s20
	s_add_i32 s22, s22, s20
	s_sub_i32 s20, 1, s21
	s_cmp_lt_u32 s21, 2
	s_cselect_b32 s20, s20, 1
	s_sub_i32 s23, s20, s21
	s_cmp_ge_u32 s20, s21
	s_cselect_b32 s26, s23, s20
	s_lshr_b32 s20, s22, 31
	s_mul_i32 s20, s20, s21
	s_sub_i32 s20, 2, s20
	s_sub_i32 s22, s20, s21
	s_cmp_ge_u32 s20, s21
	s_cselect_b32 s20, s22, s20
	s_sub_i32 s22, s20, s21
	v_mul_hi_u32 v2, v0, v2
	s_cmp_ge_u32 s20, s21
	v_add_u32_e32 v41, v0, v2
	s_cselect_b32 s27, s22, s20
	v_cndmask_b32_e64 v0, 0, 1, s[2:3]
	s_mul_i32 s26, s26, s12
	s_mul_i32 s27, s27, s12
	s_lshl_b32 s28, s6, 2
	v_lshlrev_b32_e32 v42, 4, v4
	s_lshl_b32 s6, s6, 1
	v_cmp_ne_u32_e64 s[2:3], 1, v0
	s_branch .LBB77_14
.LBB77_12:                              ;   in Loop: Header=BB77_14 Depth=1
	v_cvt_f32_i32_e32 v2, v2
	v_cvt_f32_i32_e32 v4, v4
	v_cvt_f32_i32_e32 v7, v7
	v_cvt_f32_i32_e32 v6, v6
	v_add_f32_e32 v0, v0, v2
	v_cvt_f32_i32_e32 v2, v10
	v_add_f32_e32 v1, v1, v4
	v_add_f32_e32 v4, v5, v7
	v_cvt_f32_i32_e32 v7, v15
	v_add_f32_e32 v5, v8, v2
	v_cvt_f32_i32_e32 v2, v12
	s_waitcnt vmcnt(11)
	v_cvt_f32_f16_e32 v12, v39
	v_add_f32_e32 v3, v3, v6
	v_cvt_f32_i32_e32 v6, v14
	v_add_f32_e32 v9, v9, v2
	v_cvt_f32_i32_e32 v2, v22
	v_add_f32_e32 v0, v0, v12
	v_add_f32_e32 v7, v13, v7
	s_waitcnt vmcnt(9)
	v_cvt_f32_f16_e32 v12, v37
	v_add_f32_e32 v13, v17, v2
	v_cvt_f32_f16_e32 v2, v38
	v_cvt_f16_f32_e32 v14, v0
	s_waitcnt vmcnt(8)
	v_cvt_f32_f16_e32 v0, v36
	v_add_u32_e32 v26, s7, v24
	v_add_f32_e32 v1, v1, v2
	v_add_f32_e32 v2, v3, v12
	;; [unrolled: 1-line block ×3, first 2 shown]
	v_cvt_f16_f32_e32 v2, v2
	v_cvt_f16_f32_e32 v3, v0
	;; [unrolled: 1-line block ×3, first 2 shown]
	s_waitcnt vmcnt(7)
	v_cvt_f32_f16_e32 v12, v35
	v_lshl_add_u64 v[0:1], v[24:25], 1, s[10:11]
	v_pack_b32_f16 v3, v2, v3
	v_pack_b32_f16 v2, v14, v4
	global_store_dwordx2 v[0:1], v[2:3], off
	v_add_f32_e32 v0, v5, v12
	v_cvt_f16_f32_e32 v2, v0
	s_waitcnt vmcnt(7)
	v_cvt_f32_f16_e32 v3, v34
	v_lshl_add_u64 v[0:1], v[26:27], 1, s[10:11]
	v_add_f32_e32 v6, v11, v6
	global_store_short v[0:1], v2, off
	v_add_f32_e32 v0, v9, v3
	v_cvt_f16_f32_e32 v2, v0
	s_waitcnt vmcnt(7)
	v_cvt_f32_f16_e32 v3, v31
	v_add_u32_e32 v0, 1, v26
	v_mov_b32_e32 v1, v27
	v_lshl_add_u64 v[0:1], v[0:1], 1, s[10:11]
	global_store_short v[0:1], v2, off
	v_add_f32_e32 v0, v6, v3
	v_cvt_f16_f32_e32 v2, v0
	s_waitcnt vmcnt(7)
	v_cvt_f32_f16_e32 v3, v29
	v_add_u32_e32 v0, 2, v26
	v_mov_b32_e32 v1, v27
	v_lshl_add_u64 v[0:1], v[0:1], 1, s[10:11]
	v_cvt_f32_i32_e32 v8, v23
	global_store_short v[0:1], v2, off
	v_add_f32_e32 v0, v7, v3
	v_cvt_f16_f32_e32 v2, v0
	s_waitcnt vmcnt(7)
	v_cvt_f32_f16_e32 v3, v33
	s_waitcnt vmcnt(6)
	v_cvt_f32_f16_e32 v4, v32
	v_add_u32_e32 v0, 3, v26
	v_mov_b32_e32 v1, v27
	v_add_f32_e32 v8, v16, v8
	v_lshl_add_u64 v[0:1], v[0:1], 1, s[10:11]
	global_store_short v[0:1], v2, off
	v_add_f32_e32 v0, v8, v3
	v_cvt_f16_f32_e32 v2, v0
	v_add_f32_e32 v0, v13, v4
	v_cvt_f16_f32_e32 v3, v0
	v_cvt_f32_i32_e32 v10, v21
	v_cvt_f32_i32_e32 v11, v20
	s_waitcnt vmcnt(6)
	v_cvt_f32_f16_e32 v4, v30
	v_pack_b32_f16 v2, v2, v3
	s_waitcnt vmcnt(5)
	v_cvt_f32_f16_e32 v3, v28
	v_add_u32_e32 v26, s7, v26
	v_add_f32_e32 v10, v18, v10
	v_lshl_add_u64 v[0:1], v[26:27], 1, s[10:11]
	v_add_f32_e32 v11, v19, v11
	global_store_dword v[0:1], v2, off
	v_add_f32_e32 v0, v10, v4
	v_cvt_f16_f32_e32 v2, v0
	v_add_f32_e32 v3, v11, v3
	v_cvt_f16_f32_e32 v3, v3
	v_add_u32_e32 v0, 2, v26
	v_mov_b32_e32 v1, v27
	v_lshl_add_u64 v[0:1], v[0:1], 1, s[10:11]
	v_add_u32_e32 v26, 3, v26
	global_store_short v[0:1], v2, off
	v_lshl_add_u64 v[0:1], v[26:27], 1, s[10:11]
	global_store_short v[0:1], v3, off
.LBB77_13:                              ;   in Loop: Header=BB77_14 Depth=1
	s_or_b64 exec, exec, s[20:21]
	v_add_u32_e32 v24, s13, v24
	v_cmp_le_u32_e32 vcc, s7, v24
	s_or_b64 s[16:17], vcc, s[16:17]
	s_andn2_b64 exec, exec, s[16:17]
	s_cbranch_execz .LBB77_24
.LBB77_14:                              ; =>This Loop Header: Depth=1
                                        ;     Child Loop BB77_17 Depth 2
	s_mov_b32 s22, 0
	s_and_b64 vcc, exec, s[2:3]
	v_mov_b32_e32 v53, v27
	v_mov_b32_e32 v52, v27
	;; [unrolled: 1-line block ×12, first 2 shown]
	s_cbranch_vccnz .LBB77_19
; %bb.15:                               ;   in Loop: Header=BB77_14 Depth=1
	v_min_u32_e32 v0, s25, v24
	v_mul_lo_u32 v28, v0, s5
	v_or_b32_e32 v0, 1, v24
	v_min_u32_e32 v0, s25, v0
	v_mul_lo_u32 v30, v0, s5
	v_or_b32_e32 v0, 2, v24
	;; [unrolled: 3-line block ×3, first 2 shown]
	v_min_u32_e32 v0, s25, v0
	v_mov_b32_e32 v29, v27
	v_mov_b32_e32 v31, v27
	;; [unrolled: 1-line block ×3, first 2 shown]
	v_mul_lo_u32 v34, v0, s5
	v_mov_b32_e32 v35, v27
	v_mov_b32_e32 v49, 0
	;; [unrolled: 1-line block ×14, first 2 shown]
	s_branch .LBB77_17
.LBB77_16:                              ;   in Loop: Header=BB77_17 Depth=2
	s_or_b64 exec, exec, s[20:21]
	s_waitcnt vmcnt(3) lgkmcnt(1)
	;;#ASMSTART
	v_dot2c_f32_f16 v53, v20, v12
	;;#ASMEND
	s_waitcnt vmcnt(2)
	;;#ASMSTART
	v_dot2c_f32_f16 v52, v20, v8
	;;#ASMEND
	s_waitcnt vmcnt(1)
	;; [unrolled: 4-line block ×3, first 2 shown]
	;;#ASMSTART
	v_dot2c_f32_f16 v50, v20, v0
	;;#ASMEND
	;;#ASMSTART
	v_dot2c_f32_f16 v49, v16, v12
	;;#ASMEND
	;; [unrolled: 3-line block ×12, first 2 shown]
	s_nop 0
	;;#ASMSTART
	v_dot2c_f32_f16 v50, v21, v1
	;;#ASMEND
	;;#ASMSTART
	v_dot2c_f32_f16 v49, v17, v13
	;;#ASMEND
	;; [unrolled: 3-line block ×9, first 2 shown]
	s_addk_i32 s22, 0x100
	;;#ASMSTART
	v_dot2c_f32_f16 v53, v22, v14
	;;#ASMEND
	;;#ASMSTART
	v_dot2c_f32_f16 v52, v22, v10
	;;#ASMEND
	;; [unrolled: 3-line block ×8, first 2 shown]
	s_waitcnt lgkmcnt(0)
	;;#ASMSTART
	v_dot2c_f32_f16 v45, v38, v14
	;;#ASMEND
	;;#ASMSTART
	v_dot2c_f32_f16 v44, v38, v10
	;;#ASMEND
	;; [unrolled: 3-line block ×4, first 2 shown]
	s_cmp_ge_u32 s22, s4
	v_add_u32_e32 v54, 0x200, v54
	;;#ASMSTART
	v_dot2c_f32_f16 v53, v23, v15
	;;#ASMEND
	;;#ASMSTART
	v_dot2c_f32_f16 v52, v23, v11
	;;#ASMEND
	;; [unrolled: 3-line block ×12, first 2 shown]
	s_cbranch_scc1 .LBB77_19
.LBB77_17:                              ;   Parent Loop BB77_14 Depth=1
                                        ; =>  This Inner Loop Header: Depth=2
	v_add_u32_e32 v20, s22, v40
	v_min_u32_e32 v26, s24, v20
	v_lshl_add_u64 v[0:1], v[26:27], 1, s[14:15]
	v_lshl_add_u64 v[2:3], v[28:29], 1, v[0:1]
	;; [unrolled: 1-line block ×4, first 2 shown]
	global_load_dwordx4 v[12:15], v[2:3], off nt
	global_load_dwordx4 v[8:11], v[4:5], off nt
	v_lshl_add_u64 v[18:19], v[34:35], 1, v[0:1]
	global_load_dwordx4 v[4:7], v[16:17], off nt
	global_load_dwordx4 v[0:3], v[18:19], off nt
	v_cmp_gt_u32_e32 vcc, s4, v20
	v_mov_b32_e32 v20, 0
	v_mov_b32_e32 v21, 0
	;; [unrolled: 1-line block ×12, first 2 shown]
	s_and_saveexec_b64 s[20:21], vcc
	s_cbranch_execz .LBB77_16
; %bb.18:                               ;   in Loop: Header=BB77_17 Depth=2
	v_add_u32_e32 v16, s6, v54
	v_add_u32_e32 v26, s28, v54
	ds_read_b128 v[16:19], v16
	ds_read2_b32 v[36:37], v26 offset1:1
	ds_read_b128 v[20:23], v54
	ds_read2_b32 v[38:39], v26 offset0:2 offset1:3
	s_branch .LBB77_16
.LBB77_19:                              ;   in Loop: Header=BB77_14 Depth=1
	; sched_barrier mask(0x00000000)
	v_cvt_i32_f32_e32 v0, v53
	v_cvt_i32_f32_e32 v1, v52
	;; [unrolled: 1-line block ×4, first 2 shown]
	v_cvt_f32_i32_dpp v0, v0 row_shr:8 row_mask:0xf bank_mask:0xf bound_ctrl:1
	v_cvt_f32_i32_dpp v1, v1 row_shr:8 row_mask:0xf bank_mask:0xf bound_ctrl:1
	v_cvt_f32_i32_dpp v2, v2 row_shr:8 row_mask:0xf bank_mask:0xf bound_ctrl:1
	v_cvt_f32_i32_dpp v3, v3 row_shr:8 row_mask:0xf bank_mask:0xf bound_ctrl:1
	v_add_f32_e32 v0, v53, v0
	v_cvt_i32_f32_e32 v5, v0
	v_add_f32_e32 v1, v52, v1
	v_cvt_i32_f32_e32 v6, v1
	v_add_f32_e32 v2, v51, v2
	v_cvt_f32_i32_dpp v5, v5 row_shr:4 row_mask:0xf bank_mask:0xf bound_ctrl:1
	v_cvt_i32_f32_e32 v7, v2
	v_cvt_f32_i32_dpp v6, v6 row_shr:4 row_mask:0xf bank_mask:0xf bound_ctrl:1
	v_add_f32_e32 v3, v50, v3
	v_add_f32_e32 v0, v0, v5
	v_cvt_i32_f32_e32 v5, v0
	v_add_f32_e32 v1, v1, v6
	v_cvt_i32_f32_e32 v6, v1
	v_cvt_f32_i32_dpp v7, v7 row_shr:4 row_mask:0xf bank_mask:0xf bound_ctrl:1
	v_cvt_f32_i32_dpp v5, v5 row_shr:2 row_mask:0xf bank_mask:0xf bound_ctrl:1
	v_cvt_i32_f32_e32 v8, v3
	v_cvt_f32_i32_dpp v6, v6 row_shr:2 row_mask:0xf bank_mask:0xf bound_ctrl:1
	v_add_f32_e32 v2, v2, v7
	v_add_f32_e32 v0, v0, v5
	v_cvt_i32_f32_e32 v5, v0
	v_cvt_i32_f32_e32 v7, v2
	v_add_f32_e32 v1, v1, v6
	v_cvt_i32_f32_e32 v6, v1
	v_cvt_f32_i32_dpp v5, v5 row_shr:1 row_mask:0xf bank_mask:0xf bound_ctrl:1
	v_cvt_f32_i32_dpp v7, v7 row_shr:2 row_mask:0xf bank_mask:0xf bound_ctrl:1
	;; [unrolled: 1-line block ×4, first 2 shown]
	v_add_f32_e32 v0, v0, v5
	v_cvt_i32_f32_e32 v5, v0
	v_add_f32_e32 v7, v2, v7
	v_cvt_i32_f32_e32 v4, v49
	v_cvt_i32_f32_e32 v2, v7
	v_cvt_f32_i32_dpp v5, v5 row_bcast:15 row_mask:0xf bank_mask:0xf bound_ctrl:1
	v_add_f32_e32 v1, v1, v6
	v_add_f32_e32 v3, v3, v8
	v_cvt_i32_f32_e32 v6, v1
	v_add_f32_e32 v0, v0, v5
	v_cvt_i32_f32_e32 v5, v0
	v_cvt_f32_i32_dpp v8, v2 row_shr:1 row_mask:0xf bank_mask:0xf bound_ctrl:1
	v_cvt_f32_i32_dpp v4, v4 row_shr:8 row_mask:0xf bank_mask:0xf bound_ctrl:1
	v_cvt_f32_i32_dpp v6, v6 row_bcast:15 row_mask:0xf bank_mask:0xf bound_ctrl:1
	v_mov_b32_dpp v2, v5 row_bcast:31 row_mask:0xf bank_mask:0xf bound_ctrl:1
	v_cvt_i32_f32_e32 v5, v3
	v_add_f32_e32 v7, v7, v8
	v_add_f32_e32 v9, v49, v4
	v_cvt_i32_f32_e32 v8, v7
	v_cvt_f32_i32_dpp v5, v5 row_shr:2 row_mask:0xf bank_mask:0xf bound_ctrl:1
	v_cvt_i32_f32_e32 v4, v9
	v_add_f32_e32 v1, v1, v6
	v_cvt_i32_f32_e32 v6, v1
	v_add_f32_e32 v5, v3, v5
	v_cvt_i32_f32_e32 v3, v5
	v_cvt_f32_i32_dpp v8, v8 row_bcast:15 row_mask:0xf bank_mask:0xf bound_ctrl:1
	v_cvt_f32_i32_dpp v10, v4 row_shr:4 row_mask:0xf bank_mask:0xf bound_ctrl:1
	v_mov_b32_dpp v4, v6 row_bcast:31 row_mask:0xf bank_mask:0xf bound_ctrl:1
	v_cvt_f32_i32_dpp v6, v3 row_shr:1 row_mask:0xf bank_mask:0xf bound_ctrl:1
	v_add_f32_e32 v3, v7, v8
	v_add_f32_e32 v7, v9, v10
	v_cvt_i32_f32_e32 v8, v7
	v_add_f32_e32 v5, v5, v6
	v_cvt_i32_f32_e32 v6, v48
	v_cvt_i32_f32_e32 v9, v5
	v_cvt_f32_i32_dpp v8, v8 row_shr:2 row_mask:0xf bank_mask:0xf bound_ctrl:1
	v_cvt_i32_f32_e32 v10, v3
	v_cvt_f32_i32_dpp v6, v6 row_shr:8 row_mask:0xf bank_mask:0xf bound_ctrl:1
	v_cvt_f32_i32_dpp v9, v9 row_bcast:15 row_mask:0xf bank_mask:0xf bound_ctrl:1
	v_add_f32_e32 v7, v7, v8
	v_cvt_i32_f32_e32 v8, v7
	v_add_f32_e32 v11, v48, v6
	v_cvt_i32_f32_e32 v12, v11
	v_add_f32_e32 v5, v5, v9
	v_cvt_f32_i32_dpp v8, v8 row_shr:1 row_mask:0xf bank_mask:0xf bound_ctrl:1
	v_mov_b32_dpp v6, v10 row_bcast:31 row_mask:0xf bank_mask:0xf bound_ctrl:1
	v_cvt_f32_i32_dpp v9, v12 row_shr:4 row_mask:0xf bank_mask:0xf bound_ctrl:1
	v_cvt_i32_f32_e32 v10, v5
	v_add_f32_e32 v8, v7, v8
	v_cvt_i32_f32_e32 v7, v47
	v_add_f32_e32 v9, v11, v9
	v_cvt_i32_f32_e32 v11, v9
	v_cvt_i32_f32_e32 v12, v8
	v_cvt_f32_i32_dpp v13, v7 row_shr:8 row_mask:0xf bank_mask:0xf bound_ctrl:1
	v_mov_b32_dpp v7, v10 row_bcast:31 row_mask:0xf bank_mask:0xf bound_ctrl:1
	v_cvt_f32_i32_dpp v10, v11 row_shr:2 row_mask:0xf bank_mask:0xf bound_ctrl:1
	v_cvt_f32_i32_dpp v11, v12 row_bcast:15 row_mask:0xf bank_mask:0xf bound_ctrl:1
	v_add_f32_e32 v12, v47, v13
	v_cvt_i32_f32_e32 v13, v12
	v_add_f32_e32 v9, v9, v10
	v_cvt_i32_f32_e32 v10, v46
	v_cvt_i32_f32_e32 v14, v9
	v_cvt_f32_i32_dpp v13, v13 row_shr:4 row_mask:0xf bank_mask:0xf bound_ctrl:1
	v_add_f32_e32 v8, v8, v11
	v_cvt_f32_i32_dpp v10, v10 row_shr:8 row_mask:0xf bank_mask:0xf bound_ctrl:1
	v_cvt_f32_i32_dpp v11, v14 row_shr:1 row_mask:0xf bank_mask:0xf bound_ctrl:1
	v_add_f32_e32 v12, v12, v13
	v_cvt_i32_f32_e32 v13, v12
	v_add_f32_e32 v10, v46, v10
	v_cvt_i32_f32_e32 v14, v10
	v_add_f32_e32 v9, v9, v11
	v_cvt_f32_i32_dpp v13, v13 row_shr:2 row_mask:0xf bank_mask:0xf bound_ctrl:1
	v_cvt_i32_f32_e32 v15, v8
	v_cvt_f32_i32_dpp v11, v14 row_shr:4 row_mask:0xf bank_mask:0xf bound_ctrl:1
	v_cvt_i32_f32_e32 v14, v9
	v_add_f32_e32 v12, v12, v13
	v_cvt_i32_f32_e32 v13, v12
	v_add_f32_e32 v11, v10, v11
	v_cvt_i32_f32_e32 v16, v11
	v_mov_b32_dpp v10, v15 row_bcast:31 row_mask:0xf bank_mask:0xf bound_ctrl:1
	v_cvt_f32_i32_dpp v13, v13 row_shr:1 row_mask:0xf bank_mask:0xf bound_ctrl:1
	v_cvt_f32_i32_dpp v14, v14 row_bcast:15 row_mask:0xf bank_mask:0xf bound_ctrl:1
	v_cvt_f32_i32_dpp v15, v16 row_shr:2 row_mask:0xf bank_mask:0xf bound_ctrl:1
	v_add_f32_e32 v13, v12, v13
	v_cvt_i32_f32_e32 v12, v45
	v_add_f32_e32 v11, v11, v15
	v_add_f32_e32 v9, v9, v14
	v_cvt_i32_f32_e32 v14, v11
	v_cvt_f32_i32_dpp v12, v12 row_shr:8 row_mask:0xf bank_mask:0xf bound_ctrl:1
	v_cvt_i32_f32_e32 v15, v13
	v_cvt_i32_f32_e32 v16, v9
	v_cvt_f32_i32_dpp v14, v14 row_shr:1 row_mask:0xf bank_mask:0xf bound_ctrl:1
	v_add_f32_e32 v17, v45, v12
	v_cvt_i32_f32_e32 v18, v17
	v_cvt_f32_i32_dpp v15, v15 row_bcast:15 row_mask:0xf bank_mask:0xf bound_ctrl:1
	v_add_f32_e32 v14, v11, v14
	v_mov_b32_dpp v12, v16 row_bcast:31 row_mask:0xf bank_mask:0xf bound_ctrl:1
	v_cvt_f32_i32_dpp v16, v18 row_shr:4 row_mask:0xf bank_mask:0xf bound_ctrl:1
	v_cvt_i32_f32_e32 v19, v14
	v_add_f32_e32 v11, v13, v15
	v_cvt_i32_f32_e32 v15, v44
	v_add_f32_e32 v16, v17, v16
	v_cvt_f32_i32_dpp v13, v19 row_bcast:15 row_mask:0xf bank_mask:0xf bound_ctrl:1
	v_cvt_i32_f32_e32 v17, v16
	v_cvt_f32_i32_dpp v15, v15 row_shr:8 row_mask:0xf bank_mask:0xf bound_ctrl:1
	v_cvt_i32_f32_e32 v18, v11
	v_add_f32_e32 v13, v14, v13
	v_cvt_f32_i32_dpp v14, v17 row_shr:2 row_mask:0xf bank_mask:0xf bound_ctrl:1
	v_add_f32_e32 v19, v44, v15
	v_cvt_i32_f32_e32 v15, v19
	v_cvt_i32_f32_e32 v17, v13
	v_add_f32_e32 v16, v16, v14
	v_cvt_i32_f32_e32 v20, v16
	v_mov_b32_dpp v14, v18 row_bcast:31 row_mask:0xf bank_mask:0xf bound_ctrl:1
	v_cvt_f32_i32_dpp v18, v15 row_shr:4 row_mask:0xf bank_mask:0xf bound_ctrl:1
	v_mov_b32_dpp v15, v17 row_bcast:31 row_mask:0xf bank_mask:0xf bound_ctrl:1
	v_cvt_f32_i32_dpp v17, v20 row_shr:1 row_mask:0xf bank_mask:0xf bound_ctrl:1
	v_cvt_i32_f32_e32 v20, v43
	v_add_f32_e32 v18, v19, v18
	v_cvt_i32_f32_e32 v19, v25
	v_add_f32_e32 v16, v16, v17
	v_cvt_f32_i32_dpp v20, v20 row_shr:8 row_mask:0xf bank_mask:0xf bound_ctrl:1
	v_cvt_i32_f32_e32 v21, v18
	v_cvt_f32_i32_dpp v17, v19 row_shr:8 row_mask:0xf bank_mask:0xf bound_ctrl:1
	v_cvt_i32_f32_e32 v23, v16
	v_add_f32_e32 v20, v43, v20
	v_cvt_f32_i32_dpp v19, v21 row_shr:2 row_mask:0xf bank_mask:0xf bound_ctrl:1
	v_add_f32_e32 v17, v25, v17
	v_cvt_i32_f32_e32 v21, v20
	v_cvt_i32_f32_e32 v22, v17
	v_add_f32_e32 v18, v18, v19
	v_cvt_f32_i32_dpp v23, v23 row_bcast:15 row_mask:0xf bank_mask:0xf bound_ctrl:1
	v_cvt_f32_i32_dpp v21, v21 row_shr:4 row_mask:0xf bank_mask:0xf bound_ctrl:1
	v_cvt_f32_i32_dpp v19, v22 row_shr:4 row_mask:0xf bank_mask:0xf bound_ctrl:1
	v_cvt_i32_f32_e32 v22, v18
	v_add_f32_e32 v16, v16, v23
	v_add_f32_e32 v20, v20, v21
	;; [unrolled: 1-line block ×3, first 2 shown]
	v_cvt_i32_f32_e32 v21, v20
	v_cvt_i32_f32_e32 v19, v17
	v_cvt_f32_i32_dpp v22, v22 row_shr:1 row_mask:0xf bank_mask:0xf bound_ctrl:1
	v_cvt_i32_f32_e32 v25, v16
	v_cvt_f32_i32_dpp v21, v21 row_shr:2 row_mask:0xf bank_mask:0xf bound_ctrl:1
	v_cvt_f32_i32_dpp v19, v19 row_shr:2 row_mask:0xf bank_mask:0xf bound_ctrl:1
	v_add_f32_e32 v18, v18, v22
	v_cvt_i32_f32_e32 v22, v18
	v_add_f32_e32 v20, v20, v21
	v_add_f32_e32 v17, v17, v19
	v_cvt_i32_f32_e32 v21, v20
	v_cvt_i32_f32_e32 v19, v17
	v_cvt_f32_i32_dpp v22, v22 row_bcast:15 row_mask:0xf bank_mask:0xf bound_ctrl:1
	v_cvt_f32_i32_dpp v21, v21 row_shr:1 row_mask:0xf bank_mask:0xf bound_ctrl:1
	v_cvt_f32_i32_dpp v19, v19 row_shr:1 row_mask:0xf bank_mask:0xf bound_ctrl:1
	v_add_f32_e32 v20, v20, v21
	v_add_f32_e32 v19, v17, v19
	v_cvt_i32_f32_e32 v21, v20
	v_cvt_i32_f32_e32 v23, v19
	v_add_f32_e32 v17, v18, v22
	v_cvt_i32_f32_e32 v26, v17
	v_cvt_f32_i32_dpp v21, v21 row_bcast:15 row_mask:0xf bank_mask:0xf bound_ctrl:1
	v_cvt_f32_i32_dpp v22, v23 row_bcast:15 row_mask:0xf bank_mask:0xf bound_ctrl:1
	v_mov_b32_dpp v23, v25 row_bcast:31 row_mask:0xf bank_mask:0xf bound_ctrl:1
	v_add_f32_e32 v18, v20, v21
	v_add_f32_e32 v19, v19, v22
	v_cvt_i32_f32_e32 v20, v18
	v_cvt_i32_f32_e32 v28, v19
	v_mov_b32_dpp v22, v26 row_bcast:31 row_mask:0xf bank_mask:0xf bound_ctrl:1
	v_mov_b32_dpp v21, v20 row_bcast:31 row_mask:0xf bank_mask:0xf bound_ctrl:1
	;; [unrolled: 1-line block ×3, first 2 shown]
	s_and_saveexec_b64 s[20:21], s[0:1]
	s_cbranch_execz .LBB77_13
; %bb.20:                               ;   in Loop: Header=BB77_14 Depth=1
	s_and_b64 vcc, exec, s[18:19]
	s_cbranch_vccz .LBB77_22
; %bb.21:                               ;   in Loop: Header=BB77_14 Depth=1
	v_mul_hi_u32 v25, v24, v41
	v_mul_lo_u32 v25, v25, s12
	v_sub_u32_e32 v25, v24, v25
	v_subrev_u32_e32 v26, s12, v25
	v_cmp_le_u32_e32 vcc, s12, v25
	v_mov_b32_e32 v29, v27
	v_mov_b32_e32 v35, v27
	v_cndmask_b32_e32 v25, v25, v26, vcc
	v_subrev_u32_e32 v26, s12, v25
	v_cmp_le_u32_e32 vcc, s12, v25
	v_mov_b32_e32 v31, v27
	v_mov_b32_e32 v49, v27
	v_cndmask_b32_e32 v26, v25, v26, vcc
	v_or_b32_e32 v25, 1, v24
	v_mul_hi_u32 v28, v25, v41
	v_mul_lo_u32 v28, v28, s12
	v_sub_u32_e32 v25, v25, v28
	v_subrev_u32_e32 v28, s12, v25
	v_cmp_le_u32_e32 vcc, s12, v25
	v_add_u32_e32 v34, s26, v26
	v_lshl_add_u64 v[52:53], v[34:35], 1, s[8:9]
	v_cndmask_b32_e32 v25, v25, v28, vcc
	v_subrev_u32_e32 v28, s12, v25
	v_cmp_le_u32_e32 vcc, s12, v25
	v_lshl_add_u64 v[32:33], v[26:27], 1, s[8:9]
	v_add_u32_e32 v26, s27, v26
	v_cndmask_b32_e32 v28, v25, v28, vcc
	v_or_b32_e32 v25, 2, v24
	v_lshl_add_u64 v[44:45], v[28:29], 1, s[8:9]
	v_mul_hi_u32 v29, v25, v41
	v_mul_lo_u32 v29, v29, s12
	v_sub_u32_e32 v25, v25, v29
	v_subrev_u32_e32 v29, s12, v25
	v_cmp_le_u32_e32 vcc, s12, v25
	v_add_u32_e32 v34, s26, v28
	v_lshl_add_u64 v[54:55], v[34:35], 1, s[8:9]
	v_cndmask_b32_e32 v25, v25, v29, vcc
	v_subrev_u32_e32 v29, s12, v25
	v_cmp_le_u32_e32 vcc, s12, v25
	s_nop 1
	v_cndmask_b32_e32 v30, v25, v29, vcc
	v_or_b32_e32 v25, 3, v24
	v_mul_hi_u32 v29, v25, v41
	v_mul_lo_u32 v29, v29, s12
	v_sub_u32_e32 v25, v25, v29
	v_subrev_u32_e32 v29, s12, v25
	v_cmp_le_u32_e32 vcc, s12, v25
	v_add_u32_e32 v34, s26, v30
	v_lshl_add_u64 v[56:57], v[34:35], 1, s[8:9]
	v_cndmask_b32_e32 v25, v25, v29, vcc
	v_subrev_u32_e32 v29, s12, v25
	v_cmp_le_u32_e32 vcc, s12, v25
	v_lshl_add_u64 v[46:47], v[30:31], 1, s[8:9]
	s_nop 0
	v_cndmask_b32_e32 v48, v25, v29, vcc
	v_add_u32_e32 v34, s26, v48
	v_lshl_add_u64 v[50:51], v[48:49], 1, s[8:9]
	v_lshl_add_u64 v[58:59], v[34:35], 1, s[8:9]
	global_load_ushort v39, v[32:33], off
	global_load_ushort v38, v[44:45], off
	;; [unrolled: 1-line block ×8, first 2 shown]
	v_lshl_add_u64 v[44:45], v[26:27], 1, s[8:9]
	v_add_u32_e32 v26, s27, v28
	v_lshl_add_u64 v[46:47], v[26:27], 1, s[8:9]
	v_add_u32_e32 v26, s27, v30
	;; [unrolled: 2-line block ×3, first 2 shown]
	v_lshl_add_u64 v[48:49], v[26:27], 1, s[8:9]
	global_load_ushort v33, v[44:45], off
	global_load_ushort v32, v[46:47], off
	;; [unrolled: 1-line block ×4, first 2 shown]
	v_mov_b32_e32 v25, v27
	s_cbranch_execnz .LBB77_12
	s_branch .LBB77_23
.LBB77_22:                              ;   in Loop: Header=BB77_14 Depth=1
                                        ; implicit-def: $vgpr28
                                        ; implicit-def: $vgpr30
                                        ; implicit-def: $vgpr32
                                        ; implicit-def: $vgpr33
                                        ; implicit-def: $vgpr29
                                        ; implicit-def: $vgpr31
                                        ; implicit-def: $vgpr34
                                        ; implicit-def: $vgpr35
                                        ; implicit-def: $vgpr36
                                        ; implicit-def: $vgpr37
                                        ; implicit-def: $vgpr38
                                        ; implicit-def: $vgpr39
.LBB77_23:                              ;   in Loop: Header=BB77_14 Depth=1
	v_mov_b32_e32 v25, v27
	s_waitcnt vmcnt(11)
	v_mov_b32_e32 v39, 0
	s_waitcnt vmcnt(10)
	;; [unrolled: 2-line block ×12, first 2 shown]
	v_mov_b32_e32 v28, 0
	s_branch .LBB77_12
.LBB77_24:
	s_endpgm
	.section	.rodata,"a",@progbits
	.p2align	6, 0x0
	.amdhsa_kernel _Z16wvSplitK_hf_sml_I6__halfLi32ELi4ELi16ELi8ELi1ELi3EEviiiiiiPKT_S3_S3_PS1_ii
		.amdhsa_group_segment_fixed_size 65536
		.amdhsa_private_segment_fixed_size 0
		.amdhsa_kernarg_size 64
		.amdhsa_user_sgpr_count 2
		.amdhsa_user_sgpr_dispatch_ptr 0
		.amdhsa_user_sgpr_queue_ptr 0
		.amdhsa_user_sgpr_kernarg_segment_ptr 1
		.amdhsa_user_sgpr_dispatch_id 0
		.amdhsa_user_sgpr_kernarg_preload_length 0
		.amdhsa_user_sgpr_kernarg_preload_offset 0
		.amdhsa_user_sgpr_private_segment_size 0
		.amdhsa_uses_dynamic_stack 0
		.amdhsa_enable_private_segment 0
		.amdhsa_system_sgpr_workgroup_id_x 1
		.amdhsa_system_sgpr_workgroup_id_y 0
		.amdhsa_system_sgpr_workgroup_id_z 0
		.amdhsa_system_sgpr_workgroup_info 0
		.amdhsa_system_vgpr_workitem_id 1
		.amdhsa_next_free_vgpr 60
		.amdhsa_next_free_sgpr 29
		.amdhsa_accum_offset 60
		.amdhsa_reserve_vcc 1
		.amdhsa_float_round_mode_32 0
		.amdhsa_float_round_mode_16_64 0
		.amdhsa_float_denorm_mode_32 3
		.amdhsa_float_denorm_mode_16_64 3
		.amdhsa_dx10_clamp 1
		.amdhsa_ieee_mode 1
		.amdhsa_fp16_overflow 0
		.amdhsa_tg_split 0
		.amdhsa_exception_fp_ieee_invalid_op 0
		.amdhsa_exception_fp_denorm_src 0
		.amdhsa_exception_fp_ieee_div_zero 0
		.amdhsa_exception_fp_ieee_overflow 0
		.amdhsa_exception_fp_ieee_underflow 0
		.amdhsa_exception_fp_ieee_inexact 0
		.amdhsa_exception_int_div_zero 0
	.end_amdhsa_kernel
	.section	.text._Z16wvSplitK_hf_sml_I6__halfLi32ELi4ELi16ELi8ELi1ELi3EEviiiiiiPKT_S3_S3_PS1_ii,"axG",@progbits,_Z16wvSplitK_hf_sml_I6__halfLi32ELi4ELi16ELi8ELi1ELi3EEviiiiiiPKT_S3_S3_PS1_ii,comdat
.Lfunc_end77:
	.size	_Z16wvSplitK_hf_sml_I6__halfLi32ELi4ELi16ELi8ELi1ELi3EEviiiiiiPKT_S3_S3_PS1_ii, .Lfunc_end77-_Z16wvSplitK_hf_sml_I6__halfLi32ELi4ELi16ELi8ELi1ELi3EEviiiiiiPKT_S3_S3_PS1_ii
                                        ; -- End function
	.section	.AMDGPU.csdata,"",@progbits
; Kernel info:
; codeLenInByte = 3840
; NumSgprs: 35
; NumVgprs: 60
; NumAgprs: 0
; TotalNumVgprs: 60
; ScratchSize: 0
; MemoryBound: 0
; FloatMode: 240
; IeeeMode: 1
; LDSByteSize: 65536 bytes/workgroup (compile time only)
; SGPRBlocks: 4
; VGPRBlocks: 7
; NumSGPRsForWavesPerEU: 35
; NumVGPRsForWavesPerEU: 60
; AccumOffset: 60
; Occupancy: 2
; WaveLimiterHint : 0
; COMPUTE_PGM_RSRC2:SCRATCH_EN: 0
; COMPUTE_PGM_RSRC2:USER_SGPR: 2
; COMPUTE_PGM_RSRC2:TRAP_HANDLER: 0
; COMPUTE_PGM_RSRC2:TGID_X_EN: 1
; COMPUTE_PGM_RSRC2:TGID_Y_EN: 0
; COMPUTE_PGM_RSRC2:TGID_Z_EN: 0
; COMPUTE_PGM_RSRC2:TIDIG_COMP_CNT: 1
; COMPUTE_PGM_RSRC3_GFX90A:ACCUM_OFFSET: 14
; COMPUTE_PGM_RSRC3_GFX90A:TG_SPLIT: 0
	.section	.text._Z12wvSplitK_hf_I6__halfLi32ELi4ELi16ELi8ELi1ELi3EEviiiiiiPKT_S3_S3_PS1_ii,"axG",@progbits,_Z12wvSplitK_hf_I6__halfLi32ELi4ELi16ELi8ELi1ELi3EEviiiiiiPKT_S3_S3_PS1_ii,comdat
	.protected	_Z12wvSplitK_hf_I6__halfLi32ELi4ELi16ELi8ELi1ELi3EEviiiiiiPKT_S3_S3_PS1_ii ; -- Begin function _Z12wvSplitK_hf_I6__halfLi32ELi4ELi16ELi8ELi1ELi3EEviiiiiiPKT_S3_S3_PS1_ii
	.globl	_Z12wvSplitK_hf_I6__halfLi32ELi4ELi16ELi8ELi1ELi3EEviiiiiiPKT_S3_S3_PS1_ii
	.p2align	8
	.type	_Z12wvSplitK_hf_I6__halfLi32ELi4ELi16ELi8ELi1ELi3EEviiiiiiPKT_S3_S3_PS1_ii,@function
_Z12wvSplitK_hf_I6__halfLi32ELi4ELi16ELi8ELi1ELi3EEviiiiiiPKT_S3_S3_PS1_ii: ; @_Z12wvSplitK_hf_I6__halfLi32ELi4ELi16ELi8ELi1ELi3EEviiiiiiPKT_S3_S3_PS1_ii
; %bb.0:
	s_load_dwordx2 s[8:9], s[0:1], 0x38
	s_load_dwordx2 s[10:11], s[0:1], 0x20
	s_load_dwordx4 s[12:15], s[0:1], 0x0
	s_load_dwordx2 s[20:21], s[0:1], 0x10
	v_bfe_u32 v8, v0, 10, 10
	s_waitcnt lgkmcnt(0)
	s_mul_i32 s2, s2, s8
	v_add_lshl_u32 v34, s2, v8, 2
	s_mov_b32 s4, 1
	v_add_u32_e32 v1, 4, v34
	s_mov_b32 s5, s4
	v_cmp_gt_u32_e32 vcc, s15, v34
	v_cmp_le_u32_e64 s[2:3], s15, v1
	s_mov_b32 s6, s4
	s_mov_b32 s7, s4
	v_mov_b64_e32 v[2:3], s[4:5]
	s_and_b64 s[16:17], vcc, s[2:3]
	v_mov_b64_e32 v[4:5], s[6:7]
	s_and_saveexec_b64 s[2:3], s[16:17]
	s_cbranch_execz .LBB78_6
; %bb.1:
	s_add_i32 s24, s15, -4
	v_mov_b64_e32 v[2:3], s[4:5]
	v_cmp_ne_u32_e32 vcc, s24, v34
	v_mov_b64_e32 v[4:5], s[6:7]
	s_and_saveexec_b64 s[16:17], vcc
	s_cbranch_execz .LBB78_5
; %bb.2:
	v_subrev_u32_e32 v1, s24, v34
	v_cmp_lt_u32_e32 vcc, 1, v1
	s_mov_b64 s[18:19], 0
	s_mov_b64 s[22:23], 0
	v_cndmask_b32_e32 v6, 1, v1, vcc
	s_mov_b32 s5, s4
	s_mov_b32 s6, s4
	;; [unrolled: 1-line block ×3, first 2 shown]
.LBB78_3:                               ; =>This Inner Loop Header: Depth=1
	s_cmp_lg_u32 s22, 3
	s_cselect_b32 s7, s7, 0
	s_cmp_lg_u32 s22, 2
	s_cselect_b32 s6, s6, 0
	;; [unrolled: 2-line block ×4, first 2 shown]
	s_add_u32 s22, s22, 1
	s_addc_u32 s23, s23, 0
	v_cmp_eq_u32_e32 vcc, s22, v6
	v_mov_b64_e32 v[2:3], s[4:5]
	s_or_b64 s[18:19], vcc, s[18:19]
	v_mov_b64_e32 v[4:5], s[6:7]
	s_andn2_b64 exec, exec, s[18:19]
	s_cbranch_execnz .LBB78_3
; %bb.4:
	s_or_b64 exec, exec, s[18:19]
	v_mov_b32_e32 v34, s24
.LBB78_5:
	s_or_b64 exec, exec, s[16:17]
.LBB78_6:
	s_or_b64 exec, exec, s[2:3]
	v_and_b32_e32 v9, 0x3ff, v0
	v_lshlrev_b32_e32 v52, 3, v9
	s_mul_i32 s2, s14, 3
	v_lshl_add_u32 v10, v8, 8, v52
	s_min_u32 s4, s2, 0x8000
	v_cmp_gt_u32_e32 vcc, s4, v10
	s_and_saveexec_b64 s[2:3], vcc
	s_cbranch_execz .LBB78_15
; %bb.7:
	v_lshlrev_b32_e32 v0, 1, v10
	global_load_dwordx4 v[12:15], v0, s[10:11]
	v_add_u32_e32 v1, 0x1000, v10
	v_cmp_gt_u32_e32 vcc, s4, v1
	s_waitcnt vmcnt(0)
	ds_write_b128 v0, v[12:15]
	s_and_saveexec_b64 s[6:7], vcc
	s_xor_b64 s[6:7], exec, s[6:7]
	s_cbranch_execz .LBB78_15
; %bb.8:
	v_mov_b32_e32 v1, 0
	v_lshl_add_u64 v[6:7], s[10:11], 0, v[0:1]
	v_add_co_u32_e32 v12, vcc, 0x2000, v6
	v_add_u32_e32 v1, 0x2000, v10
	s_nop 0
	v_addc_co_u32_e32 v13, vcc, 0, v7, vcc
	global_load_dwordx4 v[12:15], v[12:13], off
	v_cmp_gt_u32_e32 vcc, s4, v1
	s_waitcnt vmcnt(0)
	ds_write_b128 v0, v[12:15] offset:8192
	s_and_saveexec_b64 s[6:7], vcc
	s_xor_b64 s[6:7], exec, s[6:7]
	s_cbranch_execz .LBB78_15
; %bb.9:
	v_add_co_u32_e32 v12, vcc, 0x4000, v6
	v_add_u32_e32 v1, 0x3000, v10
	s_nop 0
	v_addc_co_u32_e32 v13, vcc, 0, v7, vcc
	global_load_dwordx4 v[12:15], v[12:13], off
	v_cmp_gt_u32_e32 vcc, s4, v1
	s_waitcnt vmcnt(0)
	ds_write_b128 v0, v[12:15] offset:16384
	s_and_saveexec_b64 s[6:7], vcc
	s_xor_b64 s[6:7], exec, s[6:7]
	s_cbranch_execz .LBB78_15
; %bb.10:
	;; [unrolled: 12-line block ×6, first 2 shown]
	v_add_co_u32_e32 v6, vcc, 0xe000, v6
	s_nop 1
	v_addc_co_u32_e32 v7, vcc, 0, v7, vcc
	global_load_dwordx4 v[10:13], v[6:7], off
	s_waitcnt vmcnt(0)
	ds_write_b128 v0, v[10:13] offset:57344
.LBB78_15:
	s_or_b64 exec, exec, s[2:3]
	v_cmp_gt_u32_e32 vcc, s8, v8
	v_cmp_gt_u32_e64 s[2:3], s15, v34
	s_and_b64 s[2:3], vcc, s[2:3]
	s_waitcnt lgkmcnt(0)
	s_barrier
	s_and_saveexec_b64 s[4:5], s[2:3]
	s_cbranch_execz .LBB78_68
; %bb.16:
	s_load_dwordx4 s[16:19], s[0:1], 0x28
	s_load_dwordx2 s[22:23], s[0:1], 0x18
	s_cmp_lg_u32 s12, 0
	s_cselect_b64 s[2:3], -1, 0
	s_add_i32 s33, s12, -8
	s_add_i32 s36, s15, -1
	s_mul_i32 s4, s8, s9
	s_waitcnt lgkmcnt(0)
	s_cmp_lg_u64 s[16:17], 0
	s_cselect_b64 s[26:27], -1, 0
	s_lshl_b32 s37, s4, 2
	s_abs_i32 s4, s21
	v_cvt_f32_u32_e32 v0, s20
	v_cvt_f32_u32_e32 v1, s4
	s_sub_i32 s5, 0, s20
	s_add_i32 s21, s15, -4
	v_rcp_iflag_f32_e32 v0, v0
	v_rcp_iflag_f32_e32 v1, v1
	v_cmp_eq_u32_e64 s[0:1], 31, v9
	s_mov_b64 s[24:25], 0
	v_mul_f32_e32 v0, 0x4f7ffffe, v0
	v_mul_f32_e32 v1, 0x4f7ffffe, v1
	v_cvt_u32_f32_e32 v0, v0
	v_cvt_u32_f32_e32 v7, v1
	v_mov_b32_e32 v1, 0
	v_lshlrev_b32_e32 v54, 4, v9
	v_mul_lo_u32 v6, s5, v0
	s_sub_i32 s5, 0, s4
	v_readfirstlane_b32 s6, v7
	s_mul_i32 s5, s5, s6
	s_mul_hi_u32 s5, s6, s5
	s_add_i32 s6, s6, s5
	s_sub_i32 s5, 1, s4
	s_cmp_lt_u32 s4, 2
	s_cselect_b32 s5, s5, 1
	s_sub_i32 s7, s5, s4
	s_cmp_ge_u32 s5, s4
	s_cselect_b32 s38, s7, s5
	s_lshr_b32 s5, s6, 31
	s_mul_i32 s5, s5, s4
	s_sub_i32 s5, 2, s5
	s_sub_i32 s6, s5, s4
	s_cmp_ge_u32 s5, s4
	s_cselect_b32 s5, s6, s5
	s_sub_i32 s6, s5, s4
	v_mul_hi_u32 v6, v0, v6
	s_cmp_ge_u32 s5, s4
	v_add_u32_e32 v53, v0, v6
	s_cselect_b32 s39, s6, s5
	s_lshl_b32 s40, s14, 1
	v_cndmask_b32_e64 v0, 0, 1, s[2:3]
	s_mul_i32 s38, s38, s20
	s_mul_i32 s39, s39, s20
	v_add_u32_e32 v55, s40, v52
	s_lshl_b32 s41, s14, 2
	v_add_u32_e32 v56, s14, v52
	v_cmp_ne_u32_e64 s[2:3], 1, v0
	s_movk_i32 s14, 0x7fff
	s_mov_b32 s28, 0
	s_branch .LBB78_19
.LBB78_17:                              ;   in Loop: Header=BB78_19 Depth=1
	s_or_b64 exec, exec, s[8:9]
	v_mov_b32_e32 v34, s21
.LBB78_18:                              ;   in Loop: Header=BB78_19 Depth=1
	s_or_b64 exec, exec, s[6:7]
	v_cmp_le_u32_e32 vcc, s15, v34
	s_or_b64 s[24:25], vcc, s[24:25]
	s_andn2_b64 exec, exec, s[24:25]
	s_cbranch_execz .LBB78_68
.LBB78_19:                              ; =>This Loop Header: Depth=1
                                        ;     Child Loop BB78_23 Depth 2
                                        ;     Child Loop BB78_55 Depth 2
	s_and_b64 vcc, exec, s[2:3]
	v_add_u32_e32 v40, 1, v34
	v_add_u32_e32 v38, 2, v34
	;; [unrolled: 1-line block ×3, first 2 shown]
	v_mov_b32_e32 v64, v1
	v_mov_b32_e32 v63, v1
	;; [unrolled: 1-line block ×4, first 2 shown]
	s_waitcnt vmcnt(11)
	v_mov_b32_e32 v35, v1
	s_waitcnt vmcnt(8)
	v_mov_b32_e32 v37, v1
	v_mov_b32_e32 v39, v1
	;; [unrolled: 1-line block ×7, first 2 shown]
	s_cbranch_vccnz .LBB78_36
; %bb.20:                               ;   in Loop: Header=BB78_19 Depth=1
	v_min_u32_e32 v0, s36, v34
	s_waitcnt vmcnt(3)
	v_mul_lo_u32 v42, v0, s13
	v_min_u32_e32 v0, s36, v40
	v_mul_lo_u32 v44, v0, s13
	v_min_u32_e32 v0, s36, v38
	;; [unrolled: 2-line block ×3, first 2 shown]
	v_mov_b32_e32 v43, v1
	v_mov_b32_e32 v45, v1
	;; [unrolled: 1-line block ×3, first 2 shown]
	v_mul_lo_u32 v48, v0, s13
	v_mov_b32_e32 v49, v1
	v_mov_b32_e32 v60, 0
	v_mov_b32_e32 v65, v54
	v_mov_b32_e32 v59, 0
	v_mov_b32_e32 v58, 0
	v_mov_b32_e32 v57, 0
	v_mov_b32_e32 v41, 0
	v_mov_b32_e32 v39, 0
	v_mov_b32_e32 v37, 0
	v_mov_b32_e32 v35, 0
	v_mov_b32_e32 v61, 0
	v_mov_b32_e32 v62, 0
	v_mov_b32_e32 v63, 0
	v_mov_b32_e32 v64, 0
	s_mov_b32 s8, s28
	s_branch .LBB78_23
.LBB78_21:                              ;   in Loop: Header=BB78_23 Depth=2
	s_or_b64 exec, exec, s[6:7]
.LBB78_22:                              ;   in Loop: Header=BB78_23 Depth=2
	s_or_b64 exec, exec, s[4:5]
	s_waitcnt vmcnt(0) lgkmcnt(0)
	;;#ASMSTART
	v_dot2c_f32_f16 v64, v26, v18
	;;#ASMEND
	;;#ASMSTART
	v_dot2c_f32_f16 v63, v26, v14
	;;#ASMEND
	;; [unrolled: 3-line block ×12, first 2 shown]
	s_nop 0
	;;#ASMSTART
	v_dot2c_f32_f16 v64, v27, v19
	;;#ASMEND
	;;#ASMSTART
	v_dot2c_f32_f16 v63, v27, v15
	;;#ASMEND
	;; [unrolled: 3-line block ×12, first 2 shown]
	s_addk_i32 s8, 0x100
	;;#ASMSTART
	v_dot2c_f32_f16 v64, v28, v20
	;;#ASMEND
	;;#ASMSTART
	v_dot2c_f32_f16 v63, v28, v16
	;;#ASMEND
	;; [unrolled: 3-line block ×12, first 2 shown]
	s_cmp_ge_u32 s8, s12
	v_add_u32_e32 v65, 0x200, v65
	;;#ASMSTART
	v_dot2c_f32_f16 v64, v29, v21
	;;#ASMEND
	;;#ASMSTART
	v_dot2c_f32_f16 v63, v29, v17
	;;#ASMEND
	;; [unrolled: 3-line block ×12, first 2 shown]
	s_cbranch_scc1 .LBB78_36
.LBB78_23:                              ;   Parent Loop BB78_19 Depth=1
                                        ; =>  This Inner Loop Header: Depth=2
	v_add_u32_e32 v50, s8, v52
	v_min_u32_e32 v0, s33, v50
	v_lshl_add_u64 v[6:7], v[0:1], 1, s[22:23]
	v_lshl_add_u64 v[8:9], v[42:43], 1, v[6:7]
	;; [unrolled: 1-line block ×4, first 2 shown]
	global_load_dwordx4 v[18:21], v[8:9], off nt
	global_load_dwordx4 v[14:17], v[10:11], off nt
	v_lshl_add_u64 v[24:25], v[48:49], 1, v[6:7]
	global_load_dwordx4 v[10:13], v[22:23], off nt
	global_load_dwordx4 v[6:9], v[24:25], off nt
	s_mov_b32 s29, s28
	v_cmp_gt_u32_e32 vcc, s12, v50
	v_mov_b64_e32 v[24:25], s[28:29]
	v_mov_b32_e32 v33, 0
	s_waitcnt vmcnt(6)
	v_mov_b32_e32 v32, 0
	s_waitcnt vmcnt(5)
	;; [unrolled: 2-line block ×3, first 2 shown]
	v_mov_b32_e32 v30, 0
	v_mov_b64_e32 v[22:23], s[28:29]
	v_mov_b64_e32 v[28:29], s[28:29]
	v_mov_b64_e32 v[26:27], s[28:29]
	s_and_saveexec_b64 s[4:5], vcc
	s_cbranch_execz .LBB78_22
; %bb.24:                               ;   in Loop: Header=BB78_23 Depth=2
	v_cmp_lt_u32_e32 vcc, s14, v50
                                        ; implicit-def: $vgpr28_vgpr29
	s_and_saveexec_b64 s[6:7], vcc
	s_xor_b64 s[6:7], exec, s[6:7]
	s_cbranch_execz .LBB78_26
; %bb.25:                               ;   in Loop: Header=BB78_23 Depth=2
	v_mov_b32_e32 v51, v1
	v_lshl_add_u64 v[22:23], v[50:51], 1, s[10:11]
	global_load_dwordx4 v[26:29], v[22:23], off
.LBB78_26:                              ;   in Loop: Header=BB78_23 Depth=2
	s_andn2_saveexec_b64 s[6:7], s[6:7]
	s_cbranch_execz .LBB78_28
; %bb.27:                               ;   in Loop: Header=BB78_23 Depth=2
	s_waitcnt vmcnt(0)
	ds_read_b128 v[26:29], v65
.LBB78_28:                              ;   in Loop: Header=BB78_23 Depth=2
	s_or_b64 exec, exec, s[6:7]
	v_add_u32_e32 v0, s8, v56
	v_cmp_lt_u32_e32 vcc, s14, v0
                                        ; implicit-def: $vgpr24_vgpr25
	s_and_saveexec_b64 s[6:7], vcc
	s_xor_b64 s[6:7], exec, s[6:7]
	s_cbranch_execz .LBB78_30
; %bb.29:                               ;   in Loop: Header=BB78_23 Depth=2
	v_lshl_add_u64 v[22:23], v[0:1], 1, s[10:11]
	global_load_dwordx4 v[22:25], v[22:23], off
.LBB78_30:                              ;   in Loop: Header=BB78_23 Depth=2
	s_andn2_saveexec_b64 s[6:7], s[6:7]
	s_cbranch_execz .LBB78_32
; %bb.31:                               ;   in Loop: Header=BB78_23 Depth=2
	v_add_u32_e32 v0, s40, v65
	s_waitcnt vmcnt(0)
	ds_read_b128 v[22:25], v0
.LBB78_32:                              ;   in Loop: Header=BB78_23 Depth=2
	s_or_b64 exec, exec, s[6:7]
	v_add_u32_e32 v0, s8, v55
	v_cmp_lt_u32_e32 vcc, s14, v0
                                        ; implicit-def: $vgpr33
	s_and_saveexec_b64 s[6:7], vcc
	s_xor_b64 s[6:7], exec, s[6:7]
	s_cbranch_execz .LBB78_34
; %bb.33:                               ;   in Loop: Header=BB78_23 Depth=2
	v_lshl_add_u64 v[30:31], v[0:1], 1, s[10:11]
	global_load_dwordx4 v[30:33], v[30:31], off
.LBB78_34:                              ;   in Loop: Header=BB78_23 Depth=2
	s_andn2_saveexec_b64 s[6:7], s[6:7]
	s_cbranch_execz .LBB78_21
; %bb.35:                               ;   in Loop: Header=BB78_23 Depth=2
	v_add_u32_e32 v0, s41, v65
	s_waitcnt vmcnt(0)
	ds_read2_b32 v[30:31], v0 offset1:1
	ds_read2_b32 v[32:33], v0 offset0:2 offset1:3
	s_branch .LBB78_21
.LBB78_36:                              ;   in Loop: Header=BB78_19 Depth=1
	v_cvt_i32_f32_e32 v0, v64
	v_cvt_i32_f32_e32 v6, v63
	;; [unrolled: 1-line block ×4, first 2 shown]
	v_cvt_f32_i32_dpp v0, v0 row_shr:8 row_mask:0xf bank_mask:0xf bound_ctrl:1
	v_cvt_f32_i32_dpp v6, v6 row_shr:8 row_mask:0xf bank_mask:0xf bound_ctrl:1
	;; [unrolled: 1-line block ×4, first 2 shown]
	v_add_f32_e32 v0, v64, v0
	v_cvt_i32_f32_e32 v9, v0
	v_add_f32_e32 v6, v63, v6
	v_cvt_i32_f32_e32 v11, v6
	v_add_f32_e32 v7, v62, v7
	v_cvt_f32_i32_dpp v9, v9 row_shr:4 row_mask:0xf bank_mask:0xf bound_ctrl:1
	v_cvt_i32_f32_e32 v12, v7
	v_cvt_f32_i32_dpp v11, v11 row_shr:4 row_mask:0xf bank_mask:0xf bound_ctrl:1
	v_add_f32_e32 v8, v61, v8
	v_add_f32_e32 v0, v0, v9
	v_cvt_i32_f32_e32 v9, v0
	v_add_f32_e32 v6, v6, v11
	v_cvt_i32_f32_e32 v11, v6
	v_cvt_f32_i32_dpp v12, v12 row_shr:4 row_mask:0xf bank_mask:0xf bound_ctrl:1
	v_cvt_f32_i32_dpp v9, v9 row_shr:2 row_mask:0xf bank_mask:0xf bound_ctrl:1
	v_cvt_i32_f32_e32 v13, v8
	v_cvt_f32_i32_dpp v11, v11 row_shr:2 row_mask:0xf bank_mask:0xf bound_ctrl:1
	v_add_f32_e32 v7, v7, v12
	v_add_f32_e32 v0, v0, v9
	v_cvt_i32_f32_e32 v9, v0
	v_add_f32_e32 v6, v6, v11
	v_cvt_i32_f32_e32 v11, v6
	v_cvt_i32_f32_e32 v12, v7
	v_cvt_f32_i32_dpp v9, v9 row_shr:1 row_mask:0xf bank_mask:0xf bound_ctrl:1
	v_cvt_f32_i32_dpp v13, v13 row_shr:4 row_mask:0xf bank_mask:0xf bound_ctrl:1
	;; [unrolled: 1-line block ×4, first 2 shown]
	v_add_f32_e32 v0, v0, v9
	v_cvt_i32_f32_e32 v9, v0
	v_add_f32_e32 v6, v6, v11
	v_cvt_i32_f32_e32 v11, v6
	v_add_f32_e32 v12, v7, v12
	v_cvt_f32_i32_dpp v9, v9 row_bcast:15 row_mask:0xf bank_mask:0xf bound_ctrl:1
	v_cvt_i32_f32_e32 v10, v60
	v_cvt_i32_f32_e32 v7, v12
	v_cvt_f32_i32_dpp v11, v11 row_bcast:15 row_mask:0xf bank_mask:0xf bound_ctrl:1
	v_add_f32_e32 v9, v0, v9
	v_cvt_i32_f32_e32 v0, v9
	v_add_f32_e32 v8, v8, v13
	v_cvt_f32_i32_dpp v13, v7 row_shr:1 row_mask:0xf bank_mask:0xf bound_ctrl:1
	v_add_f32_e32 v7, v6, v11
	v_mov_b32_dpp v11, v0 row_bcast:31 row_mask:0xf bank_mask:0xf bound_ctrl:1
	v_cvt_i32_f32_e32 v0, v8
	v_cvt_f32_i32_dpp v10, v10 row_shr:8 row_mask:0xf bank_mask:0xf bound_ctrl:1
	v_add_f32_e32 v12, v12, v13
	v_cvt_i32_f32_e32 v13, v12
	v_cvt_f32_i32_dpp v0, v0 row_shr:2 row_mask:0xf bank_mask:0xf bound_ctrl:1
	v_add_f32_e32 v14, v60, v10
	v_cvt_i32_f32_e32 v10, v14
	v_cvt_i32_f32_e32 v6, v7
	v_add_f32_e32 v0, v8, v0
	v_cvt_i32_f32_e32 v8, v0
	v_cvt_f32_i32_dpp v13, v13 row_bcast:15 row_mask:0xf bank_mask:0xf bound_ctrl:1
	v_cvt_f32_i32_dpp v15, v10 row_shr:4 row_mask:0xf bank_mask:0xf bound_ctrl:1
	v_mov_b32_dpp v10, v6 row_bcast:31 row_mask:0xf bank_mask:0xf bound_ctrl:1
	v_cvt_f32_i32_dpp v8, v8 row_shr:1 row_mask:0xf bank_mask:0xf bound_ctrl:1
	v_add_f32_e32 v6, v12, v13
	v_add_f32_e32 v12, v14, v15
	v_cvt_i32_f32_e32 v13, v12
	v_add_f32_e32 v0, v0, v8
	v_cvt_i32_f32_e32 v8, v59
	v_cvt_i32_f32_e32 v14, v0
	v_cvt_f32_i32_dpp v13, v13 row_shr:2 row_mask:0xf bank_mask:0xf bound_ctrl:1
	v_cvt_i32_f32_e32 v15, v6
	v_cvt_f32_i32_dpp v8, v8 row_shr:8 row_mask:0xf bank_mask:0xf bound_ctrl:1
	v_cvt_f32_i32_dpp v14, v14 row_bcast:15 row_mask:0xf bank_mask:0xf bound_ctrl:1
	v_add_f32_e32 v13, v12, v13
	v_cvt_i32_f32_e32 v16, v13
	v_add_f32_e32 v17, v59, v8
	v_cvt_i32_f32_e32 v18, v17
	v_mov_b32_dpp v12, v15 row_bcast:31 row_mask:0xf bank_mask:0xf bound_ctrl:1
	v_cvt_f32_i32_dpp v15, v16 row_shr:1 row_mask:0xf bank_mask:0xf bound_ctrl:1
	v_add_f32_e32 v8, v0, v14
	v_cvt_f32_i32_dpp v0, v18 row_shr:4 row_mask:0xf bank_mask:0xf bound_ctrl:1
	v_cvt_i32_f32_e32 v14, v8
	v_add_f32_e32 v15, v13, v15
	v_cvt_i32_f32_e32 v13, v58
	v_add_f32_e32 v0, v17, v0
	v_cvt_i32_f32_e32 v16, v0
	v_cvt_i32_f32_e32 v17, v15
	v_cvt_f32_i32_dpp v18, v13 row_shr:8 row_mask:0xf bank_mask:0xf bound_ctrl:1
	v_mov_b32_dpp v13, v14 row_bcast:31 row_mask:0xf bank_mask:0xf bound_ctrl:1
	v_cvt_f32_i32_dpp v14, v16 row_shr:2 row_mask:0xf bank_mask:0xf bound_ctrl:1
	v_cvt_f32_i32_dpp v16, v17 row_bcast:15 row_mask:0xf bank_mask:0xf bound_ctrl:1
	v_add_f32_e32 v17, v58, v18
	v_cvt_i32_f32_e32 v18, v17
	v_cvt_i32_f32_e32 v19, v57
	v_add_f32_e32 v0, v0, v14
	v_add_f32_e32 v14, v15, v16
	v_cvt_f32_i32_dpp v18, v18 row_shr:4 row_mask:0xf bank_mask:0xf bound_ctrl:1
	v_cvt_f32_i32_dpp v15, v19 row_shr:8 row_mask:0xf bank_mask:0xf bound_ctrl:1
	v_cvt_i32_f32_e32 v20, v0
	v_add_f32_e32 v17, v17, v18
	v_cvt_i32_f32_e32 v18, v17
	v_add_f32_e32 v15, v57, v15
	v_cvt_f32_i32_dpp v16, v20 row_shr:1 row_mask:0xf bank_mask:0xf bound_ctrl:1
	v_cvt_i32_f32_e32 v19, v15
	v_cvt_f32_i32_dpp v18, v18 row_shr:2 row_mask:0xf bank_mask:0xf bound_ctrl:1
	v_cvt_i32_f32_e32 v20, v14
	v_add_f32_e32 v0, v0, v16
	v_cvt_f32_i32_dpp v16, v19 row_shr:4 row_mask:0xf bank_mask:0xf bound_ctrl:1
	v_add_f32_e32 v17, v17, v18
	v_cvt_i32_f32_e32 v19, v0
	v_cvt_i32_f32_e32 v18, v17
	v_add_f32_e32 v16, v15, v16
	v_cvt_i32_f32_e32 v15, v16
	v_cvt_f32_i32_dpp v19, v19 row_bcast:15 row_mask:0xf bank_mask:0xf bound_ctrl:1
	v_cvt_f32_i32_dpp v18, v18 row_shr:1 row_mask:0xf bank_mask:0xf bound_ctrl:1
	v_mov_b32_dpp v20, v20 row_bcast:31 row_mask:0xf bank_mask:0xf bound_ctrl:1
	v_cvt_f32_i32_dpp v21, v15 row_shr:2 row_mask:0xf bank_mask:0xf bound_ctrl:1
	v_add_f32_e32 v15, v0, v19
	v_add_f32_e32 v0, v17, v18
	v_cvt_i32_f32_e32 v17, v41
	v_add_f32_e32 v16, v16, v21
	v_cvt_i32_f32_e32 v18, v16
	v_cvt_i32_f32_e32 v19, v0
	v_cvt_f32_i32_dpp v17, v17 row_shr:8 row_mask:0xf bank_mask:0xf bound_ctrl:1
	v_cvt_i32_f32_e32 v21, v15
	v_cvt_f32_i32_dpp v18, v18 row_shr:1 row_mask:0xf bank_mask:0xf bound_ctrl:1
	v_cvt_f32_i32_dpp v19, v19 row_bcast:15 row_mask:0xf bank_mask:0xf bound_ctrl:1
	v_add_f32_e32 v17, v41, v17
	v_cvt_i32_f32_e32 v23, v17
	v_add_f32_e32 v18, v16, v18
	v_mov_b32_dpp v22, v21 row_bcast:31 row_mask:0xf bank_mask:0xf bound_ctrl:1
	v_cvt_i32_f32_e32 v24, v18
	v_cvt_f32_i32_dpp v21, v23 row_shr:4 row_mask:0xf bank_mask:0xf bound_ctrl:1
	v_add_f32_e32 v16, v0, v19
	v_cvt_i32_f32_e32 v19, v39
	v_cvt_f32_i32_dpp v0, v24 row_bcast:15 row_mask:0xf bank_mask:0xf bound_ctrl:1
	v_add_f32_e32 v21, v17, v21
	v_cvt_i32_f32_e32 v23, v21
	v_cvt_f32_i32_dpp v19, v19 row_shr:8 row_mask:0xf bank_mask:0xf bound_ctrl:1
	v_add_f32_e32 v17, v18, v0
	v_cvt_i32_f32_e32 v18, v17
	v_cvt_f32_i32_dpp v0, v23 row_shr:2 row_mask:0xf bank_mask:0xf bound_ctrl:1
	v_add_f32_e32 v23, v39, v19
	v_cvt_i32_f32_e32 v19, v23
	v_cvt_i32_f32_e32 v24, v16
	v_add_f32_e32 v0, v21, v0
	v_cvt_i32_f32_e32 v21, v0
	v_cvt_f32_i32_dpp v25, v19 row_shr:4 row_mask:0xf bank_mask:0xf bound_ctrl:1
	v_mov_b32_dpp v19, v18 row_bcast:31 row_mask:0xf bank_mask:0xf bound_ctrl:1
	v_mov_b32_dpp v24, v24 row_bcast:31 row_mask:0xf bank_mask:0xf bound_ctrl:1
	v_cvt_f32_i32_dpp v18, v21 row_shr:1 row_mask:0xf bank_mask:0xf bound_ctrl:1
	v_cvt_i32_f32_e32 v21, v37
	v_add_f32_e32 v23, v23, v25
	v_cvt_i32_f32_e32 v25, v35
	v_add_f32_e32 v0, v0, v18
	v_cvt_f32_i32_dpp v21, v21 row_shr:8 row_mask:0xf bank_mask:0xf bound_ctrl:1
	v_cvt_i32_f32_e32 v26, v23
	v_cvt_f32_i32_dpp v18, v25 row_shr:8 row_mask:0xf bank_mask:0xf bound_ctrl:1
	v_cvt_i32_f32_e32 v28, v0
	v_add_f32_e32 v21, v37, v21
	v_cvt_f32_i32_dpp v25, v26 row_shr:2 row_mask:0xf bank_mask:0xf bound_ctrl:1
	v_add_f32_e32 v18, v35, v18
	v_cvt_i32_f32_e32 v26, v21
	v_cvt_i32_f32_e32 v27, v18
	v_add_f32_e32 v23, v23, v25
	v_cvt_f32_i32_dpp v28, v28 row_bcast:15 row_mask:0xf bank_mask:0xf bound_ctrl:1
	v_cvt_f32_i32_dpp v26, v26 row_shr:4 row_mask:0xf bank_mask:0xf bound_ctrl:1
	v_cvt_f32_i32_dpp v25, v27 row_shr:4 row_mask:0xf bank_mask:0xf bound_ctrl:1
	v_cvt_i32_f32_e32 v27, v23
	v_add_f32_e32 v21, v21, v26
	v_add_f32_e32 v18, v18, v25
	v_cvt_i32_f32_e32 v26, v21
	v_cvt_i32_f32_e32 v25, v18
	v_cvt_f32_i32_dpp v27, v27 row_shr:1 row_mask:0xf bank_mask:0xf bound_ctrl:1
	v_cvt_f32_i32_dpp v26, v26 row_shr:2 row_mask:0xf bank_mask:0xf bound_ctrl:1
	;; [unrolled: 1-line block ×3, first 2 shown]
	v_add_f32_e32 v23, v23, v27
	v_add_f32_e32 v27, v0, v28
	;; [unrolled: 1-line block ×4, first 2 shown]
	v_cvt_i32_f32_e32 v26, v21
	v_cvt_i32_f32_e32 v25, v18
	;; [unrolled: 1-line block ×4, first 2 shown]
	v_cvt_f32_i32_dpp v26, v26 row_shr:1 row_mask:0xf bank_mask:0xf bound_ctrl:1
	v_cvt_f32_i32_dpp v0, v25 row_shr:1 row_mask:0xf bank_mask:0xf bound_ctrl:1
	v_cvt_f32_i32_dpp v25, v29 row_bcast:15 row_mask:0xf bank_mask:0xf bound_ctrl:1
	v_add_f32_e32 v21, v21, v26
	v_add_f32_e32 v0, v18, v0
	v_cvt_i32_f32_e32 v26, v21
	v_cvt_i32_f32_e32 v18, v0
	s_nop 0
	v_cvt_f32_i32_dpp v29, v26 row_bcast:15 row_mask:0xf bank_mask:0xf bound_ctrl:1
	v_cvt_f32_i32_dpp v18, v18 row_bcast:15 row_mask:0xf bank_mask:0xf bound_ctrl:1
	v_add_f32_e32 v26, v23, v25
	v_cvt_i32_f32_e32 v25, v26
	v_add_f32_e32 v23, v21, v29
	v_add_f32_e32 v18, v0, v18
	v_cvt_i32_f32_e32 v21, v23
	v_cvt_i32_f32_e32 v0, v18
	v_mov_b32_dpp v29, v28 row_bcast:31 row_mask:0xf bank_mask:0xf bound_ctrl:1
	v_mov_b32_dpp v28, v25 row_bcast:31 row_mask:0xf bank_mask:0xf bound_ctrl:1
	;; [unrolled: 1-line block ×4, first 2 shown]
	s_and_saveexec_b64 s[30:31], s[0:1]
	s_cbranch_execz .LBB78_52
; %bb.37:                               ;   in Loop: Header=BB78_19 Depth=1
	s_andn2_b64 vcc, exec, s[26:27]
	v_mov_b32_e32 v35, 0
	v_mov_b32_e32 v41, 0
	;; [unrolled: 1-line block ×4, first 2 shown]
	s_waitcnt vmcnt(7)
	v_mov_b32_e32 v45, 0
	s_waitcnt vmcnt(6)
	v_mov_b32_e32 v44, 0
	;; [unrolled: 2-line block ×8, first 2 shown]
	s_cbranch_vccnz .LBB78_39
; %bb.38:                               ;   in Loop: Header=BB78_19 Depth=1
	v_mul_hi_u32 v0, v34, v53
	v_mul_lo_u32 v0, v0, s20
	v_sub_u32_e32 v0, v34, v0
	v_subrev_u32_e32 v30, s20, v0
	v_cmp_le_u32_e32 vcc, s20, v0
	v_mul_hi_u32 v32, v40, v53
	v_mul_lo_u32 v32, v32, s20
	v_cndmask_b32_e32 v0, v0, v30, vcc
	v_subrev_u32_e32 v30, s20, v0
	v_cmp_le_u32_e32 vcc, s20, v0
	v_sub_u32_e32 v32, v40, v32
	v_subrev_u32_e32 v33, s20, v32
	v_cndmask_b32_e32 v0, v0, v30, vcc
	v_cmp_le_u32_e32 vcc, s20, v32
	v_add_u32_e32 v44, s38, v0
	v_mov_b32_e32 v45, v1
	v_cndmask_b32_e32 v32, v32, v33, vcc
	v_subrev_u32_e32 v33, s20, v32
	v_cmp_le_u32_e32 vcc, s20, v32
	v_lshl_add_u64 v[60:61], v[44:45], 1, s[16:17]
	v_lshl_add_u64 v[30:31], v[0:1], 1, s[16:17]
	v_cndmask_b32_e32 v32, v32, v33, vcc
	v_mov_b32_e32 v33, v1
	v_lshl_add_u64 v[46:47], v[32:33], 1, s[16:17]
	v_mul_hi_u32 v33, v38, v53
	v_mul_lo_u32 v33, v33, s20
	v_sub_u32_e32 v33, v38, v33
	v_subrev_u32_e32 v35, s20, v33
	v_cmp_le_u32_e32 vcc, s20, v33
	v_add_u32_e32 v44, s38, v32
	v_lshl_add_u64 v[62:63], v[44:45], 1, s[16:17]
	v_cndmask_b32_e32 v33, v33, v35, vcc
	v_subrev_u32_e32 v35, s20, v33
	v_cmp_le_u32_e32 vcc, s20, v33
	v_mov_b32_e32 v43, v1
	v_mov_b32_e32 v51, v1
	v_cndmask_b32_e32 v42, v33, v35, vcc
	v_mul_hi_u32 v33, v36, v53
	v_mul_lo_u32 v33, v33, s20
	v_sub_u32_e32 v33, v36, v33
	v_subrev_u32_e32 v35, s20, v33
	v_cmp_le_u32_e32 vcc, s20, v33
	v_add_u32_e32 v44, s38, v42
	v_lshl_add_u64 v[64:65], v[44:45], 1, s[16:17]
	v_cndmask_b32_e32 v33, v33, v35, vcc
	v_subrev_u32_e32 v35, s20, v33
	v_cmp_le_u32_e32 vcc, s20, v33
	v_lshl_add_u64 v[48:49], v[42:43], 1, s[16:17]
	v_add_u32_e32 v0, s39, v0
	v_cndmask_b32_e32 v50, v33, v35, vcc
	v_add_u32_e32 v44, s38, v50
	v_lshl_add_u64 v[58:59], v[50:51], 1, s[16:17]
	v_lshl_add_u64 v[66:67], v[44:45], 1, s[16:17]
	global_load_ushort v35, v[30:31], off
	global_load_ushort v41, v[46:47], off
	;; [unrolled: 1-line block ×8, first 2 shown]
	v_lshl_add_u64 v[46:47], v[0:1], 1, s[16:17]
	v_add_u32_e32 v0, s39, v32
	v_lshl_add_u64 v[48:49], v[0:1], 1, s[16:17]
	v_add_u32_e32 v0, s39, v42
	;; [unrolled: 2-line block ×3, first 2 shown]
	v_lshl_add_u64 v[50:51], v[0:1], 1, s[16:17]
	global_load_ushort v42, v[46:47], off
	global_load_ushort v32, v[48:49], off
	;; [unrolled: 1-line block ×4, first 2 shown]
.LBB78_39:                              ;   in Loop: Header=BB78_19 Depth=1
	v_cmp_ne_u32_e32 vcc, 0, v2
	s_and_saveexec_b64 s[4:5], vcc
	s_cbranch_execnz .LBB78_57
; %bb.40:                               ;   in Loop: Header=BB78_19 Depth=1
	s_or_b64 exec, exec, s[4:5]
	v_cmp_ne_u32_e64 s[4:5], 0, v3
	s_and_saveexec_b64 s[6:7], s[4:5]
	s_cbranch_execnz .LBB78_58
.LBB78_41:                              ;   in Loop: Header=BB78_19 Depth=1
	s_or_b64 exec, exec, s[6:7]
	v_cmp_ne_u32_e64 s[6:7], 0, v4
	s_and_saveexec_b64 s[8:9], s[6:7]
	s_cbranch_execnz .LBB78_59
.LBB78_42:                              ;   in Loop: Header=BB78_19 Depth=1
	s_or_b64 exec, exec, s[8:9]
	v_cmp_ne_u32_e64 s[8:9], 0, v5
	s_and_saveexec_b64 s[34:35], s[8:9]
	s_cbranch_execnz .LBB78_60
.LBB78_43:                              ;   in Loop: Header=BB78_19 Depth=1
	s_or_b64 exec, exec, s[34:35]
	v_add_u32_e32 v0, s15, v34
	s_and_saveexec_b64 s[34:35], vcc
	s_cbranch_execnz .LBB78_61
.LBB78_44:                              ;   in Loop: Header=BB78_19 Depth=1
	s_or_b64 exec, exec, s[34:35]
	s_and_saveexec_b64 s[34:35], s[4:5]
	s_cbranch_execnz .LBB78_62
.LBB78_45:                              ;   in Loop: Header=BB78_19 Depth=1
	s_or_b64 exec, exec, s[34:35]
	s_and_saveexec_b64 s[34:35], s[6:7]
	s_cbranch_execnz .LBB78_63
.LBB78_46:                              ;   in Loop: Header=BB78_19 Depth=1
	s_or_b64 exec, exec, s[34:35]
	s_and_saveexec_b64 s[34:35], s[8:9]
	s_cbranch_execnz .LBB78_64
.LBB78_47:                              ;   in Loop: Header=BB78_19 Depth=1
	s_or_b64 exec, exec, s[34:35]
	v_add_u32_e32 v0, s15, v0
	s_and_saveexec_b64 s[34:35], vcc
	s_cbranch_execnz .LBB78_65
.LBB78_48:                              ;   in Loop: Header=BB78_19 Depth=1
	s_or_b64 exec, exec, s[34:35]
	s_and_saveexec_b64 s[34:35], s[4:5]
	s_cbranch_execnz .LBB78_66
.LBB78_49:                              ;   in Loop: Header=BB78_19 Depth=1
	s_or_b64 exec, exec, s[34:35]
	s_and_saveexec_b64 s[4:5], s[6:7]
	s_cbranch_execnz .LBB78_67
.LBB78_50:                              ;   in Loop: Header=BB78_19 Depth=1
	s_or_b64 exec, exec, s[4:5]
	s_and_b64 exec, exec, s[8:9]
	s_cbranch_execz .LBB78_52
.LBB78_51:                              ;   in Loop: Header=BB78_19 Depth=1
	v_cvt_f32_i32_e32 v6, v21
	s_waitcnt vmcnt(0)
	v_cvt_f32_f16_e32 v7, v30
	v_add_u32_e32 v0, 3, v0
	v_add_f32_e32 v6, v18, v6
	v_add_f32_e32 v6, v6, v7
	v_cvt_f16_f32_e32 v8, v6
	v_lshl_add_u64 v[6:7], v[0:1], 1, s[18:19]
	global_store_short v[6:7], v8, off
.LBB78_52:                              ;   in Loop: Header=BB78_19 Depth=1
	s_or_b64 exec, exec, s[30:31]
	v_add_u32_e32 v34, s37, v34
	v_add_u32_e32 v0, 4, v34
	v_cmp_gt_u32_e32 vcc, s15, v34
	v_cmp_le_u32_e64 s[4:5], s15, v0
	s_and_b64 s[4:5], vcc, s[4:5]
	s_and_saveexec_b64 s[6:7], s[4:5]
	s_cbranch_execz .LBB78_18
; %bb.53:                               ;   in Loop: Header=BB78_19 Depth=1
	v_cmp_ne_u32_e32 vcc, s21, v34
	s_and_saveexec_b64 s[8:9], vcc
	s_cbranch_execz .LBB78_17
; %bb.54:                               ;   in Loop: Header=BB78_19 Depth=1
	v_subrev_u32_e32 v0, s21, v34
	v_cmp_lt_u32_e32 vcc, 1, v0
	s_mov_b64 s[30:31], 0
	s_mov_b64 s[34:35], 0
	v_cndmask_b32_e32 v0, 1, v0, vcc
.LBB78_55:                              ;   Parent Loop BB78_19 Depth=1
                                        ; =>  This Inner Loop Header: Depth=2
	s_cmp_lg_u32 s34, 3
	s_cselect_b64 vcc, -1, 0
	s_cmp_lg_u32 s34, 2
	v_cndmask_b32_e32 v5, 0, v5, vcc
	s_cselect_b64 vcc, -1, 0
	s_cmp_lg_u32 s34, 1
	v_cndmask_b32_e32 v4, 0, v4, vcc
	;; [unrolled: 3-line block ×3, first 2 shown]
	s_cselect_b64 vcc, -1, 0
	s_add_u32 s34, s34, 1
	s_addc_u32 s35, s35, 0
	v_cmp_eq_u32_e64 s[4:5], s34, v0
	s_or_b64 s[30:31], s[4:5], s[30:31]
	v_cndmask_b32_e32 v2, 0, v2, vcc
	s_andn2_b64 exec, exec, s[30:31]
	s_cbranch_execnz .LBB78_55
; %bb.56:                               ;   in Loop: Header=BB78_19 Depth=1
	s_or_b64 exec, exec, s[30:31]
	s_branch .LBB78_17
.LBB78_57:                              ;   in Loop: Header=BB78_19 Depth=1
	v_cvt_f32_i32_e32 v0, v11
	s_waitcnt vmcnt(11)
	v_cvt_f32_f16_e32 v11, v35
	v_mov_b32_e32 v35, v1
	v_lshl_add_u64 v[46:47], v[34:35], 1, s[18:19]
	v_add_f32_e32 v0, v9, v0
	v_add_f32_e32 v0, v0, v11
	v_cvt_f16_f32_e32 v0, v0
	global_store_short v[46:47], v0, off
	s_or_b64 exec, exec, s[4:5]
	v_cmp_ne_u32_e64 s[4:5], 0, v3
	s_and_saveexec_b64 s[6:7], s[4:5]
	s_cbranch_execz .LBB78_41
.LBB78_58:                              ;   in Loop: Header=BB78_19 Depth=1
	v_cvt_f32_i32_e32 v0, v10
	s_waitcnt vmcnt(10)
	v_cvt_f32_f16_e32 v9, v41
	v_mov_b32_e32 v41, v1
	v_lshl_add_u64 v[10:11], v[40:41], 1, s[18:19]
	v_add_f32_e32 v0, v7, v0
	v_add_f32_e32 v0, v0, v9
	v_cvt_f16_f32_e32 v0, v0
	global_store_short v[10:11], v0, off
	s_or_b64 exec, exec, s[6:7]
	v_cmp_ne_u32_e64 s[6:7], 0, v4
	s_and_saveexec_b64 s[8:9], s[6:7]
	s_cbranch_execz .LBB78_42
.LBB78_59:                              ;   in Loop: Header=BB78_19 Depth=1
	v_cvt_f32_i32_e32 v0, v12
	s_waitcnt vmcnt(9)
	v_cvt_f32_f16_e32 v7, v39
	v_mov_b32_e32 v39, v1
	v_add_f32_e32 v0, v6, v0
	v_add_f32_e32 v0, v0, v7
	v_cvt_f16_f32_e32 v0, v0
	v_lshl_add_u64 v[6:7], v[38:39], 1, s[18:19]
	global_store_short v[6:7], v0, off
	s_or_b64 exec, exec, s[8:9]
	v_cmp_ne_u32_e64 s[8:9], 0, v5
	s_and_saveexec_b64 s[34:35], s[8:9]
	s_cbranch_execz .LBB78_43
.LBB78_60:                              ;   in Loop: Header=BB78_19 Depth=1
	v_cvt_f32_i32_e32 v0, v13
	s_waitcnt vmcnt(8)
	v_cvt_f32_f16_e32 v6, v37
	v_mov_b32_e32 v37, v1
	v_add_f32_e32 v0, v8, v0
	v_add_f32_e32 v0, v0, v6
	v_cvt_f16_f32_e32 v0, v0
	v_lshl_add_u64 v[6:7], v[36:37], 1, s[18:19]
	global_store_short v[6:7], v0, off
	s_or_b64 exec, exec, s[34:35]
	v_add_u32_e32 v0, s15, v34
	s_and_saveexec_b64 s[34:35], vcc
	s_cbranch_execz .LBB78_44
.LBB78_61:                              ;   in Loop: Header=BB78_19 Depth=1
	v_cvt_f32_i32_e32 v6, v20
	s_waitcnt vmcnt(7)
	v_cvt_f32_f16_e32 v7, v45
	v_add_f32_e32 v6, v14, v6
	v_add_f32_e32 v6, v6, v7
	v_cvt_f16_f32_e32 v8, v6
	v_lshl_add_u64 v[6:7], v[0:1], 1, s[18:19]
	global_store_short v[6:7], v8, off
	s_or_b64 exec, exec, s[34:35]
	s_and_saveexec_b64 s[34:35], s[4:5]
	s_cbranch_execz .LBB78_45
.LBB78_62:                              ;   in Loop: Header=BB78_19 Depth=1
	v_cvt_f32_i32_e32 v6, v22
	s_waitcnt vmcnt(6)
	v_cvt_f32_f16_e32 v7, v44
	v_add_f32_e32 v6, v15, v6
	v_add_f32_e32 v6, v6, v7
	v_cvt_f16_f32_e32 v8, v6
	v_add_u32_e32 v6, 1, v0
	v_mov_b32_e32 v7, v1
	v_lshl_add_u64 v[6:7], v[6:7], 1, s[18:19]
	global_store_short v[6:7], v8, off
	s_or_b64 exec, exec, s[34:35]
	s_and_saveexec_b64 s[34:35], s[6:7]
	s_cbranch_execz .LBB78_46
.LBB78_63:                              ;   in Loop: Header=BB78_19 Depth=1
	v_cvt_f32_i32_e32 v6, v24
	s_waitcnt vmcnt(5)
	v_cvt_f32_f16_e32 v7, v43
	v_add_f32_e32 v6, v16, v6
	v_add_f32_e32 v6, v6, v7
	v_cvt_f16_f32_e32 v8, v6
	v_add_u32_e32 v6, 2, v0
	v_mov_b32_e32 v7, v1
	v_lshl_add_u64 v[6:7], v[6:7], 1, s[18:19]
	global_store_short v[6:7], v8, off
	s_or_b64 exec, exec, s[34:35]
	s_and_saveexec_b64 s[34:35], s[8:9]
	s_cbranch_execz .LBB78_47
.LBB78_64:                              ;   in Loop: Header=BB78_19 Depth=1
	v_cvt_f32_i32_e32 v6, v19
	s_waitcnt vmcnt(4)
	v_cvt_f32_f16_e32 v7, v33
	v_add_f32_e32 v6, v17, v6
	v_add_f32_e32 v6, v6, v7
	v_cvt_f16_f32_e32 v8, v6
	v_add_u32_e32 v6, 3, v0
	v_mov_b32_e32 v7, v1
	v_lshl_add_u64 v[6:7], v[6:7], 1, s[18:19]
	global_store_short v[6:7], v8, off
	s_or_b64 exec, exec, s[34:35]
	v_add_u32_e32 v0, s15, v0
	s_and_saveexec_b64 s[34:35], vcc
	s_cbranch_execz .LBB78_48
.LBB78_65:                              ;   in Loop: Header=BB78_19 Depth=1
	v_cvt_f32_i32_e32 v6, v29
	s_waitcnt vmcnt(3)
	v_cvt_f32_f16_e32 v7, v42
	v_add_f32_e32 v6, v27, v6
	v_add_f32_e32 v6, v6, v7
	v_cvt_f16_f32_e32 v8, v6
	v_lshl_add_u64 v[6:7], v[0:1], 1, s[18:19]
	global_store_short v[6:7], v8, off
	s_or_b64 exec, exec, s[34:35]
	s_and_saveexec_b64 s[34:35], s[4:5]
	s_cbranch_execz .LBB78_49
.LBB78_66:                              ;   in Loop: Header=BB78_19 Depth=1
	v_cvt_f32_i32_e32 v6, v28
	s_waitcnt vmcnt(2)
	v_cvt_f32_f16_e32 v7, v32
	v_add_f32_e32 v6, v26, v6
	v_add_f32_e32 v6, v6, v7
	v_cvt_f16_f32_e32 v8, v6
	v_add_u32_e32 v6, 1, v0
	v_mov_b32_e32 v7, v1
	v_lshl_add_u64 v[6:7], v[6:7], 1, s[18:19]
	global_store_short v[6:7], v8, off
	s_or_b64 exec, exec, s[34:35]
	s_and_saveexec_b64 s[4:5], s[6:7]
	s_cbranch_execz .LBB78_50
.LBB78_67:                              ;   in Loop: Header=BB78_19 Depth=1
	v_cvt_f32_i32_e32 v6, v25
	s_waitcnt vmcnt(1)
	v_cvt_f32_f16_e32 v7, v31
	v_add_f32_e32 v6, v23, v6
	v_add_f32_e32 v6, v6, v7
	v_cvt_f16_f32_e32 v8, v6
	v_add_u32_e32 v6, 2, v0
	v_mov_b32_e32 v7, v1
	v_lshl_add_u64 v[6:7], v[6:7], 1, s[18:19]
	global_store_short v[6:7], v8, off
	s_or_b64 exec, exec, s[4:5]
	s_and_b64 exec, exec, s[8:9]
	s_cbranch_execnz .LBB78_51
	s_branch .LBB78_52
.LBB78_68:
	s_endpgm
	.section	.rodata,"a",@progbits
	.p2align	6, 0x0
	.amdhsa_kernel _Z12wvSplitK_hf_I6__halfLi32ELi4ELi16ELi8ELi1ELi3EEviiiiiiPKT_S3_S3_PS1_ii
		.amdhsa_group_segment_fixed_size 65536
		.amdhsa_private_segment_fixed_size 0
		.amdhsa_kernarg_size 64
		.amdhsa_user_sgpr_count 2
		.amdhsa_user_sgpr_dispatch_ptr 0
		.amdhsa_user_sgpr_queue_ptr 0
		.amdhsa_user_sgpr_kernarg_segment_ptr 1
		.amdhsa_user_sgpr_dispatch_id 0
		.amdhsa_user_sgpr_kernarg_preload_length 0
		.amdhsa_user_sgpr_kernarg_preload_offset 0
		.amdhsa_user_sgpr_private_segment_size 0
		.amdhsa_uses_dynamic_stack 0
		.amdhsa_enable_private_segment 0
		.amdhsa_system_sgpr_workgroup_id_x 1
		.amdhsa_system_sgpr_workgroup_id_y 0
		.amdhsa_system_sgpr_workgroup_id_z 0
		.amdhsa_system_sgpr_workgroup_info 0
		.amdhsa_system_vgpr_workitem_id 1
		.amdhsa_next_free_vgpr 68
		.amdhsa_next_free_sgpr 42
		.amdhsa_accum_offset 68
		.amdhsa_reserve_vcc 1
		.amdhsa_float_round_mode_32 0
		.amdhsa_float_round_mode_16_64 0
		.amdhsa_float_denorm_mode_32 3
		.amdhsa_float_denorm_mode_16_64 3
		.amdhsa_dx10_clamp 1
		.amdhsa_ieee_mode 1
		.amdhsa_fp16_overflow 0
		.amdhsa_tg_split 0
		.amdhsa_exception_fp_ieee_invalid_op 0
		.amdhsa_exception_fp_denorm_src 0
		.amdhsa_exception_fp_ieee_div_zero 0
		.amdhsa_exception_fp_ieee_overflow 0
		.amdhsa_exception_fp_ieee_underflow 0
		.amdhsa_exception_fp_ieee_inexact 0
		.amdhsa_exception_int_div_zero 0
	.end_amdhsa_kernel
	.section	.text._Z12wvSplitK_hf_I6__halfLi32ELi4ELi16ELi8ELi1ELi3EEviiiiiiPKT_S3_S3_PS1_ii,"axG",@progbits,_Z12wvSplitK_hf_I6__halfLi32ELi4ELi16ELi8ELi1ELi3EEviiiiiiPKT_S3_S3_PS1_ii,comdat
.Lfunc_end78:
	.size	_Z12wvSplitK_hf_I6__halfLi32ELi4ELi16ELi8ELi1ELi3EEviiiiiiPKT_S3_S3_PS1_ii, .Lfunc_end78-_Z12wvSplitK_hf_I6__halfLi32ELi4ELi16ELi8ELi1ELi3EEviiiiiiPKT_S3_S3_PS1_ii
                                        ; -- End function
	.section	.AMDGPU.csdata,"",@progbits
; Kernel info:
; codeLenInByte = 4704
; NumSgprs: 48
; NumVgprs: 68
; NumAgprs: 0
; TotalNumVgprs: 68
; ScratchSize: 0
; MemoryBound: 1
; FloatMode: 240
; IeeeMode: 1
; LDSByteSize: 65536 bytes/workgroup (compile time only)
; SGPRBlocks: 5
; VGPRBlocks: 8
; NumSGPRsForWavesPerEU: 48
; NumVGPRsForWavesPerEU: 68
; AccumOffset: 68
; Occupancy: 2
; WaveLimiterHint : 0
; COMPUTE_PGM_RSRC2:SCRATCH_EN: 0
; COMPUTE_PGM_RSRC2:USER_SGPR: 2
; COMPUTE_PGM_RSRC2:TRAP_HANDLER: 0
; COMPUTE_PGM_RSRC2:TGID_X_EN: 1
; COMPUTE_PGM_RSRC2:TGID_Y_EN: 0
; COMPUTE_PGM_RSRC2:TGID_Z_EN: 0
; COMPUTE_PGM_RSRC2:TIDIG_COMP_CNT: 1
; COMPUTE_PGM_RSRC3_GFX90A:ACCUM_OFFSET: 16
; COMPUTE_PGM_RSRC3_GFX90A:TG_SPLIT: 0
	.section	.text._Z16wvSplitK_hf_big_I6__halfLi32ELi4ELi16ELi8ELi1ELi3EEviiiiiiPKT_S3_S3_PS1_ii,"axG",@progbits,_Z16wvSplitK_hf_big_I6__halfLi32ELi4ELi16ELi8ELi1ELi3EEviiiiiiPKT_S3_S3_PS1_ii,comdat
	.protected	_Z16wvSplitK_hf_big_I6__halfLi32ELi4ELi16ELi8ELi1ELi3EEviiiiiiPKT_S3_S3_PS1_ii ; -- Begin function _Z16wvSplitK_hf_big_I6__halfLi32ELi4ELi16ELi8ELi1ELi3EEviiiiiiPKT_S3_S3_PS1_ii
	.globl	_Z16wvSplitK_hf_big_I6__halfLi32ELi4ELi16ELi8ELi1ELi3EEviiiiiiPKT_S3_S3_PS1_ii
	.p2align	8
	.type	_Z16wvSplitK_hf_big_I6__halfLi32ELi4ELi16ELi8ELi1ELi3EEviiiiiiPKT_S3_S3_PS1_ii,@function
_Z16wvSplitK_hf_big_I6__halfLi32ELi4ELi16ELi8ELi1ELi3EEviiiiiiPKT_S3_S3_PS1_ii: ; @_Z16wvSplitK_hf_big_I6__halfLi32ELi4ELi16ELi8ELi1ELi3EEviiiiiiPKT_S3_S3_PS1_ii
; %bb.0:
	s_load_dwordx2 s[8:9], s[0:1], 0x38
	v_bfe_u32 v7, v0, 10, 10
	s_waitcnt lgkmcnt(0)
	v_cmp_gt_u32_e32 vcc, s8, v7
	s_and_saveexec_b64 s[4:5], vcc
	s_cbranch_execz .LBB79_62
; %bb.1:
	s_load_dwordx4 s[20:23], s[0:1], 0x0
	s_mul_i32 s2, s2, s8
	v_add_lshl_u32 v34, s2, v7, 2
	s_mov_b32 s4, 1
	v_add_u32_e32 v1, 4, v34
	s_mov_b32 s5, s4
	s_waitcnt lgkmcnt(0)
	v_cmp_gt_u32_e32 vcc, s23, v34
	v_cmp_le_u32_e64 s[2:3], s23, v1
	s_mov_b32 s6, s4
	s_mov_b32 s7, s4
	v_mov_b64_e32 v[2:3], s[4:5]
	s_and_b64 s[10:11], vcc, s[2:3]
	v_mov_b64_e32 v[4:5], s[6:7]
	s_and_saveexec_b64 s[2:3], s[10:11]
	s_cbranch_execz .LBB79_7
; %bb.2:
	s_add_i32 s16, s23, -4
	v_mov_b64_e32 v[2:3], s[4:5]
	v_cmp_ne_u32_e32 vcc, s16, v34
	v_mov_b64_e32 v[4:5], s[6:7]
	s_and_saveexec_b64 s[10:11], vcc
	s_cbranch_execz .LBB79_6
; %bb.3:
	v_subrev_u32_e32 v1, s16, v34
	v_cmp_lt_u32_e32 vcc, 1, v1
	s_mov_b64 s[12:13], 0
	s_mov_b64 s[14:15], 0
	v_cndmask_b32_e32 v6, 1, v1, vcc
	s_mov_b32 s5, s4
	s_mov_b32 s6, s4
	;; [unrolled: 1-line block ×3, first 2 shown]
.LBB79_4:                               ; =>This Inner Loop Header: Depth=1
	s_cmp_lg_u32 s14, 3
	s_cselect_b32 s7, s7, 0
	s_cmp_lg_u32 s14, 2
	s_cselect_b32 s6, s6, 0
	;; [unrolled: 2-line block ×4, first 2 shown]
	s_add_u32 s14, s14, 1
	s_addc_u32 s15, s15, 0
	v_cmp_eq_u32_e32 vcc, s14, v6
	v_mov_b64_e32 v[2:3], s[4:5]
	s_or_b64 s[12:13], vcc, s[12:13]
	v_mov_b64_e32 v[4:5], s[6:7]
	s_andn2_b64 exec, exec, s[12:13]
	s_cbranch_execnz .LBB79_4
; %bb.5:
	s_or_b64 exec, exec, s[12:13]
	v_mov_b32_e32 v34, s16
.LBB79_6:
	s_or_b64 exec, exec, s[10:11]
.LBB79_7:
	s_or_b64 exec, exec, s[2:3]
	s_lshl_b32 s2, s8, 2
	s_abs_i32 s3, s2
	v_cvt_f32_u32_e32 v1, s3
	s_sub_i32 s6, 0, s3
	s_abs_i32 s5, s23
	s_ashr_i32 s4, s23, 31
	v_rcp_iflag_f32_e32 v1, v1
	s_nop 0
	v_mul_f32_e32 v1, 0x4f7ffffe, v1
	v_cvt_u32_f32_e32 v1, v1
	s_nop 0
	v_readfirstlane_b32 s7, v1
	s_mul_i32 s6, s6, s7
	s_mul_hi_u32 s6, s7, s6
	s_add_i32 s7, s7, s6
	s_mul_hi_u32 s6, s5, s7
	s_mul_i32 s6, s6, s3
	s_sub_i32 s5, s5, s6
	s_sub_i32 s6, s5, s3
	s_cmp_ge_u32 s5, s3
	s_cselect_b32 s5, s6, s5
	s_sub_i32 s6, s5, s3
	s_cmp_ge_u32 s5, s3
	s_cselect_b32 s3, s6, s5
	s_xor_b32 s3, s3, s4
	s_sub_i32 s3, s3, s4
	s_add_i32 s2, s2, s23
	s_sub_i32 s2, s2, s3
	s_cmp_eq_u32 s3, 0
	s_cselect_b32 s33, s23, s2
	v_cmp_gt_u32_e32 vcc, s33, v34
	s_and_b64 exec, exec, vcc
	s_cbranch_execz .LBB79_62
; %bb.8:
	s_load_dwordx8 s[12:19], s[0:1], 0x10
	s_min_u32 s40, s22, 0x2a00
	s_cmp_lg_u32 s20, 0
	s_load_dwordx2 s[24:25], s[0:1], 0x30
	s_cselect_b64 s[2:3], -1, 0
	s_cmp_lg_u32 s22, 0
	s_mul_i32 s0, s9, s8
	s_cselect_b64 s[4:5], -1, 0
	s_lshl_b32 s41, s8, 8
	s_add_i32 s42, s20, -8
	s_add_i32 s43, s23, -1
	s_lshl_b32 s44, s0, 2
	s_waitcnt lgkmcnt(0)
	s_cmp_lg_u64 s[18:19], 0
	s_cselect_b64 s[28:29], -1, 0
	s_abs_i32 s6, s13
	v_cvt_f32_u32_e32 v1, s12
	v_cvt_f32_u32_e32 v6, s6
	s_sub_i32 s7, 0, s12
	s_add_i32 s13, s23, -4
	v_rcp_iflag_f32_e32 v1, v1
	v_rcp_iflag_f32_e32 v6, v6
	v_and_b32_e32 v0, 0x3ff, v0
	v_lshlrev_b32_e32 v44, 3, v0
	v_mul_f32_e32 v1, 0x4f7ffffe, v1
	v_mul_f32_e32 v6, 0x4f7ffffe, v6
	v_cvt_u32_f32_e32 v1, v1
	v_cvt_u32_f32_e32 v6, v6
	v_cmp_eq_u32_e64 s[0:1], 31, v0
	v_lshlrev_b32_e32 v0, 4, v0
	v_mul_lo_u32 v8, s7, v1
	s_sub_i32 s7, 0, s6
	v_readfirstlane_b32 s9, v6
	s_mul_i32 s7, s7, s9
	s_mul_hi_u32 s7, s9, s7
	s_add_i32 s9, s9, s7
	s_sub_i32 s7, 1, s6
	s_cmp_lt_u32 s6, 2
	s_cselect_b32 s7, s7, 1
	s_sub_i32 s10, s7, s6
	s_cmp_ge_u32 s7, s6
	s_cselect_b32 s45, s10, s7
	s_lshr_b32 s7, s9, 31
	s_mul_i32 s7, s7, s6
	s_sub_i32 s7, 2, s7
	s_sub_i32 s9, s7, s6
	s_cmp_ge_u32 s7, s6
	s_cselect_b32 s7, s9, s7
	s_sub_i32 s9, s7, s6
	s_cmp_ge_u32 s7, s6
	v_lshl_add_u32 v46, v7, 9, v0
	v_cndmask_b32_e64 v0, 0, 1, s[2:3]
	v_mul_hi_u32 v8, v1, v8
	s_cselect_b32 s46, s9, s7
	s_add_u32 s30, s24, 2
	v_lshl_add_u32 v47, v7, 8, v44
	v_cmp_ne_u32_e64 s[2:3], 1, v0
	v_cndmask_b32_e64 v0, 0, 1, s[4:5]
	s_mov_b64 s[26:27], 0
	v_add_u32_e32 v45, v1, v8
	v_mov_b32_e32 v1, 0
	s_mul_i32 s45, s45, s12
	s_mul_i32 s46, s46, s12
	s_addc_u32 s31, s25, 0
	s_lshl_b32 s47, s40, 2
	s_lshl_b32 s48, s8, 9
	;; [unrolled: 1-line block ×3, first 2 shown]
	v_lshl_add_u32 v48, s22, 1, v47
	v_add_u32_e32 v49, s22, v47
	v_cmp_ne_u32_e64 s[4:5], 1, v0
	s_branch .LBB79_12
.LBB79_9:                               ;   in Loop: Header=BB79_12 Depth=1
	s_or_b64 exec, exec, s[10:11]
	v_mov_b32_e32 v34, s13
.LBB79_10:                              ;   in Loop: Header=BB79_12 Depth=1
	s_or_b64 exec, exec, s[8:9]
.LBB79_11:                              ;   in Loop: Header=BB79_12 Depth=1
	s_or_b64 exec, exec, s[34:35]
	v_cmp_le_u32_e32 vcc, s33, v34
	s_or_b64 s[26:27], vcc, s[26:27]
	s_andn2_b64 exec, exec, s[26:27]
	s_cbranch_execz .LBB79_62
.LBB79_12:                              ; =>This Loop Header: Depth=1
                                        ;     Child Loop BB79_16 Depth 2
                                        ;       Child Loop BB79_21 Depth 3
                                        ;     Child Loop BB79_49 Depth 2
	s_mov_b32 s36, 0
	s_and_b64 vcc, exec, s[2:3]
	v_mov_b32_e32 v60, v1
	v_mov_b32_e32 v59, v1
	;; [unrolled: 1-line block ×4, first 2 shown]
	s_waitcnt vmcnt(11)
	v_mov_b32_e32 v35, v1
	s_waitcnt vmcnt(10)
	v_mov_b32_e32 v50, v1
	v_mov_b32_e32 v51, v1
	;; [unrolled: 1-line block ×7, first 2 shown]
	s_cbranch_vccnz .LBB79_27
; %bb.13:                               ;   in Loop: Header=BB79_12 Depth=1
	v_min_u32_e32 v0, s43, v34
	s_waitcnt vmcnt(2)
	v_mul_lo_u32 v36, v0, s21
	v_add_u32_e32 v0, 1, v34
	v_min_u32_e32 v0, s43, v0
	v_mul_lo_u32 v38, v0, s21
	v_add_u32_e32 v0, 2, v34
	v_min_u32_e32 v0, s43, v0
	;; [unrolled: 3-line block ×3, first 2 shown]
	v_cmp_gt_u32_e64 s[6:7], s23, v34
	v_mov_b32_e32 v37, v1
	v_mov_b32_e32 v39, v1
	;; [unrolled: 1-line block ×3, first 2 shown]
	v_mul_lo_u32 v42, v0, s21
	v_mov_b32_e32 v43, v1
	v_mov_b32_e32 v56, 0
	v_mov_b32_e32 v55, 0
	v_mov_b32_e32 v54, 0
	v_mov_b32_e32 v53, 0
	v_mov_b32_e32 v52, 0
	v_mov_b32_e32 v51, 0
	v_mov_b32_e32 v50, 0
	v_mov_b32_e32 v35, 0
	v_mov_b32_e32 v57, 0
	v_mov_b32_e32 v58, 0
	v_mov_b32_e32 v59, 0
	v_mov_b32_e32 v60, 0
	s_mov_b32 s37, 0
	s_branch .LBB79_16
.LBB79_14:                              ;   in Loop: Header=BB79_16 Depth=2
	s_or_b64 exec, exec, s[10:11]
	s_waitcnt vmcnt(3) lgkmcnt(2)
	;;#ASMSTART
	v_dot2c_f32_f16 v60, v30, v22
	;;#ASMEND
	s_waitcnt vmcnt(2)
	;;#ASMSTART
	v_dot2c_f32_f16 v59, v30, v14
	;;#ASMEND
	s_waitcnt vmcnt(1)
	;; [unrolled: 4-line block ×3, first 2 shown]
	;;#ASMSTART
	v_dot2c_f32_f16 v57, v30, v6
	;;#ASMEND
	s_waitcnt lgkmcnt(1)
	;;#ASMSTART
	v_dot2c_f32_f16 v56, v26, v22
	;;#ASMEND
	;;#ASMSTART
	v_dot2c_f32_f16 v55, v26, v14
	;;#ASMEND
	;; [unrolled: 3-line block ×4, first 2 shown]
	s_waitcnt lgkmcnt(0)
	;;#ASMSTART
	v_dot2c_f32_f16 v52, v18, v22
	;;#ASMEND
	;;#ASMSTART
	v_dot2c_f32_f16 v51, v18, v14
	;;#ASMEND
	;;#ASMSTART
	v_dot2c_f32_f16 v50, v18, v10
	;;#ASMEND
	;;#ASMSTART
	v_dot2c_f32_f16 v35, v18, v6
	;;#ASMEND
	;;#ASMSTART
	v_dot2c_f32_f16 v60, v31, v23
	;;#ASMEND
	;;#ASMSTART
	v_dot2c_f32_f16 v59, v31, v15
	;;#ASMEND
	;;#ASMSTART
	v_dot2c_f32_f16 v58, v31, v11
	;;#ASMEND
	;;#ASMSTART
	v_dot2c_f32_f16 v57, v31, v7
	;;#ASMEND
	;;#ASMSTART
	v_dot2c_f32_f16 v56, v27, v23
	;;#ASMEND
	;;#ASMSTART
	v_dot2c_f32_f16 v55, v27, v15
	;;#ASMEND
	;;#ASMSTART
	v_dot2c_f32_f16 v54, v27, v11
	;;#ASMEND
	;;#ASMSTART
	v_dot2c_f32_f16 v53, v27, v7
	;;#ASMEND
	s_nop 0
	;;#ASMSTART
	v_dot2c_f32_f16 v52, v19, v23
	;;#ASMEND
	;;#ASMSTART
	v_dot2c_f32_f16 v51, v19, v15
	;;#ASMEND
	;;#ASMSTART
	v_dot2c_f32_f16 v50, v19, v11
	;;#ASMEND
	;;#ASMSTART
	v_dot2c_f32_f16 v35, v19, v7
	;;#ASMEND
	;;#ASMSTART
	v_dot2c_f32_f16 v60, v32, v24
	;;#ASMEND
	;;#ASMSTART
	v_dot2c_f32_f16 v59, v32, v16
	;;#ASMEND
	;;#ASMSTART
	v_dot2c_f32_f16 v58, v32, v12
	;;#ASMEND
	;;#ASMSTART
	v_dot2c_f32_f16 v57, v32, v8
	;;#ASMEND
	;;#ASMSTART
	v_dot2c_f32_f16 v56, v28, v24
	;;#ASMEND
	;;#ASMSTART
	v_dot2c_f32_f16 v55, v28, v16
	;;#ASMEND
	;;#ASMSTART
	v_dot2c_f32_f16 v54, v28, v12
	;;#ASMEND
	;;#ASMSTART
	v_dot2c_f32_f16 v53, v28, v8
	;;#ASMEND
	s_nop 0
	;; [unrolled: 37-line block ×3, first 2 shown]
	;;#ASMSTART
	v_dot2c_f32_f16 v52, v21, v25
	;;#ASMEND
	;;#ASMSTART
	v_dot2c_f32_f16 v51, v21, v17
	;;#ASMEND
	;; [unrolled: 3-line block ×4, first 2 shown]
.LBB79_15:                              ;   in Loop: Header=BB79_16 Depth=2
	s_or_b64 exec, exec, s[8:9]
	s_addk_i32 s37, 0x100
	s_cmp_ge_u32 s37, s20
	s_cbranch_scc1 .LBB79_27
.LBB79_16:                              ;   Parent Loop BB79_12 Depth=1
                                        ; =>  This Loop Header: Depth=2
                                        ;       Child Loop BB79_21 Depth 3
	s_cmp_eq_u32 s37, 0
	s_cselect_b64 s[8:9], -1, 0
	s_add_i32 s10, s36, s40
	s_cmp_eq_u32 s37, s10
	s_cselect_b64 s[34:35], -1, 0
	s_or_b64 s[34:35], s[8:9], s[34:35]
	s_andn2_b64 vcc, exec, s[34:35]
	s_cbranch_vccz .LBB79_18
; %bb.17:                               ;   in Loop: Header=BB79_16 Depth=2
	s_and_saveexec_b64 s[8:9], s[6:7]
	s_cbranch_execz .LBB79_15
	s_branch .LBB79_25
.LBB79_18:                              ;   in Loop: Header=BB79_16 Depth=2
	s_and_b64 s[8:9], s[8:9], exec
	s_cselect_b32 s36, s36, s10
	s_and_b64 vcc, exec, s[4:5]
	s_barrier
	s_cbranch_vccnz .LBB79_24
; %bb.19:                               ;   in Loop: Header=BB79_16 Depth=2
	v_add_u32_e32 v6, s36, v48
	v_add_u32_e32 v7, s36, v49
	;; [unrolled: 1-line block ×3, first 2 shown]
	s_mov_b32 s38, 0
	s_mov_b64 s[10:11], 0
	v_mov_b32_e32 v9, v46
                                        ; implicit-def: $sgpr34_sgpr35
	s_branch .LBB79_21
.LBB79_20:                              ;   in Loop: Header=BB79_21 Depth=3
	s_or_b64 exec, exec, s[8:9]
	s_and_b64 s[8:9], exec, s[34:35]
	s_or_b64 s[10:11], s[8:9], s[10:11]
	s_andn2_b64 exec, exec, s[10:11]
	s_cbranch_execz .LBB79_23
.LBB79_21:                              ;   Parent Loop BB79_12 Depth=1
                                        ;     Parent Loop BB79_16 Depth=2
                                        ; =>    This Inner Loop Header: Depth=3
	v_add_u32_e32 v10, s38, v47
	v_add_u32_e32 v0, s38, v8
	v_cmp_gt_u32_e32 vcc, s22, v0
	v_cmp_gt_u32_e64 s[8:9], s40, v10
	s_and_b64 s[50:51], s[8:9], vcc
	s_or_b64 s[34:35], s[34:35], exec
	s_and_saveexec_b64 s[8:9], s[50:51]
	s_cbranch_execz .LBB79_20
; %bb.22:                               ;   in Loop: Header=BB79_21 Depth=3
	v_lshl_add_u64 v[18:19], v[0:1], 1, s[16:17]
	v_add_u32_e32 v0, s38, v7
	v_lshl_add_u64 v[20:21], v[0:1], 1, s[16:17]
	v_add_u32_e32 v0, s38, v6
	global_load_dwordx4 v[10:13], v[18:19], off
	global_load_dwordx4 v[14:17], v[20:21], off
	v_lshl_add_u64 v[18:19], v[0:1], 1, s[16:17]
	global_load_dwordx4 v[18:21], v[18:19], off
	s_add_i32 s38, s38, s41
	s_cmp_ge_u32 s38, s40
	s_cselect_b64 s[50:51], -1, 0
	s_andn2_b64 s[34:35], s[34:35], exec
	s_and_b64 s[50:51], s[50:51], exec
	v_add_u32_e32 v0, s49, v9
	v_add_u32_e32 v22, s47, v9
	s_or_b64 s[34:35], s[34:35], s[50:51]
	s_waitcnt vmcnt(2)
	ds_write_b128 v9, v[10:13]
	v_add_u32_e32 v9, s48, v9
	s_waitcnt vmcnt(1)
	ds_write2_b64 v0, v[14:15], v[16:17] offset1:1
	s_waitcnt vmcnt(0)
	ds_write2_b32 v22, v18, v19 offset1:1
	ds_write2_b32 v22, v20, v21 offset0:2 offset1:3
	s_branch .LBB79_20
.LBB79_23:                              ;   in Loop: Header=BB79_16 Depth=2
	s_or_b64 exec, exec, s[10:11]
.LBB79_24:                              ;   in Loop: Header=BB79_16 Depth=2
	s_waitcnt lgkmcnt(0)
	s_barrier
	s_and_saveexec_b64 s[8:9], s[6:7]
	s_cbranch_execz .LBB79_15
.LBB79_25:                              ;   in Loop: Header=BB79_16 Depth=2
	v_add_u32_e32 v61, s37, v44
	v_min_u32_e32 v0, s42, v61
	v_lshl_add_u64 v[6:7], v[0:1], 1, s[14:15]
	v_lshl_add_u64 v[8:9], v[36:37], 1, v[6:7]
	;; [unrolled: 1-line block ×4, first 2 shown]
	global_load_dwordx4 v[22:25], v[8:9], off nt
	global_load_dwordx4 v[14:17], v[10:11], off nt
	v_lshl_add_u64 v[20:21], v[42:43], 1, v[6:7]
	global_load_dwordx4 v[10:13], v[18:19], off nt
	global_load_dwordx4 v[6:9], v[20:21], off nt
	v_cmp_gt_u32_e32 vcc, s20, v61
	v_mov_b32_e32 v30, 0
	v_mov_b32_e32 v31, 0
	s_waitcnt vmcnt(4)
	v_mov_b32_e32 v32, 0
	v_mov_b32_e32 v33, 0
	;; [unrolled: 1-line block ×10, first 2 shown]
	s_and_saveexec_b64 s[10:11], vcc
	s_cbranch_execz .LBB79_14
; %bb.26:                               ;   in Loop: Header=BB79_16 Depth=2
	v_subrev_u32_e32 v0, s36, v61
	v_lshlrev_b32_e32 v0, 1, v0
	v_add_u32_e32 v18, s49, v0
	ds_read_b128 v[30:33], v0
	ds_read_b128 v[26:29], v18
	v_add_u32_e32 v0, s49, v18
	ds_read_b128 v[18:21], v0
	s_branch .LBB79_14
.LBB79_27:                              ;   in Loop: Header=BB79_12 Depth=1
	v_cmp_le_u32_e32 vcc, s23, v34
	s_and_saveexec_b64 s[6:7], vcc
	s_xor_b64 s[6:7], exec, s[6:7]
; %bb.28:                               ;   in Loop: Header=BB79_12 Depth=1
	v_add_u32_e32 v34, s44, v34
                                        ; implicit-def: $vgpr60
                                        ; implicit-def: $vgpr59
                                        ; implicit-def: $vgpr58
                                        ; implicit-def: $vgpr57
                                        ; implicit-def: $vgpr35
                                        ; implicit-def: $vgpr50
                                        ; implicit-def: $vgpr51
                                        ; implicit-def: $vgpr52
                                        ; implicit-def: $vgpr53
                                        ; implicit-def: $vgpr54
                                        ; implicit-def: $vgpr55
                                        ; implicit-def: $vgpr56
; %bb.29:                               ;   in Loop: Header=BB79_12 Depth=1
	s_andn2_saveexec_b64 s[34:35], s[6:7]
	s_cbranch_execz .LBB79_11
; %bb.30:                               ;   in Loop: Header=BB79_12 Depth=1
	v_cvt_i32_f32_e32 v0, v60
	v_cvt_i32_f32_e32 v6, v59
	;; [unrolled: 1-line block ×4, first 2 shown]
	v_cvt_f32_i32_dpp v0, v0 row_shr:8 row_mask:0xf bank_mask:0xf bound_ctrl:1
	v_cvt_f32_i32_dpp v6, v6 row_shr:8 row_mask:0xf bank_mask:0xf bound_ctrl:1
	;; [unrolled: 1-line block ×4, first 2 shown]
	v_add_f32_e32 v0, v60, v0
	v_cvt_i32_f32_e32 v9, v0
	v_add_f32_e32 v6, v59, v6
	v_cvt_i32_f32_e32 v11, v6
	v_add_f32_e32 v7, v58, v7
	v_cvt_f32_i32_dpp v9, v9 row_shr:4 row_mask:0xf bank_mask:0xf bound_ctrl:1
	v_cvt_i32_f32_e32 v12, v7
	v_cvt_f32_i32_dpp v11, v11 row_shr:4 row_mask:0xf bank_mask:0xf bound_ctrl:1
	v_add_f32_e32 v8, v57, v8
	v_add_f32_e32 v0, v0, v9
	v_cvt_i32_f32_e32 v9, v0
	v_add_f32_e32 v6, v6, v11
	v_cvt_i32_f32_e32 v11, v6
	v_cvt_f32_i32_dpp v12, v12 row_shr:4 row_mask:0xf bank_mask:0xf bound_ctrl:1
	v_cvt_f32_i32_dpp v9, v9 row_shr:2 row_mask:0xf bank_mask:0xf bound_ctrl:1
	v_cvt_i32_f32_e32 v13, v8
	v_cvt_f32_i32_dpp v11, v11 row_shr:2 row_mask:0xf bank_mask:0xf bound_ctrl:1
	v_add_f32_e32 v7, v7, v12
	v_add_f32_e32 v0, v0, v9
	v_cvt_i32_f32_e32 v9, v0
	v_add_f32_e32 v6, v6, v11
	v_cvt_i32_f32_e32 v11, v6
	v_cvt_i32_f32_e32 v12, v7
	v_cvt_f32_i32_dpp v9, v9 row_shr:1 row_mask:0xf bank_mask:0xf bound_ctrl:1
	v_cvt_f32_i32_dpp v13, v13 row_shr:4 row_mask:0xf bank_mask:0xf bound_ctrl:1
	;; [unrolled: 1-line block ×4, first 2 shown]
	v_add_f32_e32 v0, v0, v9
	v_cvt_i32_f32_e32 v9, v0
	v_add_f32_e32 v6, v6, v11
	v_cvt_i32_f32_e32 v11, v6
	v_cvt_i32_f32_e32 v10, v56
	v_cvt_f32_i32_dpp v9, v9 row_bcast:15 row_mask:0xf bank_mask:0xf bound_ctrl:1
	v_add_f32_e32 v7, v7, v12
	v_cvt_f32_i32_dpp v14, v11 row_bcast:15 row_mask:0xf bank_mask:0xf bound_ctrl:1
	v_add_f32_e32 v8, v8, v13
	v_add_f32_e32 v11, v0, v9
	v_cvt_i32_f32_e32 v0, v11
	v_cvt_i32_f32_e32 v12, v7
	v_cvt_f32_i32_dpp v10, v10 row_shr:8 row_mask:0xf bank_mask:0xf bound_ctrl:1
	v_add_f32_e32 v9, v6, v14
	v_mov_b32_dpp v13, v0 row_bcast:31 row_mask:0xf bank_mask:0xf bound_ctrl:1
	v_cvt_i32_f32_e32 v0, v8
	v_cvt_f32_i32_dpp v12, v12 row_shr:1 row_mask:0xf bank_mask:0xf bound_ctrl:1
	v_add_f32_e32 v10, v56, v10
	v_cvt_i32_f32_e32 v14, v10
	v_cvt_f32_i32_dpp v0, v0 row_shr:2 row_mask:0xf bank_mask:0xf bound_ctrl:1
	v_add_f32_e32 v7, v7, v12
	v_cvt_i32_f32_e32 v6, v9
	v_cvt_i32_f32_e32 v12, v7
	v_add_f32_e32 v0, v8, v0
	v_cvt_i32_f32_e32 v8, v0
	v_cvt_f32_i32_dpp v14, v14 row_shr:4 row_mask:0xf bank_mask:0xf bound_ctrl:1
	v_cvt_f32_i32_dpp v15, v12 row_bcast:15 row_mask:0xf bank_mask:0xf bound_ctrl:1
	v_mov_b32_dpp v12, v6 row_bcast:31 row_mask:0xf bank_mask:0xf bound_ctrl:1
	v_cvt_f32_i32_dpp v6, v8 row_shr:1 row_mask:0xf bank_mask:0xf bound_ctrl:1
	v_add_f32_e32 v8, v10, v14
	v_cvt_i32_f32_e32 v10, v8
	v_add_f32_e32 v7, v7, v15
	v_add_f32_e32 v0, v0, v6
	v_cvt_i32_f32_e32 v6, v55
	v_cvt_f32_i32_dpp v10, v10 row_shr:2 row_mask:0xf bank_mask:0xf bound_ctrl:1
	v_cvt_i32_f32_e32 v14, v0
	v_cvt_i32_f32_e32 v15, v7
	v_cvt_f32_i32_dpp v6, v6 row_shr:8 row_mask:0xf bank_mask:0xf bound_ctrl:1
	v_add_f32_e32 v8, v8, v10
	v_cvt_f32_i32_dpp v16, v14 row_bcast:15 row_mask:0xf bank_mask:0xf bound_ctrl:1
	v_cvt_i32_f32_e32 v10, v8
	v_add_f32_e32 v6, v55, v6
	v_cvt_i32_f32_e32 v17, v6
	v_mov_b32_dpp v14, v15 row_bcast:31 row_mask:0xf bank_mask:0xf bound_ctrl:1
	v_cvt_f32_i32_dpp v15, v10 row_shr:1 row_mask:0xf bank_mask:0xf bound_ctrl:1
	v_add_f32_e32 v10, v0, v16
	v_cvt_f32_i32_dpp v0, v17 row_shr:4 row_mask:0xf bank_mask:0xf bound_ctrl:1
	v_cvt_i32_f32_e32 v16, v10
	v_add_f32_e32 v8, v8, v15
	v_cvt_i32_f32_e32 v15, v54
	v_add_f32_e32 v0, v6, v0
	v_cvt_i32_f32_e32 v6, v0
	v_cvt_i32_f32_e32 v17, v8
	v_cvt_f32_i32_dpp v18, v15 row_shr:8 row_mask:0xf bank_mask:0xf bound_ctrl:1
	v_mov_b32_dpp v15, v16 row_bcast:31 row_mask:0xf bank_mask:0xf bound_ctrl:1
	v_cvt_f32_i32_dpp v6, v6 row_shr:2 row_mask:0xf bank_mask:0xf bound_ctrl:1
	v_cvt_f32_i32_dpp v16, v17 row_bcast:15 row_mask:0xf bank_mask:0xf bound_ctrl:1
	v_add_f32_e32 v17, v54, v18
	v_cvt_i32_f32_e32 v18, v17
	v_add_f32_e32 v0, v0, v6
	v_cvt_i32_f32_e32 v6, v53
	v_cvt_i32_f32_e32 v19, v0
	v_cvt_f32_i32_dpp v18, v18 row_shr:4 row_mask:0xf bank_mask:0xf bound_ctrl:1
	v_add_f32_e32 v16, v8, v16
	v_cvt_f32_i32_dpp v6, v6 row_shr:8 row_mask:0xf bank_mask:0xf bound_ctrl:1
	v_cvt_f32_i32_dpp v8, v19 row_shr:1 row_mask:0xf bank_mask:0xf bound_ctrl:1
	v_add_f32_e32 v17, v17, v18
	v_cvt_i32_f32_e32 v18, v17
	v_add_f32_e32 v6, v53, v6
	v_cvt_i32_f32_e32 v19, v6
	v_add_f32_e32 v0, v0, v8
	v_cvt_f32_i32_dpp v18, v18 row_shr:2 row_mask:0xf bank_mask:0xf bound_ctrl:1
	v_cvt_i32_f32_e32 v20, v16
	v_cvt_f32_i32_dpp v8, v19 row_shr:4 row_mask:0xf bank_mask:0xf bound_ctrl:1
	v_cvt_i32_f32_e32 v19, v0
	v_add_f32_e32 v18, v17, v18
	v_cvt_i32_f32_e32 v17, v18
	v_add_f32_e32 v6, v6, v8
	v_cvt_i32_f32_e32 v8, v6
	v_cvt_f32_i32_dpp v19, v19 row_bcast:15 row_mask:0xf bank_mask:0xf bound_ctrl:1
	v_cvt_f32_i32_dpp v21, v17 row_shr:1 row_mask:0xf bank_mask:0xf bound_ctrl:1
	v_mov_b32_dpp v22, v20 row_bcast:31 row_mask:0xf bank_mask:0xf bound_ctrl:1
	v_cvt_f32_i32_dpp v8, v8 row_shr:2 row_mask:0xf bank_mask:0xf bound_ctrl:1
	v_add_f32_e32 v17, v0, v19
	v_add_f32_e32 v0, v18, v21
	v_cvt_i32_f32_e32 v18, v52
	v_add_f32_e32 v6, v6, v8
	v_cvt_i32_f32_e32 v8, v6
	v_cvt_i32_f32_e32 v19, v0
	v_cvt_f32_i32_dpp v18, v18 row_shr:8 row_mask:0xf bank_mask:0xf bound_ctrl:1
	v_cvt_i32_f32_e32 v20, v17
	v_cvt_f32_i32_dpp v8, v8 row_shr:1 row_mask:0xf bank_mask:0xf bound_ctrl:1
	v_cvt_f32_i32_dpp v19, v19 row_bcast:15 row_mask:0xf bank_mask:0xf bound_ctrl:1
	v_add_f32_e32 v21, v52, v18
	v_cvt_i32_f32_e32 v18, v21
	v_add_f32_e32 v6, v6, v8
	v_cvt_i32_f32_e32 v8, v6
	v_mov_b32_dpp v24, v20 row_bcast:31 row_mask:0xf bank_mask:0xf bound_ctrl:1
	v_cvt_f32_i32_dpp v20, v18 row_shr:4 row_mask:0xf bank_mask:0xf bound_ctrl:1
	v_add_f32_e32 v18, v0, v19
	v_cvt_f32_i32_dpp v0, v8 row_bcast:15 row_mask:0xf bank_mask:0xf bound_ctrl:1
	v_cvt_i32_f32_e32 v8, v51
	v_add_f32_e32 v20, v21, v20
	v_cvt_i32_f32_e32 v21, v20
	v_add_f32_e32 v19, v6, v0
	v_cvt_f32_i32_dpp v8, v8 row_shr:8 row_mask:0xf bank_mask:0xf bound_ctrl:1
	v_cvt_i32_f32_e32 v23, v18
	v_cvt_f32_i32_dpp v0, v21 row_shr:2 row_mask:0xf bank_mask:0xf bound_ctrl:1
	v_cvt_i32_f32_e32 v6, v19
	v_add_f32_e32 v8, v51, v8
	v_cvt_i32_f32_e32 v21, v8
	v_add_f32_e32 v0, v20, v0
	v_cvt_i32_f32_e32 v20, v0
	v_mov_b32_dpp v26, v23 row_bcast:31 row_mask:0xf bank_mask:0xf bound_ctrl:1
	v_cvt_f32_i32_dpp v23, v21 row_shr:4 row_mask:0xf bank_mask:0xf bound_ctrl:1
	v_mov_b32_dpp v21, v6 row_bcast:31 row_mask:0xf bank_mask:0xf bound_ctrl:1
	v_cvt_f32_i32_dpp v6, v20 row_shr:1 row_mask:0xf bank_mask:0xf bound_ctrl:1
	v_cvt_i32_f32_e32 v20, v50
	v_add_f32_e32 v8, v8, v23
	v_cvt_i32_f32_e32 v23, v35
	v_add_f32_e32 v0, v0, v6
	v_cvt_f32_i32_dpp v20, v20 row_shr:8 row_mask:0xf bank_mask:0xf bound_ctrl:1
	v_cvt_i32_f32_e32 v25, v8
	v_cvt_f32_i32_dpp v6, v23 row_shr:8 row_mask:0xf bank_mask:0xf bound_ctrl:1
	v_cvt_i32_f32_e32 v28, v0
	v_add_f32_e32 v20, v50, v20
	v_cvt_f32_i32_dpp v23, v25 row_shr:2 row_mask:0xf bank_mask:0xf bound_ctrl:1
	v_add_f32_e32 v6, v35, v6
	v_cvt_i32_f32_e32 v25, v20
	v_cvt_i32_f32_e32 v27, v6
	v_add_f32_e32 v8, v8, v23
	v_cvt_f32_i32_dpp v28, v28 row_bcast:15 row_mask:0xf bank_mask:0xf bound_ctrl:1
	v_cvt_f32_i32_dpp v25, v25 row_shr:4 row_mask:0xf bank_mask:0xf bound_ctrl:1
	v_cvt_f32_i32_dpp v23, v27 row_shr:4 row_mask:0xf bank_mask:0xf bound_ctrl:1
	v_cvt_i32_f32_e32 v27, v8
	v_add_f32_e32 v29, v0, v28
	v_add_f32_e32 v20, v20, v25
	;; [unrolled: 1-line block ×3, first 2 shown]
	v_cvt_i32_f32_e32 v25, v20
	v_cvt_i32_f32_e32 v23, v6
	v_cvt_f32_i32_dpp v27, v27 row_shr:1 row_mask:0xf bank_mask:0xf bound_ctrl:1
	v_cvt_f32_i32_dpp v25, v25 row_shr:2 row_mask:0xf bank_mask:0xf bound_ctrl:1
	;; [unrolled: 1-line block ×3, first 2 shown]
	v_add_f32_e32 v8, v8, v27
	v_cvt_i32_f32_e32 v27, v8
	v_add_f32_e32 v20, v20, v25
	v_add_f32_e32 v6, v6, v23
	v_cvt_i32_f32_e32 v25, v20
	v_cvt_i32_f32_e32 v23, v6
	s_nop 0
	v_cvt_f32_i32_dpp v25, v25 row_shr:1 row_mask:0xf bank_mask:0xf bound_ctrl:1
	v_cvt_f32_i32_dpp v0, v23 row_shr:1 row_mask:0xf bank_mask:0xf bound_ctrl:1
	v_cvt_f32_i32_dpp v23, v27 row_bcast:15 row_mask:0xf bank_mask:0xf bound_ctrl:1
	v_cvt_i32_f32_e32 v27, v29
	v_add_f32_e32 v20, v20, v25
	v_add_f32_e32 v0, v6, v0
	v_cvt_i32_f32_e32 v25, v20
	v_cvt_i32_f32_e32 v6, v0
	v_add_f32_e32 v28, v8, v23
	v_cvt_i32_f32_e32 v8, v28
	v_cvt_f32_i32_dpp v25, v25 row_bcast:15 row_mask:0xf bank_mask:0xf bound_ctrl:1
	v_cvt_f32_i32_dpp v6, v6 row_bcast:15 row_mask:0xf bank_mask:0xf bound_ctrl:1
	v_mov_b32_dpp v31, v27 row_bcast:31 row_mask:0xf bank_mask:0xf bound_ctrl:1
	v_mov_b32_dpp v30, v8 row_bcast:31 row_mask:0xf bank_mask:0xf bound_ctrl:1
	v_add_f32_e32 v25, v20, v25
	v_add_f32_e32 v20, v0, v6
	v_cvt_i32_f32_e32 v23, v25
	v_cvt_i32_f32_e32 v0, v20
	s_nop 0
	v_mov_b32_dpp v27, v23 row_bcast:31 row_mask:0xf bank_mask:0xf bound_ctrl:1
	v_mov_b32_dpp v23, v0 row_bcast:31 row_mask:0xf bank_mask:0xf bound_ctrl:1
	s_and_saveexec_b64 s[36:37], s[0:1]
	s_cbranch_execz .LBB79_46
; %bb.31:                               ;   in Loop: Header=BB79_12 Depth=1
	s_andn2_b64 vcc, exec, s[28:29]
	v_mov_b32_e32 v35, 0
	v_add_u32_e32 v8, 2, v34
	v_add_u32_e32 v6, 3, v34
	v_mov_b32_e32 v50, 0
	s_waitcnt vmcnt(9)
	v_mov_b32_e32 v43, 0
	s_waitcnt vmcnt(8)
	;; [unrolled: 2-line block ×10, first 2 shown]
	v_mov_b32_e32 v32, 0
	s_cbranch_vccnz .LBB79_33
; %bb.32:                               ;   in Loop: Header=BB79_12 Depth=1
	v_mul_hi_u32 v0, v34, v45
	v_mul_lo_u32 v0, v0, s12
	v_sub_u32_e32 v0, v34, v0
	v_add_u32_e32 v35, 1, v34
	v_subrev_u32_e32 v32, s12, v0
	v_cmp_le_u32_e32 vcc, s12, v0
	v_mul_hi_u32 v36, v35, v45
	v_mul_lo_u32 v36, v36, s12
	v_cndmask_b32_e32 v0, v0, v32, vcc
	v_subrev_u32_e32 v32, s12, v0
	v_cmp_le_u32_e32 vcc, s12, v0
	v_sub_u32_e32 v35, v35, v36
	v_subrev_u32_e32 v36, s12, v35
	v_cndmask_b32_e32 v0, v0, v32, vcc
	v_cmp_le_u32_e32 vcc, s12, v35
	v_mov_b32_e32 v37, v1
	v_add_u32_e32 v40, s45, v0
	v_cndmask_b32_e32 v35, v35, v36, vcc
	v_subrev_u32_e32 v36, s12, v35
	v_cmp_le_u32_e32 vcc, s12, v35
	v_mov_b32_e32 v41, v1
	v_lshl_add_u64 v[60:61], v[40:41], 1, s[18:19]
	v_cndmask_b32_e32 v36, v35, v36, vcc
	v_mul_hi_u32 v35, v8, v45
	v_mul_lo_u32 v35, v35, s12
	v_sub_u32_e32 v35, v8, v35
	v_lshl_add_u64 v[52:53], v[36:37], 1, s[18:19]
	v_subrev_u32_e32 v37, s12, v35
	v_cmp_le_u32_e32 vcc, s12, v35
	v_add_u32_e32 v40, s45, v36
	v_lshl_add_u64 v[62:63], v[40:41], 1, s[18:19]
	v_cndmask_b32_e32 v35, v35, v37, vcc
	v_subrev_u32_e32 v37, s12, v35
	v_cmp_le_u32_e32 vcc, s12, v35
	v_lshl_add_u64 v[32:33], v[0:1], 1, s[18:19]
	v_mov_b32_e32 v39, v1
	v_cndmask_b32_e32 v38, v35, v37, vcc
	v_mul_hi_u32 v35, v6, v45
	v_mul_lo_u32 v35, v35, s12
	v_sub_u32_e32 v35, v6, v35
	v_subrev_u32_e32 v37, s12, v35
	v_cmp_le_u32_e32 vcc, s12, v35
	v_add_u32_e32 v40, s45, v38
	v_mov_b32_e32 v57, v1
	v_cndmask_b32_e32 v35, v35, v37, vcc
	v_subrev_u32_e32 v37, s12, v35
	v_cmp_le_u32_e32 vcc, s12, v35
	v_lshl_add_u64 v[64:65], v[40:41], 1, s[18:19]
	v_lshl_add_u64 v[54:55], v[38:39], 1, s[18:19]
	v_cndmask_b32_e32 v56, v35, v37, vcc
	v_add_u32_e32 v40, s45, v56
	v_lshl_add_u64 v[58:59], v[56:57], 1, s[18:19]
	v_lshl_add_u64 v[66:67], v[40:41], 1, s[18:19]
	global_load_ushort v35, v[32:33], off
	global_load_ushort v50, v[52:53], off
	;; [unrolled: 1-line block ×8, first 2 shown]
	v_add_u32_e32 v0, s46, v0
	v_lshl_add_u64 v[52:53], v[0:1], 1, s[18:19]
	v_add_u32_e32 v0, s46, v36
	v_lshl_add_u64 v[54:55], v[0:1], 1, s[18:19]
	;; [unrolled: 2-line block ×4, first 2 shown]
	global_load_ushort v38, v[52:53], off
	global_load_ushort v36, v[54:55], off
	;; [unrolled: 1-line block ×4, first 2 shown]
.LBB79_33:                              ;   in Loop: Header=BB79_12 Depth=1
	v_cmp_ne_u32_e32 vcc, 0, v2
	s_and_saveexec_b64 s[6:7], vcc
	s_cbranch_execnz .LBB79_51
; %bb.34:                               ;   in Loop: Header=BB79_12 Depth=1
	s_or_b64 exec, exec, s[6:7]
	v_cmp_ne_u32_e64 s[6:7], 0, v3
	s_and_saveexec_b64 s[8:9], s[6:7]
	s_cbranch_execnz .LBB79_52
.LBB79_35:                              ;   in Loop: Header=BB79_12 Depth=1
	s_or_b64 exec, exec, s[8:9]
	v_cmp_ne_u32_e64 s[8:9], 0, v4
	s_and_saveexec_b64 s[10:11], s[8:9]
	s_cbranch_execnz .LBB79_53
.LBB79_36:                              ;   in Loop: Header=BB79_12 Depth=1
	s_or_b64 exec, exec, s[10:11]
	v_cmp_ne_u32_e64 s[10:11], 0, v5
	s_and_saveexec_b64 s[38:39], s[10:11]
	s_cbranch_execnz .LBB79_54
.LBB79_37:                              ;   in Loop: Header=BB79_12 Depth=1
	s_or_b64 exec, exec, s[38:39]
	v_add_u32_e32 v0, s23, v34
	s_and_saveexec_b64 s[38:39], vcc
	s_cbranch_execnz .LBB79_55
.LBB79_38:                              ;   in Loop: Header=BB79_12 Depth=1
	s_or_b64 exec, exec, s[38:39]
	s_and_saveexec_b64 s[38:39], s[6:7]
	s_cbranch_execnz .LBB79_56
.LBB79_39:                              ;   in Loop: Header=BB79_12 Depth=1
	s_or_b64 exec, exec, s[38:39]
	s_and_saveexec_b64 s[38:39], s[8:9]
	s_cbranch_execnz .LBB79_57
.LBB79_40:                              ;   in Loop: Header=BB79_12 Depth=1
	s_or_b64 exec, exec, s[38:39]
	s_and_saveexec_b64 s[38:39], s[10:11]
	s_cbranch_execnz .LBB79_58
.LBB79_41:                              ;   in Loop: Header=BB79_12 Depth=1
	s_or_b64 exec, exec, s[38:39]
	v_add_u32_e32 v0, s23, v0
	s_and_saveexec_b64 s[38:39], vcc
	s_cbranch_execnz .LBB79_59
.LBB79_42:                              ;   in Loop: Header=BB79_12 Depth=1
	s_or_b64 exec, exec, s[38:39]
	s_and_saveexec_b64 s[38:39], s[6:7]
	s_cbranch_execnz .LBB79_60
.LBB79_43:                              ;   in Loop: Header=BB79_12 Depth=1
	s_or_b64 exec, exec, s[38:39]
	s_and_saveexec_b64 s[6:7], s[8:9]
	s_cbranch_execnz .LBB79_61
.LBB79_44:                              ;   in Loop: Header=BB79_12 Depth=1
	s_or_b64 exec, exec, s[6:7]
	s_and_b64 exec, exec, s[10:11]
	s_cbranch_execz .LBB79_46
.LBB79_45:                              ;   in Loop: Header=BB79_12 Depth=1
	v_cvt_f32_i32_e32 v6, v23
	s_waitcnt vmcnt(0)
	v_cvt_f32_f16_e32 v7, v32
	v_add_u32_e32 v0, 3, v0
	v_add_f32_e32 v6, v20, v6
	v_add_f32_e32 v6, v6, v7
	v_cvt_f16_f32_e32 v8, v6
	v_lshl_add_u64 v[6:7], v[0:1], 1, s[24:25]
	global_store_short v[6:7], v8, off
.LBB79_46:                              ;   in Loop: Header=BB79_12 Depth=1
	s_or_b64 exec, exec, s[36:37]
	v_add_u32_e32 v34, s44, v34
	v_add_u32_e32 v0, 4, v34
	v_cmp_gt_u32_e32 vcc, s23, v34
	v_cmp_le_u32_e64 s[6:7], s23, v0
	s_and_b64 s[6:7], vcc, s[6:7]
	s_and_saveexec_b64 s[8:9], s[6:7]
	s_cbranch_execz .LBB79_10
; %bb.47:                               ;   in Loop: Header=BB79_12 Depth=1
	v_cmp_ne_u32_e32 vcc, s13, v34
	s_and_saveexec_b64 s[10:11], vcc
	s_cbranch_execz .LBB79_9
; %bb.48:                               ;   in Loop: Header=BB79_12 Depth=1
	v_subrev_u32_e32 v0, s13, v34
	v_cmp_lt_u32_e32 vcc, 1, v0
	s_mov_b64 s[36:37], 0
	s_mov_b64 s[38:39], 0
	v_cndmask_b32_e32 v0, 1, v0, vcc
.LBB79_49:                              ;   Parent Loop BB79_12 Depth=1
                                        ; =>  This Inner Loop Header: Depth=2
	s_cmp_lg_u32 s38, 3
	s_cselect_b64 vcc, -1, 0
	s_cmp_lg_u32 s38, 2
	v_cndmask_b32_e32 v5, 0, v5, vcc
	s_cselect_b64 vcc, -1, 0
	s_cmp_lg_u32 s38, 1
	v_cndmask_b32_e32 v4, 0, v4, vcc
	;; [unrolled: 3-line block ×3, first 2 shown]
	s_cselect_b64 vcc, -1, 0
	s_add_u32 s38, s38, 1
	s_addc_u32 s39, s39, 0
	v_cmp_eq_u32_e64 s[6:7], s38, v0
	s_or_b64 s[36:37], s[6:7], s[36:37]
	v_cndmask_b32_e32 v2, 0, v2, vcc
	s_andn2_b64 exec, exec, s[36:37]
	s_cbranch_execnz .LBB79_49
; %bb.50:                               ;   in Loop: Header=BB79_12 Depth=1
	s_or_b64 exec, exec, s[36:37]
	s_branch .LBB79_9
.LBB79_51:                              ;   in Loop: Header=BB79_12 Depth=1
	v_cvt_f32_i32_e32 v0, v13
	s_waitcnt vmcnt(11)
	v_cvt_f32_f16_e32 v13, v35
	v_mov_b32_e32 v35, v1
	v_lshl_add_u64 v[52:53], v[34:35], 1, s[24:25]
	v_add_f32_e32 v0, v11, v0
	v_add_f32_e32 v0, v0, v13
	v_cvt_f16_f32_e32 v0, v0
	global_store_short v[52:53], v0, off
	s_or_b64 exec, exec, s[6:7]
	v_cmp_ne_u32_e64 s[6:7], 0, v3
	s_and_saveexec_b64 s[8:9], s[6:7]
	s_cbranch_execz .LBB79_35
.LBB79_52:                              ;   in Loop: Header=BB79_12 Depth=1
	v_cvt_f32_i32_e32 v0, v12
	s_waitcnt vmcnt(10)
	v_cvt_f32_f16_e32 v11, v50
	v_mov_b32_e32 v35, v1
	v_lshl_add_u64 v[12:13], v[34:35], 1, s[30:31]
	v_add_f32_e32 v0, v9, v0
	v_add_f32_e32 v0, v0, v11
	v_cvt_f16_f32_e32 v0, v0
	global_store_short v[12:13], v0, off
	s_or_b64 exec, exec, s[8:9]
	v_cmp_ne_u32_e64 s[8:9], 0, v4
	s_and_saveexec_b64 s[10:11], s[8:9]
	s_cbranch_execz .LBB79_36
.LBB79_53:                              ;   in Loop: Header=BB79_12 Depth=1
	v_cvt_f32_i32_e32 v0, v14
	s_waitcnt vmcnt(9)
	v_cvt_f32_f16_e32 v9, v43
	v_add_f32_e32 v0, v7, v0
	v_add_f32_e32 v0, v0, v9
	v_cvt_f16_f32_e32 v0, v0
	v_mov_b32_e32 v9, v1
	v_lshl_add_u64 v[8:9], v[8:9], 1, s[24:25]
	global_store_short v[8:9], v0, off
	s_or_b64 exec, exec, s[10:11]
	v_cmp_ne_u32_e64 s[10:11], 0, v5
	s_and_saveexec_b64 s[38:39], s[10:11]
	s_cbranch_execz .LBB79_37
.LBB79_54:                              ;   in Loop: Header=BB79_12 Depth=1
	v_cvt_f32_i32_e32 v0, v15
	s_waitcnt vmcnt(8)
	v_cvt_f32_f16_e32 v7, v42
	v_add_f32_e32 v0, v10, v0
	v_add_f32_e32 v0, v0, v7
	v_cvt_f16_f32_e32 v0, v0
	v_mov_b32_e32 v7, v1
	v_lshl_add_u64 v[6:7], v[6:7], 1, s[24:25]
	global_store_short v[6:7], v0, off
	s_or_b64 exec, exec, s[38:39]
	v_add_u32_e32 v0, s23, v34
	s_and_saveexec_b64 s[38:39], vcc
	s_cbranch_execz .LBB79_38
.LBB79_55:                              ;   in Loop: Header=BB79_12 Depth=1
	v_cvt_f32_i32_e32 v6, v22
	s_waitcnt vmcnt(7)
	v_cvt_f32_f16_e32 v7, v41
	v_add_f32_e32 v6, v16, v6
	v_add_f32_e32 v6, v6, v7
	v_cvt_f16_f32_e32 v8, v6
	v_lshl_add_u64 v[6:7], v[0:1], 1, s[24:25]
	global_store_short v[6:7], v8, off
	s_or_b64 exec, exec, s[38:39]
	s_and_saveexec_b64 s[38:39], s[6:7]
	s_cbranch_execz .LBB79_39
.LBB79_56:                              ;   in Loop: Header=BB79_12 Depth=1
	v_cvt_f32_i32_e32 v6, v24
	s_waitcnt vmcnt(6)
	v_cvt_f32_f16_e32 v7, v40
	v_add_f32_e32 v6, v17, v6
	v_add_f32_e32 v6, v6, v7
	v_cvt_f16_f32_e32 v8, v6
	v_add_u32_e32 v6, 1, v0
	v_mov_b32_e32 v7, v1
	v_lshl_add_u64 v[6:7], v[6:7], 1, s[24:25]
	global_store_short v[6:7], v8, off
	s_or_b64 exec, exec, s[38:39]
	s_and_saveexec_b64 s[38:39], s[8:9]
	s_cbranch_execz .LBB79_40
.LBB79_57:                              ;   in Loop: Header=BB79_12 Depth=1
	v_cvt_f32_i32_e32 v6, v26
	s_waitcnt vmcnt(5)
	v_cvt_f32_f16_e32 v7, v39
	v_add_f32_e32 v6, v18, v6
	v_add_f32_e32 v6, v6, v7
	v_cvt_f16_f32_e32 v8, v6
	v_add_u32_e32 v6, 2, v0
	v_mov_b32_e32 v7, v1
	v_lshl_add_u64 v[6:7], v[6:7], 1, s[24:25]
	global_store_short v[6:7], v8, off
	s_or_b64 exec, exec, s[38:39]
	s_and_saveexec_b64 s[38:39], s[10:11]
	s_cbranch_execz .LBB79_41
.LBB79_58:                              ;   in Loop: Header=BB79_12 Depth=1
	v_cvt_f32_i32_e32 v6, v21
	s_waitcnt vmcnt(4)
	v_cvt_f32_f16_e32 v7, v37
	v_add_f32_e32 v6, v19, v6
	v_add_f32_e32 v6, v6, v7
	v_cvt_f16_f32_e32 v8, v6
	v_add_u32_e32 v6, 3, v0
	v_mov_b32_e32 v7, v1
	v_lshl_add_u64 v[6:7], v[6:7], 1, s[24:25]
	global_store_short v[6:7], v8, off
	s_or_b64 exec, exec, s[38:39]
	v_add_u32_e32 v0, s23, v0
	s_and_saveexec_b64 s[38:39], vcc
	s_cbranch_execz .LBB79_42
.LBB79_59:                              ;   in Loop: Header=BB79_12 Depth=1
	v_cvt_f32_i32_e32 v6, v31
	s_waitcnt vmcnt(3)
	v_cvt_f32_f16_e32 v7, v38
	v_add_f32_e32 v6, v29, v6
	v_add_f32_e32 v6, v6, v7
	v_cvt_f16_f32_e32 v8, v6
	v_lshl_add_u64 v[6:7], v[0:1], 1, s[24:25]
	global_store_short v[6:7], v8, off
	s_or_b64 exec, exec, s[38:39]
	s_and_saveexec_b64 s[38:39], s[6:7]
	s_cbranch_execz .LBB79_43
.LBB79_60:                              ;   in Loop: Header=BB79_12 Depth=1
	v_cvt_f32_i32_e32 v6, v30
	s_waitcnt vmcnt(2)
	v_cvt_f32_f16_e32 v7, v36
	v_add_f32_e32 v6, v28, v6
	v_add_f32_e32 v6, v6, v7
	v_cvt_f16_f32_e32 v8, v6
	v_add_u32_e32 v6, 1, v0
	v_mov_b32_e32 v7, v1
	v_lshl_add_u64 v[6:7], v[6:7], 1, s[24:25]
	global_store_short v[6:7], v8, off
	s_or_b64 exec, exec, s[38:39]
	s_and_saveexec_b64 s[6:7], s[8:9]
	s_cbranch_execz .LBB79_44
.LBB79_61:                              ;   in Loop: Header=BB79_12 Depth=1
	v_cvt_f32_i32_e32 v6, v27
	s_waitcnt vmcnt(1)
	v_cvt_f32_f16_e32 v7, v33
	v_add_f32_e32 v6, v25, v6
	v_add_f32_e32 v6, v6, v7
	v_cvt_f16_f32_e32 v8, v6
	v_add_u32_e32 v6, 2, v0
	v_mov_b32_e32 v7, v1
	v_lshl_add_u64 v[6:7], v[6:7], 1, s[24:25]
	global_store_short v[6:7], v8, off
	s_or_b64 exec, exec, s[6:7]
	s_and_b64 exec, exec, s[10:11]
	s_cbranch_execnz .LBB79_45
	s_branch .LBB79_46
.LBB79_62:
	s_endpgm
	.section	.rodata,"a",@progbits
	.p2align	6, 0x0
	.amdhsa_kernel _Z16wvSplitK_hf_big_I6__halfLi32ELi4ELi16ELi8ELi1ELi3EEviiiiiiPKT_S3_S3_PS1_ii
		.amdhsa_group_segment_fixed_size 65536
		.amdhsa_private_segment_fixed_size 0
		.amdhsa_kernarg_size 64
		.amdhsa_user_sgpr_count 2
		.amdhsa_user_sgpr_dispatch_ptr 0
		.amdhsa_user_sgpr_queue_ptr 0
		.amdhsa_user_sgpr_kernarg_segment_ptr 1
		.amdhsa_user_sgpr_dispatch_id 0
		.amdhsa_user_sgpr_kernarg_preload_length 0
		.amdhsa_user_sgpr_kernarg_preload_offset 0
		.amdhsa_user_sgpr_private_segment_size 0
		.amdhsa_uses_dynamic_stack 0
		.amdhsa_enable_private_segment 0
		.amdhsa_system_sgpr_workgroup_id_x 1
		.amdhsa_system_sgpr_workgroup_id_y 0
		.amdhsa_system_sgpr_workgroup_id_z 0
		.amdhsa_system_sgpr_workgroup_info 0
		.amdhsa_system_vgpr_workitem_id 1
		.amdhsa_next_free_vgpr 68
		.amdhsa_next_free_sgpr 52
		.amdhsa_accum_offset 68
		.amdhsa_reserve_vcc 1
		.amdhsa_float_round_mode_32 0
		.amdhsa_float_round_mode_16_64 0
		.amdhsa_float_denorm_mode_32 3
		.amdhsa_float_denorm_mode_16_64 3
		.amdhsa_dx10_clamp 1
		.amdhsa_ieee_mode 1
		.amdhsa_fp16_overflow 0
		.amdhsa_tg_split 0
		.amdhsa_exception_fp_ieee_invalid_op 0
		.amdhsa_exception_fp_denorm_src 0
		.amdhsa_exception_fp_ieee_div_zero 0
		.amdhsa_exception_fp_ieee_overflow 0
		.amdhsa_exception_fp_ieee_underflow 0
		.amdhsa_exception_fp_ieee_inexact 0
		.amdhsa_exception_int_div_zero 0
	.end_amdhsa_kernel
	.section	.text._Z16wvSplitK_hf_big_I6__halfLi32ELi4ELi16ELi8ELi1ELi3EEviiiiiiPKT_S3_S3_PS1_ii,"axG",@progbits,_Z16wvSplitK_hf_big_I6__halfLi32ELi4ELi16ELi8ELi1ELi3EEviiiiiiPKT_S3_S3_PS1_ii,comdat
.Lfunc_end79:
	.size	_Z16wvSplitK_hf_big_I6__halfLi32ELi4ELi16ELi8ELi1ELi3EEviiiiiiPKT_S3_S3_PS1_ii, .Lfunc_end79-_Z16wvSplitK_hf_big_I6__halfLi32ELi4ELi16ELi8ELi1ELi3EEviiiiiiPKT_S3_S3_PS1_ii
                                        ; -- End function
	.section	.AMDGPU.csdata,"",@progbits
; Kernel info:
; codeLenInByte = 4616
; NumSgprs: 58
; NumVgprs: 68
; NumAgprs: 0
; TotalNumVgprs: 68
; ScratchSize: 0
; MemoryBound: 0
; FloatMode: 240
; IeeeMode: 1
; LDSByteSize: 65536 bytes/workgroup (compile time only)
; SGPRBlocks: 7
; VGPRBlocks: 8
; NumSGPRsForWavesPerEU: 58
; NumVGPRsForWavesPerEU: 68
; AccumOffset: 68
; Occupancy: 2
; WaveLimiterHint : 0
; COMPUTE_PGM_RSRC2:SCRATCH_EN: 0
; COMPUTE_PGM_RSRC2:USER_SGPR: 2
; COMPUTE_PGM_RSRC2:TRAP_HANDLER: 0
; COMPUTE_PGM_RSRC2:TGID_X_EN: 1
; COMPUTE_PGM_RSRC2:TGID_Y_EN: 0
; COMPUTE_PGM_RSRC2:TGID_Z_EN: 0
; COMPUTE_PGM_RSRC2:TIDIG_COMP_CNT: 1
; COMPUTE_PGM_RSRC3_GFX90A:ACCUM_OFFSET: 16
; COMPUTE_PGM_RSRC3_GFX90A:TG_SPLIT: 0
	.section	.text._Z16wvSplitK_hf_sml_I6__halfLi32ELi4ELi16ELi8ELi2ELi3EEviiiiiiPKT_S3_S3_PS1_ii,"axG",@progbits,_Z16wvSplitK_hf_sml_I6__halfLi32ELi4ELi16ELi8ELi2ELi3EEviiiiiiPKT_S3_S3_PS1_ii,comdat
	.protected	_Z16wvSplitK_hf_sml_I6__halfLi32ELi4ELi16ELi8ELi2ELi3EEviiiiiiPKT_S3_S3_PS1_ii ; -- Begin function _Z16wvSplitK_hf_sml_I6__halfLi32ELi4ELi16ELi8ELi2ELi3EEviiiiiiPKT_S3_S3_PS1_ii
	.globl	_Z16wvSplitK_hf_sml_I6__halfLi32ELi4ELi16ELi8ELi2ELi3EEviiiiiiPKT_S3_S3_PS1_ii
	.p2align	8
	.type	_Z16wvSplitK_hf_sml_I6__halfLi32ELi4ELi16ELi8ELi2ELi3EEviiiiiiPKT_S3_S3_PS1_ii,@function
_Z16wvSplitK_hf_sml_I6__halfLi32ELi4ELi16ELi8ELi2ELi3EEviiiiiiPKT_S3_S3_PS1_ii: ; @_Z16wvSplitK_hf_sml_I6__halfLi32ELi4ELi16ELi8ELi2ELi3EEviiiiiiPKT_S3_S3_PS1_ii
; %bb.0:
	s_load_dwordx4 s[4:7], s[0:1], 0x0
	v_and_b32_e32 v4, 0x3ff, v0
	v_bfe_u32 v5, v0, 10, 10
	v_lshlrev_b32_e32 v68, 3, v4
	v_lshl_add_u32 v6, v5, 8, v68
	s_waitcnt lgkmcnt(0)
	s_mul_i32 s3, s6, 3
	s_min_u32 s3, s3, 0x8000
	v_cmp_gt_u32_e32 vcc, s3, v6
	s_and_saveexec_b64 s[8:9], vcc
	s_cbranch_execz .LBB80_9
; %bb.1:
	s_load_dwordx2 s[10:11], s[0:1], 0x20
	v_lshlrev_b32_e32 v0, 1, v6
	v_add_u32_e32 v1, 0x1000, v6
	v_cmp_gt_u32_e32 vcc, s3, v1
	s_waitcnt lgkmcnt(0)
	global_load_dwordx4 v[8:11], v0, s[10:11]
	s_waitcnt vmcnt(0)
	ds_write_b128 v0, v[8:11]
	s_and_saveexec_b64 s[12:13], vcc
	s_xor_b64 s[12:13], exec, s[12:13]
	s_cbranch_execz .LBB80_9
; %bb.2:
	v_mov_b32_e32 v1, 0
	v_lshl_add_u64 v[2:3], s[10:11], 0, v[0:1]
	v_add_co_u32_e32 v8, vcc, 0x2000, v2
	v_add_u32_e32 v1, 0x2000, v6
	s_nop 0
	v_addc_co_u32_e32 v9, vcc, 0, v3, vcc
	global_load_dwordx4 v[8:11], v[8:9], off
	v_cmp_gt_u32_e32 vcc, s3, v1
	s_waitcnt vmcnt(0)
	ds_write_b128 v0, v[8:11] offset:8192
	s_and_saveexec_b64 s[10:11], vcc
	s_xor_b64 s[10:11], exec, s[10:11]
	s_cbranch_execz .LBB80_9
; %bb.3:
	v_add_co_u32_e32 v8, vcc, 0x4000, v2
	v_add_u32_e32 v1, 0x3000, v6
	s_nop 0
	v_addc_co_u32_e32 v9, vcc, 0, v3, vcc
	global_load_dwordx4 v[8:11], v[8:9], off
	v_cmp_gt_u32_e32 vcc, s3, v1
	s_waitcnt vmcnt(0)
	ds_write_b128 v0, v[8:11] offset:16384
	s_and_saveexec_b64 s[10:11], vcc
	s_xor_b64 s[10:11], exec, s[10:11]
	s_cbranch_execz .LBB80_9
; %bb.4:
	v_add_co_u32_e32 v8, vcc, 0x6000, v2
	v_add_u32_e32 v1, 0x4000, v6
	s_nop 0
	v_addc_co_u32_e32 v9, vcc, 0, v3, vcc
	global_load_dwordx4 v[8:11], v[8:9], off
	v_cmp_gt_u32_e32 vcc, s3, v1
	s_waitcnt vmcnt(0)
	ds_write_b128 v0, v[8:11] offset:24576
	s_and_saveexec_b64 s[10:11], vcc
	s_xor_b64 s[10:11], exec, s[10:11]
	s_cbranch_execz .LBB80_9
; %bb.5:
	v_add_co_u32_e32 v8, vcc, 0x8000, v2
	v_add_u32_e32 v1, 0x5000, v6
	s_nop 0
	v_addc_co_u32_e32 v9, vcc, 0, v3, vcc
	global_load_dwordx4 v[8:11], v[8:9], off
	v_cmp_gt_u32_e32 vcc, s3, v1
	s_waitcnt vmcnt(0)
	ds_write_b128 v0, v[8:11] offset:32768
	s_and_saveexec_b64 s[10:11], vcc
	s_xor_b64 s[10:11], exec, s[10:11]
	s_cbranch_execz .LBB80_9
; %bb.6:
	v_add_co_u32_e32 v8, vcc, 0xa000, v2
	v_add_u32_e32 v1, 0x6000, v6
	s_nop 0
	v_addc_co_u32_e32 v9, vcc, 0, v3, vcc
	global_load_dwordx4 v[8:11], v[8:9], off
	v_cmp_gt_u32_e32 vcc, s3, v1
	s_waitcnt vmcnt(0)
	ds_write_b128 v0, v[8:11] offset:40960
	s_and_saveexec_b64 s[10:11], vcc
	s_xor_b64 s[10:11], exec, s[10:11]
	s_cbranch_execz .LBB80_9
; %bb.7:
	v_add_co_u32_e32 v8, vcc, 0xc000, v2
	v_add_u32_e32 v1, 0x7000, v6
	s_nop 0
	v_addc_co_u32_e32 v9, vcc, 0, v3, vcc
	global_load_dwordx4 v[8:11], v[8:9], off
	v_cmp_gt_u32_e32 vcc, s3, v1
	s_waitcnt vmcnt(0)
	ds_write_b128 v0, v[8:11] offset:49152
	s_and_saveexec_b64 s[10:11], vcc
	s_xor_b64 s[10:11], exec, s[10:11]
	s_cbranch_execz .LBB80_9
; %bb.8:
	v_add_co_u32_e32 v2, vcc, 0xe000, v2
	s_nop 1
	v_addc_co_u32_e32 v3, vcc, 0, v3, vcc
	global_load_dwordx4 v[6:9], v[2:3], off
	s_waitcnt vmcnt(0)
	ds_write_b128 v0, v[6:9] offset:57344
.LBB80_9:
	s_or_b64 exec, exec, s[8:9]
	s_load_dwordx2 s[16:17], s[0:1], 0x38
	s_waitcnt lgkmcnt(0)
	s_barrier
	v_cmp_gt_u32_e32 vcc, s16, v5
	s_and_saveexec_b64 s[8:9], vcc
	s_cbranch_execz .LBB80_26
; %bb.10:
	s_load_dwordx2 s[12:13], s[0:1], 0x10
	s_mul_i32 s2, s2, s16
	v_add_lshl_u32 v48, s2, v5, 2
	v_cmp_gt_u32_e32 vcc, s7, v48
	s_and_b64 exec, exec, vcc
	s_cbranch_execz .LBB80_26
; %bb.11:
	s_load_dwordx4 s[8:11], s[0:1], 0x28
	s_load_dwordx2 s[14:15], s[0:1], 0x18
	s_cmp_lg_u32 s4, 0
	s_cselect_b64 s[2:3], -1, 0
	s_add_i32 s24, s4, -8
	s_add_i32 s25, s7, -1
	s_waitcnt lgkmcnt(0)
	s_cmp_lg_u64 s[8:9], 0
	s_cselect_b64 s[18:19], -1, 0
	s_abs_i32 s21, s13
	v_cvt_f32_u32_e32 v0, s12
	v_cvt_f32_u32_e32 v1, s21
	s_mul_i32 s20, s16, s17
	s_lshl_b32 s13, s20, 2
	v_rcp_iflag_f32_e32 v0, v0
	v_rcp_iflag_f32_e32 v1, v1
	s_sub_i32 s20, 0, s12
	v_cmp_eq_u32_e64 s[0:1], 31, v4
	v_mul_f32_e32 v0, 0x4f7ffffe, v0
	v_mul_f32_e32 v1, 0x4f7ffffe, v1
	v_cvt_u32_f32_e32 v0, v0
	v_cvt_u32_f32_e32 v1, v1
	s_mov_b64 s[16:17], 0
	v_mov_b32_e32 v51, 0
	v_mul_lo_u32 v2, s20, v0
	s_sub_i32 s20, 0, s21
	v_readfirstlane_b32 s22, v1
	s_mul_i32 s20, s20, s22
	s_mul_hi_u32 s20, s22, s20
	s_add_i32 s22, s22, s20
	s_sub_i32 s20, 1, s21
	s_cmp_lt_u32 s21, 2
	s_cselect_b32 s20, s20, 1
	s_sub_i32 s23, s20, s21
	s_cmp_ge_u32 s20, s21
	s_cselect_b32 s26, s23, s20
	s_lshr_b32 s20, s22, 31
	s_mul_i32 s20, s20, s21
	s_sub_i32 s20, 2, s20
	s_sub_i32 s22, s20, s21
	s_cmp_ge_u32 s20, s21
	s_cselect_b32 s20, s22, s20
	s_sub_i32 s22, s20, s21
	v_mul_hi_u32 v2, v0, v2
	s_cmp_ge_u32 s20, s21
	v_add_u32_e32 v69, v0, v2
	s_cselect_b32 s27, s22, s20
	v_cndmask_b32_e64 v0, 0, 1, s[2:3]
	s_mul_i32 s26, s26, s12
	s_mul_i32 s27, s27, s12
	s_lshl_b32 s28, s6, 2
	v_lshlrev_b32_e32 v70, 4, v4
	s_lshl_b32 s6, s6, 1
	v_cmp_ne_u32_e64 s[2:3], 1, v0
	s_branch .LBB80_14
.LBB80_12:                              ;   in Loop: Header=BB80_14 Depth=1
	v_cvt_f32_i32_e32 v2, v2
	v_cvt_f32_i32_e32 v4, v4
	;; [unrolled: 1-line block ×4, first 2 shown]
	v_add_f32_e32 v0, v0, v2
	v_cvt_f32_i32_e32 v2, v10
	v_add_f32_e32 v1, v1, v4
	v_add_f32_e32 v4, v5, v7
	v_cvt_f32_i32_e32 v7, v15
	v_add_f32_e32 v5, v8, v2
	v_cvt_f32_i32_e32 v2, v12
	s_waitcnt vmcnt(11)
	v_cvt_f32_f16_e32 v12, v35
	v_add_f32_e32 v3, v3, v6
	v_cvt_f32_i32_e32 v6, v14
	v_add_f32_e32 v9, v9, v2
	v_cvt_f32_i32_e32 v2, v22
	v_add_f32_e32 v0, v0, v12
	v_add_f32_e32 v7, v13, v7
	s_waitcnt vmcnt(9)
	v_cvt_f32_f16_e32 v12, v33
	v_add_f32_e32 v13, v17, v2
	v_cvt_f32_f16_e32 v2, v34
	v_cvt_f16_f32_e32 v14, v0
	s_waitcnt vmcnt(8)
	v_cvt_f32_f16_e32 v0, v32
	v_add_u32_e32 v50, s7, v48
	v_add_f32_e32 v1, v1, v2
	v_add_f32_e32 v2, v3, v12
	;; [unrolled: 1-line block ×3, first 2 shown]
	v_cvt_f16_f32_e32 v2, v2
	v_cvt_f16_f32_e32 v3, v0
	;; [unrolled: 1-line block ×3, first 2 shown]
	s_waitcnt vmcnt(7)
	v_cvt_f32_f16_e32 v12, v31
	v_lshl_add_u64 v[0:1], v[48:49], 1, s[10:11]
	v_pack_b32_f16 v3, v2, v3
	v_pack_b32_f16 v2, v14, v4
	global_store_dwordx2 v[0:1], v[2:3], off
	v_add_f32_e32 v0, v5, v12
	v_cvt_f16_f32_e32 v2, v0
	s_waitcnt vmcnt(7)
	v_cvt_f32_f16_e32 v3, v30
	v_lshl_add_u64 v[0:1], v[50:51], 1, s[10:11]
	v_add_f32_e32 v6, v11, v6
	global_store_short v[0:1], v2, off
	v_add_f32_e32 v0, v9, v3
	v_cvt_f16_f32_e32 v2, v0
	s_waitcnt vmcnt(7)
	v_cvt_f32_f16_e32 v3, v27
	v_add_u32_e32 v0, 1, v50
	v_mov_b32_e32 v1, v51
	v_lshl_add_u64 v[0:1], v[0:1], 1, s[10:11]
	global_store_short v[0:1], v2, off
	v_add_f32_e32 v0, v6, v3
	v_cvt_f16_f32_e32 v2, v0
	s_waitcnt vmcnt(7)
	v_cvt_f32_f16_e32 v3, v25
	v_add_u32_e32 v0, 2, v50
	v_mov_b32_e32 v1, v51
	v_lshl_add_u64 v[0:1], v[0:1], 1, s[10:11]
	v_cvt_f32_i32_e32 v8, v23
	global_store_short v[0:1], v2, off
	v_add_f32_e32 v0, v7, v3
	v_cvt_f16_f32_e32 v2, v0
	s_waitcnt vmcnt(7)
	v_cvt_f32_f16_e32 v3, v29
	s_waitcnt vmcnt(6)
	v_cvt_f32_f16_e32 v4, v28
	v_add_u32_e32 v0, 3, v50
	v_mov_b32_e32 v1, v51
	v_add_f32_e32 v8, v16, v8
	v_lshl_add_u64 v[0:1], v[0:1], 1, s[10:11]
	global_store_short v[0:1], v2, off
	v_add_f32_e32 v0, v8, v3
	v_cvt_f16_f32_e32 v2, v0
	v_add_f32_e32 v0, v13, v4
	v_cvt_f16_f32_e32 v3, v0
	v_cvt_f32_i32_e32 v10, v21
	v_cvt_f32_i32_e32 v11, v20
	s_waitcnt vmcnt(6)
	v_cvt_f32_f16_e32 v4, v26
	v_pack_b32_f16 v2, v2, v3
	s_waitcnt vmcnt(5)
	v_cvt_f32_f16_e32 v3, v24
	v_add_u32_e32 v50, s7, v50
	v_add_f32_e32 v10, v18, v10
	v_lshl_add_u64 v[0:1], v[50:51], 1, s[10:11]
	v_add_f32_e32 v11, v19, v11
	global_store_dword v[0:1], v2, off
	v_add_f32_e32 v0, v10, v4
	v_cvt_f16_f32_e32 v2, v0
	v_add_f32_e32 v3, v11, v3
	v_cvt_f16_f32_e32 v3, v3
	v_add_u32_e32 v0, 2, v50
	v_mov_b32_e32 v1, v51
	v_lshl_add_u64 v[0:1], v[0:1], 1, s[10:11]
	v_add_u32_e32 v50, 3, v50
	global_store_short v[0:1], v2, off
	v_lshl_add_u64 v[0:1], v[50:51], 1, s[10:11]
	global_store_short v[0:1], v3, off
.LBB80_13:                              ;   in Loop: Header=BB80_14 Depth=1
	s_or_b64 exec, exec, s[20:21]
	v_add_u32_e32 v48, s13, v48
	v_cmp_le_u32_e32 vcc, s7, v48
	s_or_b64 s[16:17], vcc, s[16:17]
	s_andn2_b64 exec, exec, s[16:17]
	s_cbranch_execz .LBB80_26
.LBB80_14:                              ; =>This Loop Header: Depth=1
                                        ;     Child Loop BB80_18 Depth 2
	s_mov_b32 s29, 0
	s_and_b64 vcc, exec, s[2:3]
	v_mov_b32_e32 v81, v51
	v_mov_b32_e32 v80, v51
	;; [unrolled: 1-line block ×12, first 2 shown]
	s_cbranch_vccnz .LBB80_21
; %bb.15:                               ;   in Loop: Header=BB80_14 Depth=1
	v_min_u32_e32 v0, s25, v48
	v_mul_lo_u32 v50, v0, s5
	v_or_b32_e32 v0, 1, v48
	v_or_b32_e32 v2, 2, v48
	;; [unrolled: 1-line block ×3, first 2 shown]
	v_min_u32_e32 v0, s25, v0
	v_min_u32_e32 v2, s25, v2
	;; [unrolled: 1-line block ×3, first 2 shown]
	v_mul_lo_u32 v0, v0, s5
	v_mov_b32_e32 v1, v51
	v_mul_lo_u32 v2, v2, s5
	v_mov_b32_e32 v3, v51
	;; [unrolled: 2-line block ×3, first 2 shown]
	v_mov_b32_e32 v73, 0
	v_lshlrev_b64 v[52:53], 1, v[50:51]
	v_lshlrev_b64 v[54:55], 1, v[0:1]
	;; [unrolled: 1-line block ×4, first 2 shown]
	v_mov_b32_e32 v82, v70
	v_mov_b32_e32 v72, 0
	;; [unrolled: 1-line block ×12, first 2 shown]
	s_branch .LBB80_18
.LBB80_16:                              ;   in Loop: Header=BB80_18 Depth=2
	s_or_b64 exec, exec, s[22:23]
.LBB80_17:                              ;   in Loop: Header=BB80_18 Depth=2
	s_or_b64 exec, exec, s[20:21]
	s_waitcnt vmcnt(7) lgkmcnt(1)
	;;#ASMSTART
	v_dot2c_f32_f16 v81, v44, v36
	;;#ASMEND
	s_waitcnt vmcnt(6)
	;;#ASMSTART
	v_dot2c_f32_f16 v80, v44, v28
	;;#ASMEND
	s_waitcnt vmcnt(5)
	;; [unrolled: 4-line block ×3, first 2 shown]
	;;#ASMSTART
	v_dot2c_f32_f16 v78, v44, v20
	;;#ASMEND
	;;#ASMSTART
	v_dot2c_f32_f16 v77, v40, v36
	;;#ASMEND
	;; [unrolled: 3-line block ×12, first 2 shown]
	s_nop 0
	;;#ASMSTART
	v_dot2c_f32_f16 v78, v45, v21
	;;#ASMEND
	;;#ASMSTART
	v_dot2c_f32_f16 v77, v41, v37
	;;#ASMEND
	;; [unrolled: 3-line block ×12, first 2 shown]
	s_nop 0
	;;#ASMSTART
	v_dot2c_f32_f16 v78, v46, v22
	;;#ASMEND
	;;#ASMSTART
	v_dot2c_f32_f16 v77, v42, v38
	;;#ASMEND
	;;#ASMSTART
	v_dot2c_f32_f16 v76, v42, v30
	;;#ASMEND
	;;#ASMSTART
	v_dot2c_f32_f16 v75, v42, v26
	;;#ASMEND
	;;#ASMSTART
	v_dot2c_f32_f16 v74, v42, v22
	;;#ASMEND
	s_waitcnt lgkmcnt(0)
	;;#ASMSTART
	v_dot2c_f32_f16 v73, v66, v38
	;;#ASMEND
	;;#ASMSTART
	v_dot2c_f32_f16 v72, v66, v30
	;;#ASMEND
	;; [unrolled: 3-line block ×12, first 2 shown]
	s_nop 0
	;;#ASMSTART
	v_dot2c_f32_f16 v73, v67, v39
	;;#ASMEND
	;;#ASMSTART
	v_dot2c_f32_f16 v72, v67, v31
	;;#ASMEND
	;; [unrolled: 3-line block ×4, first 2 shown]
	s_waitcnt vmcnt(3)
	;;#ASMSTART
	v_dot2c_f32_f16 v81, v32, v12
	;;#ASMEND
	s_waitcnt vmcnt(2)
	;;#ASMSTART
	v_dot2c_f32_f16 v80, v32, v8
	;;#ASMEND
	;; [unrolled: 4-line block ×4, first 2 shown]
	;;#ASMSTART
	v_dot2c_f32_f16 v77, v16, v12
	;;#ASMEND
	;;#ASMSTART
	v_dot2c_f32_f16 v76, v16, v8
	;;#ASMEND
	;; [unrolled: 3-line block ×11, first 2 shown]
	s_nop 0
	;;#ASMSTART
	v_dot2c_f32_f16 v78, v33, v1
	;;#ASMEND
	;;#ASMSTART
	v_dot2c_f32_f16 v77, v17, v13
	;;#ASMEND
	;; [unrolled: 3-line block ×9, first 2 shown]
	s_addk_i32 s29, 0x200
	;;#ASMSTART
	v_dot2c_f32_f16 v81, v34, v14
	;;#ASMEND
	;;#ASMSTART
	v_dot2c_f32_f16 v80, v34, v10
	;;#ASMEND
	;;#ASMSTART
	v_dot2c_f32_f16 v79, v34, v6
	;;#ASMEND
	;;#ASMSTART
	v_dot2c_f32_f16 v78, v34, v2
	;;#ASMEND
	;;#ASMSTART
	v_dot2c_f32_f16 v77, v18, v14
	;;#ASMEND
	;;#ASMSTART
	v_dot2c_f32_f16 v76, v18, v10
	;;#ASMEND
	;;#ASMSTART
	v_dot2c_f32_f16 v75, v18, v6
	;;#ASMEND
	;;#ASMSTART
	v_dot2c_f32_f16 v74, v18, v2
	;;#ASMEND
	;;#ASMSTART
	v_dot2c_f32_f16 v73, v60, v14
	;;#ASMEND
	;;#ASMSTART
	v_dot2c_f32_f16 v72, v60, v10
	;;#ASMEND
	;;#ASMSTART
	v_dot2c_f32_f16 v71, v60, v6
	;;#ASMEND
	;;#ASMSTART
	v_dot2c_f32_f16 v49, v60, v2
	;;#ASMEND
	s_cmp_ge_u32 s29, s4
	v_add_u32_e32 v82, 0x400, v82
	;;#ASMSTART
	v_dot2c_f32_f16 v81, v35, v15
	;;#ASMEND
	;;#ASMSTART
	v_dot2c_f32_f16 v80, v35, v11
	;;#ASMEND
	;; [unrolled: 3-line block ×12, first 2 shown]
	s_cbranch_scc1 .LBB80_21
.LBB80_18:                              ;   Parent Loop BB80_14 Depth=1
                                        ; =>  This Inner Loop Header: Depth=2
	v_add_u32_e32 v32, s29, v68
	v_min_u32_e32 v50, s24, v32
	v_lshl_add_u64 v[0:1], v[50:51], 1, s[14:15]
	v_lshl_add_u64 v[2:3], v[0:1], 0, v[52:53]
	v_add_u32_e32 v83, 0x100, v32
	v_lshl_add_u64 v[4:5], v[0:1], 0, v[54:55]
	global_load_dwordx4 v[36:39], v[2:3], off nt
	global_load_dwordx4 v[28:31], v[4:5], off nt
	v_lshl_add_u64 v[2:3], v[0:1], 0, v[56:57]
	v_lshl_add_u64 v[0:1], v[0:1], 0, v[58:59]
	v_min_u32_e32 v50, s24, v83
	global_load_dwordx4 v[24:27], v[2:3], off nt
	global_load_dwordx4 v[20:23], v[0:1], off nt
	v_lshl_add_u64 v[0:1], v[50:51], 1, s[14:15]
	v_lshl_add_u64 v[2:3], v[0:1], 0, v[52:53]
	;; [unrolled: 1-line block ×4, first 2 shown]
	global_load_dwordx4 v[12:15], v[2:3], off nt
	global_load_dwordx4 v[8:11], v[4:5], off nt
	v_lshl_add_u64 v[18:19], v[0:1], 0, v[58:59]
	global_load_dwordx4 v[4:7], v[16:17], off nt
	global_load_dwordx4 v[0:3], v[18:19], off nt
	v_cmp_gt_u32_e32 vcc, s4, v32
	v_mov_b32_e32 v44, 0
	v_mov_b32_e32 v45, 0
	;; [unrolled: 1-line block ×24, first 2 shown]
	s_and_saveexec_b64 s[20:21], vcc
	s_cbranch_execz .LBB80_17
; %bb.19:                               ;   in Loop: Header=BB80_18 Depth=2
	v_add_u32_e32 v84, s6, v82
	v_add_u32_e32 v50, s28, v82
	ds_read_b128 v[40:43], v84
	ds_read2_b32 v[64:65], v50 offset1:1
	ds_read_b128 v[44:47], v82
	ds_read2_b32 v[66:67], v50 offset0:2 offset1:3
	v_cmp_gt_u32_e32 vcc, s4, v83
	v_mov_b32_e32 v61, 0
	v_mov_b32_e32 v60, 0
	;; [unrolled: 1-line block ×12, first 2 shown]
	s_and_saveexec_b64 s[22:23], vcc
	s_cbranch_execz .LBB80_16
; %bb.20:                               ;   in Loop: Header=BB80_18 Depth=2
	ds_read_b128 v[16:19], v84 offset:512
	ds_read2_b32 v[62:63], v50 offset0:128 offset1:129
	ds_read_b128 v[32:35], v82 offset:512
	ds_read2_b32 v[60:61], v50 offset0:130 offset1:131
	s_branch .LBB80_16
.LBB80_21:                              ;   in Loop: Header=BB80_14 Depth=1
	; sched_barrier mask(0x00000000)
	v_cvt_i32_f32_e32 v0, v81
	v_cvt_i32_f32_e32 v1, v80
	;; [unrolled: 1-line block ×4, first 2 shown]
	v_cvt_f32_i32_dpp v0, v0 row_shr:8 row_mask:0xf bank_mask:0xf bound_ctrl:1
	v_cvt_f32_i32_dpp v1, v1 row_shr:8 row_mask:0xf bank_mask:0xf bound_ctrl:1
	;; [unrolled: 1-line block ×4, first 2 shown]
	v_add_f32_e32 v0, v81, v0
	v_cvt_i32_f32_e32 v5, v0
	v_add_f32_e32 v1, v80, v1
	v_cvt_i32_f32_e32 v6, v1
	v_add_f32_e32 v2, v79, v2
	v_cvt_f32_i32_dpp v5, v5 row_shr:4 row_mask:0xf bank_mask:0xf bound_ctrl:1
	v_cvt_i32_f32_e32 v7, v2
	v_cvt_f32_i32_dpp v6, v6 row_shr:4 row_mask:0xf bank_mask:0xf bound_ctrl:1
	v_add_f32_e32 v3, v78, v3
	v_add_f32_e32 v0, v0, v5
	v_cvt_i32_f32_e32 v5, v0
	v_add_f32_e32 v1, v1, v6
	v_cvt_i32_f32_e32 v6, v1
	v_cvt_f32_i32_dpp v7, v7 row_shr:4 row_mask:0xf bank_mask:0xf bound_ctrl:1
	v_cvt_f32_i32_dpp v5, v5 row_shr:2 row_mask:0xf bank_mask:0xf bound_ctrl:1
	v_cvt_i32_f32_e32 v8, v3
	v_cvt_f32_i32_dpp v6, v6 row_shr:2 row_mask:0xf bank_mask:0xf bound_ctrl:1
	v_add_f32_e32 v2, v2, v7
	v_add_f32_e32 v0, v0, v5
	v_cvt_i32_f32_e32 v5, v0
	v_cvt_i32_f32_e32 v7, v2
	v_add_f32_e32 v1, v1, v6
	v_cvt_i32_f32_e32 v6, v1
	v_cvt_f32_i32_dpp v5, v5 row_shr:1 row_mask:0xf bank_mask:0xf bound_ctrl:1
	v_cvt_f32_i32_dpp v7, v7 row_shr:2 row_mask:0xf bank_mask:0xf bound_ctrl:1
	;; [unrolled: 1-line block ×4, first 2 shown]
	v_add_f32_e32 v0, v0, v5
	v_cvt_i32_f32_e32 v5, v0
	v_add_f32_e32 v7, v2, v7
	v_cvt_i32_f32_e32 v4, v77
	v_cvt_i32_f32_e32 v2, v7
	v_cvt_f32_i32_dpp v5, v5 row_bcast:15 row_mask:0xf bank_mask:0xf bound_ctrl:1
	v_add_f32_e32 v1, v1, v6
	v_add_f32_e32 v3, v3, v8
	v_cvt_i32_f32_e32 v6, v1
	v_add_f32_e32 v0, v0, v5
	v_cvt_i32_f32_e32 v5, v0
	v_cvt_f32_i32_dpp v8, v2 row_shr:1 row_mask:0xf bank_mask:0xf bound_ctrl:1
	v_cvt_f32_i32_dpp v4, v4 row_shr:8 row_mask:0xf bank_mask:0xf bound_ctrl:1
	v_cvt_f32_i32_dpp v6, v6 row_bcast:15 row_mask:0xf bank_mask:0xf bound_ctrl:1
	v_mov_b32_dpp v2, v5 row_bcast:31 row_mask:0xf bank_mask:0xf bound_ctrl:1
	v_cvt_i32_f32_e32 v5, v3
	v_add_f32_e32 v7, v7, v8
	v_add_f32_e32 v9, v77, v4
	v_cvt_i32_f32_e32 v8, v7
	v_cvt_f32_i32_dpp v5, v5 row_shr:2 row_mask:0xf bank_mask:0xf bound_ctrl:1
	v_cvt_i32_f32_e32 v4, v9
	v_add_f32_e32 v1, v1, v6
	v_cvt_i32_f32_e32 v6, v1
	v_add_f32_e32 v5, v3, v5
	v_cvt_i32_f32_e32 v3, v5
	v_cvt_f32_i32_dpp v8, v8 row_bcast:15 row_mask:0xf bank_mask:0xf bound_ctrl:1
	v_cvt_f32_i32_dpp v10, v4 row_shr:4 row_mask:0xf bank_mask:0xf bound_ctrl:1
	v_mov_b32_dpp v4, v6 row_bcast:31 row_mask:0xf bank_mask:0xf bound_ctrl:1
	v_cvt_f32_i32_dpp v6, v3 row_shr:1 row_mask:0xf bank_mask:0xf bound_ctrl:1
	v_add_f32_e32 v3, v7, v8
	v_add_f32_e32 v7, v9, v10
	v_cvt_i32_f32_e32 v8, v7
	v_add_f32_e32 v5, v5, v6
	v_cvt_i32_f32_e32 v6, v76
	v_cvt_i32_f32_e32 v9, v5
	v_cvt_f32_i32_dpp v8, v8 row_shr:2 row_mask:0xf bank_mask:0xf bound_ctrl:1
	v_cvt_i32_f32_e32 v10, v3
	v_cvt_f32_i32_dpp v6, v6 row_shr:8 row_mask:0xf bank_mask:0xf bound_ctrl:1
	v_cvt_f32_i32_dpp v9, v9 row_bcast:15 row_mask:0xf bank_mask:0xf bound_ctrl:1
	v_add_f32_e32 v7, v7, v8
	v_cvt_i32_f32_e32 v8, v7
	v_add_f32_e32 v11, v76, v6
	v_cvt_i32_f32_e32 v12, v11
	v_add_f32_e32 v5, v5, v9
	v_cvt_f32_i32_dpp v8, v8 row_shr:1 row_mask:0xf bank_mask:0xf bound_ctrl:1
	v_mov_b32_dpp v6, v10 row_bcast:31 row_mask:0xf bank_mask:0xf bound_ctrl:1
	v_cvt_f32_i32_dpp v9, v12 row_shr:4 row_mask:0xf bank_mask:0xf bound_ctrl:1
	v_cvt_i32_f32_e32 v10, v5
	v_add_f32_e32 v8, v7, v8
	v_cvt_i32_f32_e32 v7, v75
	v_add_f32_e32 v9, v11, v9
	v_cvt_i32_f32_e32 v11, v9
	v_cvt_i32_f32_e32 v12, v8
	v_cvt_f32_i32_dpp v13, v7 row_shr:8 row_mask:0xf bank_mask:0xf bound_ctrl:1
	v_mov_b32_dpp v7, v10 row_bcast:31 row_mask:0xf bank_mask:0xf bound_ctrl:1
	v_cvt_f32_i32_dpp v10, v11 row_shr:2 row_mask:0xf bank_mask:0xf bound_ctrl:1
	v_cvt_f32_i32_dpp v11, v12 row_bcast:15 row_mask:0xf bank_mask:0xf bound_ctrl:1
	v_add_f32_e32 v12, v75, v13
	v_cvt_i32_f32_e32 v13, v12
	v_add_f32_e32 v9, v9, v10
	v_cvt_i32_f32_e32 v10, v74
	v_cvt_i32_f32_e32 v14, v9
	v_cvt_f32_i32_dpp v13, v13 row_shr:4 row_mask:0xf bank_mask:0xf bound_ctrl:1
	v_add_f32_e32 v8, v8, v11
	v_cvt_f32_i32_dpp v10, v10 row_shr:8 row_mask:0xf bank_mask:0xf bound_ctrl:1
	v_cvt_f32_i32_dpp v11, v14 row_shr:1 row_mask:0xf bank_mask:0xf bound_ctrl:1
	v_add_f32_e32 v12, v12, v13
	v_cvt_i32_f32_e32 v13, v12
	v_add_f32_e32 v10, v74, v10
	v_cvt_i32_f32_e32 v14, v10
	v_add_f32_e32 v9, v9, v11
	v_cvt_f32_i32_dpp v13, v13 row_shr:2 row_mask:0xf bank_mask:0xf bound_ctrl:1
	v_cvt_i32_f32_e32 v15, v8
	v_cvt_f32_i32_dpp v11, v14 row_shr:4 row_mask:0xf bank_mask:0xf bound_ctrl:1
	v_cvt_i32_f32_e32 v14, v9
	v_add_f32_e32 v12, v12, v13
	v_cvt_i32_f32_e32 v13, v12
	v_add_f32_e32 v11, v10, v11
	v_cvt_i32_f32_e32 v16, v11
	v_mov_b32_dpp v10, v15 row_bcast:31 row_mask:0xf bank_mask:0xf bound_ctrl:1
	v_cvt_f32_i32_dpp v13, v13 row_shr:1 row_mask:0xf bank_mask:0xf bound_ctrl:1
	v_cvt_f32_i32_dpp v14, v14 row_bcast:15 row_mask:0xf bank_mask:0xf bound_ctrl:1
	v_cvt_f32_i32_dpp v15, v16 row_shr:2 row_mask:0xf bank_mask:0xf bound_ctrl:1
	v_add_f32_e32 v13, v12, v13
	v_cvt_i32_f32_e32 v12, v73
	v_add_f32_e32 v11, v11, v15
	v_add_f32_e32 v9, v9, v14
	v_cvt_i32_f32_e32 v14, v11
	v_cvt_f32_i32_dpp v12, v12 row_shr:8 row_mask:0xf bank_mask:0xf bound_ctrl:1
	v_cvt_i32_f32_e32 v15, v13
	v_cvt_i32_f32_e32 v16, v9
	v_cvt_f32_i32_dpp v14, v14 row_shr:1 row_mask:0xf bank_mask:0xf bound_ctrl:1
	v_add_f32_e32 v17, v73, v12
	v_cvt_i32_f32_e32 v18, v17
	v_cvt_f32_i32_dpp v15, v15 row_bcast:15 row_mask:0xf bank_mask:0xf bound_ctrl:1
	v_add_f32_e32 v14, v11, v14
	v_mov_b32_dpp v12, v16 row_bcast:31 row_mask:0xf bank_mask:0xf bound_ctrl:1
	v_cvt_f32_i32_dpp v16, v18 row_shr:4 row_mask:0xf bank_mask:0xf bound_ctrl:1
	v_cvt_i32_f32_e32 v19, v14
	v_add_f32_e32 v11, v13, v15
	v_cvt_i32_f32_e32 v15, v72
	v_add_f32_e32 v16, v17, v16
	v_cvt_f32_i32_dpp v13, v19 row_bcast:15 row_mask:0xf bank_mask:0xf bound_ctrl:1
	v_cvt_i32_f32_e32 v17, v16
	v_cvt_f32_i32_dpp v15, v15 row_shr:8 row_mask:0xf bank_mask:0xf bound_ctrl:1
	v_cvt_i32_f32_e32 v18, v11
	v_add_f32_e32 v13, v14, v13
	v_cvt_f32_i32_dpp v14, v17 row_shr:2 row_mask:0xf bank_mask:0xf bound_ctrl:1
	v_add_f32_e32 v19, v72, v15
	v_cvt_i32_f32_e32 v15, v19
	v_cvt_i32_f32_e32 v17, v13
	v_add_f32_e32 v16, v16, v14
	v_cvt_i32_f32_e32 v20, v16
	v_mov_b32_dpp v14, v18 row_bcast:31 row_mask:0xf bank_mask:0xf bound_ctrl:1
	v_cvt_f32_i32_dpp v18, v15 row_shr:4 row_mask:0xf bank_mask:0xf bound_ctrl:1
	v_mov_b32_dpp v15, v17 row_bcast:31 row_mask:0xf bank_mask:0xf bound_ctrl:1
	v_cvt_f32_i32_dpp v17, v20 row_shr:1 row_mask:0xf bank_mask:0xf bound_ctrl:1
	v_cvt_i32_f32_e32 v20, v71
	v_add_f32_e32 v18, v19, v18
	v_cvt_i32_f32_e32 v19, v49
	v_add_f32_e32 v16, v16, v17
	v_cvt_f32_i32_dpp v20, v20 row_shr:8 row_mask:0xf bank_mask:0xf bound_ctrl:1
	v_cvt_i32_f32_e32 v21, v18
	v_cvt_f32_i32_dpp v17, v19 row_shr:8 row_mask:0xf bank_mask:0xf bound_ctrl:1
	v_cvt_i32_f32_e32 v23, v16
	v_add_f32_e32 v20, v71, v20
	v_cvt_f32_i32_dpp v19, v21 row_shr:2 row_mask:0xf bank_mask:0xf bound_ctrl:1
	v_add_f32_e32 v17, v49, v17
	v_cvt_i32_f32_e32 v21, v20
	v_cvt_i32_f32_e32 v22, v17
	v_add_f32_e32 v18, v18, v19
	v_cvt_f32_i32_dpp v23, v23 row_bcast:15 row_mask:0xf bank_mask:0xf bound_ctrl:1
	v_cvt_f32_i32_dpp v21, v21 row_shr:4 row_mask:0xf bank_mask:0xf bound_ctrl:1
	v_cvt_f32_i32_dpp v19, v22 row_shr:4 row_mask:0xf bank_mask:0xf bound_ctrl:1
	v_cvt_i32_f32_e32 v22, v18
	v_add_f32_e32 v16, v16, v23
	v_add_f32_e32 v20, v20, v21
	;; [unrolled: 1-line block ×3, first 2 shown]
	v_cvt_i32_f32_e32 v21, v20
	v_cvt_i32_f32_e32 v19, v17
	v_cvt_f32_i32_dpp v22, v22 row_shr:1 row_mask:0xf bank_mask:0xf bound_ctrl:1
	v_cvt_i32_f32_e32 v24, v16
	v_cvt_f32_i32_dpp v21, v21 row_shr:2 row_mask:0xf bank_mask:0xf bound_ctrl:1
	v_cvt_f32_i32_dpp v19, v19 row_shr:2 row_mask:0xf bank_mask:0xf bound_ctrl:1
	v_add_f32_e32 v18, v18, v22
	v_cvt_i32_f32_e32 v22, v18
	v_add_f32_e32 v20, v20, v21
	v_add_f32_e32 v17, v17, v19
	v_cvt_i32_f32_e32 v21, v20
	v_cvt_i32_f32_e32 v19, v17
	v_cvt_f32_i32_dpp v22, v22 row_bcast:15 row_mask:0xf bank_mask:0xf bound_ctrl:1
	v_cvt_f32_i32_dpp v21, v21 row_shr:1 row_mask:0xf bank_mask:0xf bound_ctrl:1
	v_cvt_f32_i32_dpp v19, v19 row_shr:1 row_mask:0xf bank_mask:0xf bound_ctrl:1
	v_add_f32_e32 v20, v20, v21
	v_add_f32_e32 v19, v17, v19
	v_cvt_i32_f32_e32 v21, v20
	v_cvt_i32_f32_e32 v23, v19
	v_add_f32_e32 v17, v18, v22
	v_cvt_i32_f32_e32 v25, v17
	v_cvt_f32_i32_dpp v21, v21 row_bcast:15 row_mask:0xf bank_mask:0xf bound_ctrl:1
	v_cvt_f32_i32_dpp v22, v23 row_bcast:15 row_mask:0xf bank_mask:0xf bound_ctrl:1
	v_mov_b32_dpp v23, v24 row_bcast:31 row_mask:0xf bank_mask:0xf bound_ctrl:1
	v_add_f32_e32 v18, v20, v21
	v_add_f32_e32 v19, v19, v22
	v_cvt_i32_f32_e32 v20, v18
	v_cvt_i32_f32_e32 v26, v19
	v_mov_b32_dpp v22, v25 row_bcast:31 row_mask:0xf bank_mask:0xf bound_ctrl:1
	v_mov_b32_dpp v21, v20 row_bcast:31 row_mask:0xf bank_mask:0xf bound_ctrl:1
	v_mov_b32_dpp v20, v26 row_bcast:31 row_mask:0xf bank_mask:0xf bound_ctrl:1
	s_and_saveexec_b64 s[20:21], s[0:1]
	s_cbranch_execz .LBB80_13
; %bb.22:                               ;   in Loop: Header=BB80_14 Depth=1
	s_and_b64 vcc, exec, s[18:19]
	s_cbranch_vccz .LBB80_24
; %bb.23:                               ;   in Loop: Header=BB80_14 Depth=1
	v_mul_hi_u32 v24, v48, v69
	v_mul_lo_u32 v24, v24, s12
	v_sub_u32_e32 v24, v48, v24
	v_subrev_u32_e32 v25, s12, v24
	v_cmp_le_u32_e32 vcc, s12, v24
	v_mov_b32_e32 v27, v51
	v_mov_b32_e32 v31, v51
	v_cndmask_b32_e32 v24, v24, v25, vcc
	v_subrev_u32_e32 v25, s12, v24
	v_cmp_le_u32_e32 vcc, s12, v24
	v_mov_b32_e32 v41, v51
	v_mov_b32_e32 v49, v51
	v_cndmask_b32_e32 v50, v24, v25, vcc
	v_or_b32_e32 v24, 1, v48
	v_mul_hi_u32 v25, v24, v69
	v_mul_lo_u32 v25, v25, s12
	v_sub_u32_e32 v24, v24, v25
	v_subrev_u32_e32 v25, s12, v24
	v_cmp_le_u32_e32 vcc, s12, v24
	v_add_u32_e32 v30, s26, v50
	v_lshl_add_u64 v[44:45], v[30:31], 1, s[8:9]
	v_cndmask_b32_e32 v24, v24, v25, vcc
	v_subrev_u32_e32 v25, s12, v24
	v_cmp_le_u32_e32 vcc, s12, v24
	v_lshl_add_u64 v[28:29], v[50:51], 1, s[8:9]
	v_add_u32_e32 v50, s27, v50
	v_cndmask_b32_e32 v24, v24, v25, vcc
	v_mov_b32_e32 v25, v51
	v_lshl_add_u64 v[36:37], v[24:25], 1, s[8:9]
	v_or_b32_e32 v25, 2, v48
	v_mul_hi_u32 v26, v25, v69
	v_mul_lo_u32 v26, v26, s12
	v_sub_u32_e32 v25, v25, v26
	v_subrev_u32_e32 v26, s12, v25
	v_cmp_le_u32_e32 vcc, s12, v25
	v_add_u32_e32 v30, s26, v24
	v_lshl_add_u64 v[46:47], v[30:31], 1, s[8:9]
	v_cndmask_b32_e32 v25, v25, v26, vcc
	v_subrev_u32_e32 v26, s12, v25
	v_cmp_le_u32_e32 vcc, s12, v25
	s_nop 1
	v_cndmask_b32_e32 v26, v25, v26, vcc
	v_or_b32_e32 v25, 3, v48
	v_lshl_add_u64 v[38:39], v[26:27], 1, s[8:9]
	v_mul_hi_u32 v27, v25, v69
	v_mul_lo_u32 v27, v27, s12
	v_sub_u32_e32 v25, v25, v27
	v_subrev_u32_e32 v27, s12, v25
	v_cmp_le_u32_e32 vcc, s12, v25
	v_add_u32_e32 v30, s26, v26
	v_lshl_add_u64 v[52:53], v[30:31], 1, s[8:9]
	v_cndmask_b32_e32 v25, v25, v27, vcc
	v_subrev_u32_e32 v27, s12, v25
	v_cmp_le_u32_e32 vcc, s12, v25
	s_nop 1
	v_cndmask_b32_e32 v40, v25, v27, vcc
	v_add_u32_e32 v30, s26, v40
	v_lshl_add_u64 v[42:43], v[40:41], 1, s[8:9]
	v_lshl_add_u64 v[54:55], v[30:31], 1, s[8:9]
	global_load_ushort v35, v[28:29], off
	global_load_ushort v34, v[36:37], off
	;; [unrolled: 1-line block ×8, first 2 shown]
	v_lshl_add_u64 v[36:37], v[50:51], 1, s[8:9]
	v_add_u32_e32 v50, s27, v24
	v_lshl_add_u64 v[38:39], v[50:51], 1, s[8:9]
	v_add_u32_e32 v50, s27, v26
	;; [unrolled: 2-line block ×3, first 2 shown]
	v_lshl_add_u64 v[40:41], v[50:51], 1, s[8:9]
	global_load_ushort v29, v[36:37], off
	global_load_ushort v28, v[38:39], off
	;; [unrolled: 1-line block ×4, first 2 shown]
	s_cbranch_execnz .LBB80_12
	s_branch .LBB80_25
.LBB80_24:                              ;   in Loop: Header=BB80_14 Depth=1
                                        ; implicit-def: $vgpr24
                                        ; implicit-def: $vgpr26
                                        ; implicit-def: $vgpr28
                                        ; implicit-def: $vgpr29
                                        ; implicit-def: $vgpr25
                                        ; implicit-def: $vgpr27
                                        ; implicit-def: $vgpr30
                                        ; implicit-def: $vgpr31
                                        ; implicit-def: $vgpr32
                                        ; implicit-def: $vgpr33
                                        ; implicit-def: $vgpr34
                                        ; implicit-def: $vgpr35
.LBB80_25:                              ;   in Loop: Header=BB80_14 Depth=1
	v_mov_b32_e32 v49, v51
	s_waitcnt vmcnt(11)
	v_mov_b32_e32 v35, 0
	s_waitcnt vmcnt(10)
	;; [unrolled: 2-line block ×12, first 2 shown]
	v_mov_b32_e32 v24, 0
	s_branch .LBB80_12
.LBB80_26:
	s_endpgm
	.section	.rodata,"a",@progbits
	.p2align	6, 0x0
	.amdhsa_kernel _Z16wvSplitK_hf_sml_I6__halfLi32ELi4ELi16ELi8ELi2ELi3EEviiiiiiPKT_S3_S3_PS1_ii
		.amdhsa_group_segment_fixed_size 65536
		.amdhsa_private_segment_fixed_size 0
		.amdhsa_kernarg_size 64
		.amdhsa_user_sgpr_count 2
		.amdhsa_user_sgpr_dispatch_ptr 0
		.amdhsa_user_sgpr_queue_ptr 0
		.amdhsa_user_sgpr_kernarg_segment_ptr 1
		.amdhsa_user_sgpr_dispatch_id 0
		.amdhsa_user_sgpr_kernarg_preload_length 0
		.amdhsa_user_sgpr_kernarg_preload_offset 0
		.amdhsa_user_sgpr_private_segment_size 0
		.amdhsa_uses_dynamic_stack 0
		.amdhsa_enable_private_segment 0
		.amdhsa_system_sgpr_workgroup_id_x 1
		.amdhsa_system_sgpr_workgroup_id_y 0
		.amdhsa_system_sgpr_workgroup_id_z 0
		.amdhsa_system_sgpr_workgroup_info 0
		.amdhsa_system_vgpr_workitem_id 1
		.amdhsa_next_free_vgpr 85
		.amdhsa_next_free_sgpr 30
		.amdhsa_accum_offset 88
		.amdhsa_reserve_vcc 1
		.amdhsa_float_round_mode_32 0
		.amdhsa_float_round_mode_16_64 0
		.amdhsa_float_denorm_mode_32 3
		.amdhsa_float_denorm_mode_16_64 3
		.amdhsa_dx10_clamp 1
		.amdhsa_ieee_mode 1
		.amdhsa_fp16_overflow 0
		.amdhsa_tg_split 0
		.amdhsa_exception_fp_ieee_invalid_op 0
		.amdhsa_exception_fp_denorm_src 0
		.amdhsa_exception_fp_ieee_div_zero 0
		.amdhsa_exception_fp_ieee_overflow 0
		.amdhsa_exception_fp_ieee_underflow 0
		.amdhsa_exception_fp_ieee_inexact 0
		.amdhsa_exception_int_div_zero 0
	.end_amdhsa_kernel
	.section	.text._Z16wvSplitK_hf_sml_I6__halfLi32ELi4ELi16ELi8ELi2ELi3EEviiiiiiPKT_S3_S3_PS1_ii,"axG",@progbits,_Z16wvSplitK_hf_sml_I6__halfLi32ELi4ELi16ELi8ELi2ELi3EEviiiiiiPKT_S3_S3_PS1_ii,comdat
.Lfunc_end80:
	.size	_Z16wvSplitK_hf_sml_I6__halfLi32ELi4ELi16ELi8ELi2ELi3EEviiiiiiPKT_S3_S3_PS1_ii, .Lfunc_end80-_Z16wvSplitK_hf_sml_I6__halfLi32ELi4ELi16ELi8ELi2ELi3EEviiiiiiPKT_S3_S3_PS1_ii
                                        ; -- End function
	.section	.AMDGPU.csdata,"",@progbits
; Kernel info:
; codeLenInByte = 4508
; NumSgprs: 36
; NumVgprs: 85
; NumAgprs: 0
; TotalNumVgprs: 85
; ScratchSize: 0
; MemoryBound: 0
; FloatMode: 240
; IeeeMode: 1
; LDSByteSize: 65536 bytes/workgroup (compile time only)
; SGPRBlocks: 4
; VGPRBlocks: 10
; NumSGPRsForWavesPerEU: 36
; NumVGPRsForWavesPerEU: 85
; AccumOffset: 88
; Occupancy: 2
; WaveLimiterHint : 0
; COMPUTE_PGM_RSRC2:SCRATCH_EN: 0
; COMPUTE_PGM_RSRC2:USER_SGPR: 2
; COMPUTE_PGM_RSRC2:TRAP_HANDLER: 0
; COMPUTE_PGM_RSRC2:TGID_X_EN: 1
; COMPUTE_PGM_RSRC2:TGID_Y_EN: 0
; COMPUTE_PGM_RSRC2:TGID_Z_EN: 0
; COMPUTE_PGM_RSRC2:TIDIG_COMP_CNT: 1
; COMPUTE_PGM_RSRC3_GFX90A:ACCUM_OFFSET: 21
; COMPUTE_PGM_RSRC3_GFX90A:TG_SPLIT: 0
	.section	.text._Z12wvSplitK_hf_I6__halfLi32ELi4ELi16ELi8ELi2ELi3EEviiiiiiPKT_S3_S3_PS1_ii,"axG",@progbits,_Z12wvSplitK_hf_I6__halfLi32ELi4ELi16ELi8ELi2ELi3EEviiiiiiPKT_S3_S3_PS1_ii,comdat
	.protected	_Z12wvSplitK_hf_I6__halfLi32ELi4ELi16ELi8ELi2ELi3EEviiiiiiPKT_S3_S3_PS1_ii ; -- Begin function _Z12wvSplitK_hf_I6__halfLi32ELi4ELi16ELi8ELi2ELi3EEviiiiiiPKT_S3_S3_PS1_ii
	.globl	_Z12wvSplitK_hf_I6__halfLi32ELi4ELi16ELi8ELi2ELi3EEviiiiiiPKT_S3_S3_PS1_ii
	.p2align	8
	.type	_Z12wvSplitK_hf_I6__halfLi32ELi4ELi16ELi8ELi2ELi3EEviiiiiiPKT_S3_S3_PS1_ii,@function
_Z12wvSplitK_hf_I6__halfLi32ELi4ELi16ELi8ELi2ELi3EEviiiiiiPKT_S3_S3_PS1_ii: ; @_Z12wvSplitK_hf_I6__halfLi32ELi4ELi16ELi8ELi2ELi3EEviiiiiiPKT_S3_S3_PS1_ii
; %bb.0:
	s_load_dwordx2 s[8:9], s[0:1], 0x38
	s_load_dwordx2 s[10:11], s[0:1], 0x20
	s_load_dwordx4 s[12:15], s[0:1], 0x0
	s_load_dwordx2 s[20:21], s[0:1], 0x10
	v_bfe_u32 v8, v0, 10, 10
	s_waitcnt lgkmcnt(0)
	s_mul_i32 s2, s2, s8
	v_add_lshl_u32 v62, s2, v8, 2
	s_mov_b32 s4, 1
	v_add_u32_e32 v1, 4, v62
	s_mov_b32 s5, s4
	v_cmp_gt_u32_e32 vcc, s15, v62
	v_cmp_le_u32_e64 s[2:3], s15, v1
	s_mov_b32 s6, s4
	s_mov_b32 s7, s4
	v_mov_b64_e32 v[2:3], s[4:5]
	s_and_b64 s[16:17], vcc, s[2:3]
	v_mov_b64_e32 v[4:5], s[6:7]
	s_and_saveexec_b64 s[2:3], s[16:17]
	s_cbranch_execz .LBB81_6
; %bb.1:
	s_add_i32 s24, s15, -4
	v_mov_b64_e32 v[2:3], s[4:5]
	v_cmp_ne_u32_e32 vcc, s24, v62
	v_mov_b64_e32 v[4:5], s[6:7]
	s_and_saveexec_b64 s[16:17], vcc
	s_cbranch_execz .LBB81_5
; %bb.2:
	v_subrev_u32_e32 v1, s24, v62
	v_cmp_lt_u32_e32 vcc, 1, v1
	s_mov_b64 s[18:19], 0
	s_mov_b64 s[22:23], 0
	v_cndmask_b32_e32 v6, 1, v1, vcc
	s_mov_b32 s5, s4
	s_mov_b32 s6, s4
	;; [unrolled: 1-line block ×3, first 2 shown]
.LBB81_3:                               ; =>This Inner Loop Header: Depth=1
	s_cmp_lg_u32 s22, 3
	s_cselect_b32 s7, s7, 0
	s_cmp_lg_u32 s22, 2
	s_cselect_b32 s6, s6, 0
	;; [unrolled: 2-line block ×4, first 2 shown]
	s_add_u32 s22, s22, 1
	s_addc_u32 s23, s23, 0
	v_cmp_eq_u32_e32 vcc, s22, v6
	v_mov_b64_e32 v[2:3], s[4:5]
	s_or_b64 s[18:19], vcc, s[18:19]
	v_mov_b64_e32 v[4:5], s[6:7]
	s_andn2_b64 exec, exec, s[18:19]
	s_cbranch_execnz .LBB81_3
; %bb.4:
	s_or_b64 exec, exec, s[18:19]
	v_mov_b32_e32 v62, s24
.LBB81_5:
	s_or_b64 exec, exec, s[16:17]
.LBB81_6:
	s_or_b64 exec, exec, s[2:3]
	v_and_b32_e32 v9, 0x3ff, v0
	v_lshlrev_b32_e32 v82, 3, v9
	s_mul_i32 s2, s14, 3
	v_lshl_add_u32 v10, v8, 8, v82
	s_min_u32 s4, s2, 0x8000
	v_cmp_gt_u32_e32 vcc, s4, v10
	s_and_saveexec_b64 s[2:3], vcc
	s_cbranch_execz .LBB81_15
; %bb.7:
	v_lshlrev_b32_e32 v0, 1, v10
	global_load_dwordx4 v[12:15], v0, s[10:11]
	v_add_u32_e32 v1, 0x1000, v10
	v_cmp_gt_u32_e32 vcc, s4, v1
	s_waitcnt vmcnt(0)
	ds_write_b128 v0, v[12:15]
	s_and_saveexec_b64 s[6:7], vcc
	s_xor_b64 s[6:7], exec, s[6:7]
	s_cbranch_execz .LBB81_15
; %bb.8:
	v_mov_b32_e32 v1, 0
	v_lshl_add_u64 v[6:7], s[10:11], 0, v[0:1]
	v_add_co_u32_e32 v12, vcc, 0x2000, v6
	v_add_u32_e32 v1, 0x2000, v10
	s_nop 0
	v_addc_co_u32_e32 v13, vcc, 0, v7, vcc
	global_load_dwordx4 v[12:15], v[12:13], off
	v_cmp_gt_u32_e32 vcc, s4, v1
	s_waitcnt vmcnt(0)
	ds_write_b128 v0, v[12:15] offset:8192
	s_and_saveexec_b64 s[6:7], vcc
	s_xor_b64 s[6:7], exec, s[6:7]
	s_cbranch_execz .LBB81_15
; %bb.9:
	v_add_co_u32_e32 v12, vcc, 0x4000, v6
	v_add_u32_e32 v1, 0x3000, v10
	s_nop 0
	v_addc_co_u32_e32 v13, vcc, 0, v7, vcc
	global_load_dwordx4 v[12:15], v[12:13], off
	v_cmp_gt_u32_e32 vcc, s4, v1
	s_waitcnt vmcnt(0)
	ds_write_b128 v0, v[12:15] offset:16384
	s_and_saveexec_b64 s[6:7], vcc
	s_xor_b64 s[6:7], exec, s[6:7]
	s_cbranch_execz .LBB81_15
; %bb.10:
	;; [unrolled: 12-line block ×6, first 2 shown]
	v_add_co_u32_e32 v6, vcc, 0xe000, v6
	s_nop 1
	v_addc_co_u32_e32 v7, vcc, 0, v7, vcc
	global_load_dwordx4 v[10:13], v[6:7], off
	s_waitcnt vmcnt(0)
	ds_write_b128 v0, v[10:13] offset:57344
.LBB81_15:
	s_or_b64 exec, exec, s[2:3]
	v_cmp_gt_u32_e32 vcc, s8, v8
	v_cmp_gt_u32_e64 s[2:3], s15, v62
	s_and_b64 s[2:3], vcc, s[2:3]
	s_waitcnt lgkmcnt(0)
	s_barrier
	s_and_saveexec_b64 s[4:5], s[2:3]
	s_cbranch_execz .LBB81_82
; %bb.16:
	s_load_dwordx4 s[16:19], s[0:1], 0x28
	s_load_dwordx2 s[22:23], s[0:1], 0x18
	s_cmp_lg_u32 s12, 0
	s_cselect_b64 s[2:3], -1, 0
	s_add_i32 s33, s12, -8
	s_add_i32 s36, s15, -1
	s_mul_i32 s4, s8, s9
	s_waitcnt lgkmcnt(0)
	s_cmp_lg_u64 s[16:17], 0
	s_cselect_b64 s[26:27], -1, 0
	s_lshl_b32 s37, s4, 2
	s_abs_i32 s4, s21
	v_cvt_f32_u32_e32 v0, s20
	v_cvt_f32_u32_e32 v1, s4
	s_sub_i32 s5, 0, s20
	s_add_i32 s21, s15, -4
	v_rcp_iflag_f32_e32 v0, v0
	v_rcp_iflag_f32_e32 v1, v1
	v_cmp_eq_u32_e64 s[0:1], 31, v9
	s_mov_b64 s[24:25], 0
	v_mul_f32_e32 v0, 0x4f7ffffe, v0
	v_mul_f32_e32 v1, 0x4f7ffffe, v1
	v_cvt_u32_f32_e32 v0, v0
	v_cvt_u32_f32_e32 v7, v1
	v_mov_b32_e32 v1, 0
	v_lshlrev_b32_e32 v84, 4, v9
	v_mul_lo_u32 v6, s5, v0
	s_sub_i32 s5, 0, s4
	v_readfirstlane_b32 s6, v7
	s_mul_i32 s5, s5, s6
	s_mul_hi_u32 s5, s6, s5
	s_add_i32 s6, s6, s5
	s_sub_i32 s5, 1, s4
	s_cmp_lt_u32 s4, 2
	s_cselect_b32 s5, s5, 1
	s_sub_i32 s7, s5, s4
	s_cmp_ge_u32 s5, s4
	s_cselect_b32 s38, s7, s5
	s_lshr_b32 s5, s6, 31
	s_mul_i32 s5, s5, s4
	s_sub_i32 s5, 2, s5
	s_sub_i32 s6, s5, s4
	s_cmp_ge_u32 s5, s4
	s_cselect_b32 s5, s6, s5
	s_sub_i32 s6, s5, s4
	v_mul_hi_u32 v6, v0, v6
	s_cmp_ge_u32 s5, s4
	v_add_u32_e32 v83, v0, v6
	s_cselect_b32 s39, s6, s5
	s_lshl_b32 s40, s14, 1
	v_cndmask_b32_e64 v0, 0, 1, s[2:3]
	s_mul_i32 s38, s38, s20
	s_mul_i32 s39, s39, s20
	s_lshl_b32 s41, s14, 2
	v_add_u32_e32 v85, s40, v82
	v_add_u32_e32 v86, s14, v82
	v_cmp_ne_u32_e64 s[2:3], 1, v0
	s_movk_i32 s14, 0x7fff
	s_mov_b32 s28, 0
	s_branch .LBB81_19
.LBB81_17:                              ;   in Loop: Header=BB81_19 Depth=1
	s_or_b64 exec, exec, s[8:9]
	v_mov_b32_e32 v62, s21
.LBB81_18:                              ;   in Loop: Header=BB81_19 Depth=1
	s_or_b64 exec, exec, s[6:7]
	v_cmp_le_u32_e32 vcc, s15, v62
	s_or_b64 s[24:25], vcc, s[24:25]
	s_andn2_b64 exec, exec, s[24:25]
	s_cbranch_execz .LBB81_82
.LBB81_19:                              ; =>This Loop Header: Depth=1
                                        ;     Child Loop BB81_24 Depth 2
                                        ;     Child Loop BB81_69 Depth 2
	s_and_b64 vcc, exec, s[2:3]
	v_add_u32_e32 v68, 1, v62
	v_add_u32_e32 v66, 2, v62
	;; [unrolled: 1-line block ×3, first 2 shown]
	v_mov_b32_e32 v94, v1
	v_mov_b32_e32 v93, v1
	v_mov_b32_e32 v92, v1
	v_mov_b32_e32 v91, v1
	v_mov_b32_e32 v90, v1
	v_mov_b32_e32 v89, v1
	v_mov_b32_e32 v88, v1
	v_mov_b32_e32 v87, v1
	v_mov_b32_e32 v63, v1
	v_mov_b32_e32 v65, v1
	v_mov_b32_e32 v67, v1
	v_mov_b32_e32 v69, v1
	s_cbranch_vccnz .LBB81_50
; %bb.20:                               ;   in Loop: Header=BB81_19 Depth=1
	v_min_u32_e32 v0, s36, v62
	v_min_u32_e32 v6, s36, v68
	;; [unrolled: 1-line block ×4, first 2 shown]
	v_mul_lo_u32 v0, v0, s13
	v_mul_lo_u32 v6, v6, s13
	v_mov_b32_e32 v7, v1
	v_mul_lo_u32 v8, v8, s13
	v_mov_b32_e32 v9, v1
	;; [unrolled: 2-line block ×3, first 2 shown]
	v_mov_b32_e32 v69, 0
	v_lshlrev_b64 v[70:71], 1, v[0:1]
	v_lshlrev_b64 v[72:73], 1, v[6:7]
	;; [unrolled: 1-line block ×4, first 2 shown]
	v_mov_b32_e32 v95, v84
	v_mov_b32_e32 v67, 0
	;; [unrolled: 1-line block ×12, first 2 shown]
	s_mov_b32 s30, s28
	s_branch .LBB81_24
.LBB81_21:                              ;   in Loop: Header=BB81_24 Depth=2
	s_or_b64 exec, exec, s[8:9]
.LBB81_22:                              ;   in Loop: Header=BB81_24 Depth=2
	s_or_b64 exec, exec, s[6:7]
.LBB81_23:                              ;   in Loop: Header=BB81_24 Depth=2
	s_or_b64 exec, exec, s[4:5]
	s_waitcnt vmcnt(0) lgkmcnt(0)
	;;#ASMSTART
	v_dot2c_f32_f16 v94, v46, v34
	;;#ASMEND
	;;#ASMSTART
	v_dot2c_f32_f16 v93, v46, v30
	;;#ASMEND
	;;#ASMSTART
	v_dot2c_f32_f16 v92, v46, v26
	;;#ASMEND
	;;#ASMSTART
	v_dot2c_f32_f16 v91, v46, v22
	;;#ASMEND
	;;#ASMSTART
	v_dot2c_f32_f16 v90, v42, v34
	;;#ASMEND
	;;#ASMSTART
	v_dot2c_f32_f16 v89, v42, v30
	;;#ASMEND
	;;#ASMSTART
	v_dot2c_f32_f16 v88, v42, v26
	;;#ASMEND
	;;#ASMSTART
	v_dot2c_f32_f16 v87, v42, v22
	;;#ASMEND
	;;#ASMSTART
	v_dot2c_f32_f16 v69, v38, v34
	;;#ASMEND
	;;#ASMSTART
	v_dot2c_f32_f16 v67, v38, v30
	;;#ASMEND
	;;#ASMSTART
	v_dot2c_f32_f16 v65, v38, v26
	;;#ASMEND
	;;#ASMSTART
	v_dot2c_f32_f16 v63, v38, v22
	;;#ASMEND
	s_nop 0
	;;#ASMSTART
	v_dot2c_f32_f16 v94, v47, v35
	;;#ASMEND
	;;#ASMSTART
	v_dot2c_f32_f16 v93, v47, v31
	;;#ASMEND
	;;#ASMSTART
	v_dot2c_f32_f16 v92, v47, v27
	;;#ASMEND
	;;#ASMSTART
	v_dot2c_f32_f16 v91, v47, v23
	;;#ASMEND
	;;#ASMSTART
	v_dot2c_f32_f16 v90, v43, v35
	;;#ASMEND
	;;#ASMSTART
	v_dot2c_f32_f16 v89, v43, v31
	;;#ASMEND
	;;#ASMSTART
	v_dot2c_f32_f16 v88, v43, v27
	;;#ASMEND
	;;#ASMSTART
	v_dot2c_f32_f16 v87, v43, v23
	;;#ASMEND
	;;#ASMSTART
	v_dot2c_f32_f16 v69, v39, v35
	;;#ASMEND
	;;#ASMSTART
	v_dot2c_f32_f16 v67, v39, v31
	;;#ASMEND
	;;#ASMSTART
	v_dot2c_f32_f16 v65, v39, v27
	;;#ASMEND
	;;#ASMSTART
	v_dot2c_f32_f16 v63, v39, v23
	;;#ASMEND
	s_nop 0
	;; [unrolled: 37-line block ×5, first 2 shown]
	;;#ASMSTART
	v_dot2c_f32_f16 v94, v59, v19
	;;#ASMEND
	;;#ASMSTART
	v_dot2c_f32_f16 v93, v59, v15
	;;#ASMEND
	;; [unrolled: 3-line block ×12, first 2 shown]
	s_addk_i32 s30, 0x200
	;;#ASMSTART
	v_dot2c_f32_f16 v94, v60, v20
	;;#ASMEND
	;;#ASMSTART
	v_dot2c_f32_f16 v93, v60, v16
	;;#ASMEND
	;; [unrolled: 3-line block ×12, first 2 shown]
	s_cmp_ge_u32 s30, s12
	v_add_u32_e32 v95, 0x400, v95
	;;#ASMSTART
	v_dot2c_f32_f16 v94, v61, v21
	;;#ASMEND
	;;#ASMSTART
	v_dot2c_f32_f16 v93, v61, v17
	;;#ASMEND
	;; [unrolled: 3-line block ×12, first 2 shown]
	s_cbranch_scc1 .LBB81_50
.LBB81_24:                              ;   Parent Loop BB81_19 Depth=1
                                        ; =>  This Inner Loop Header: Depth=2
	v_add_u32_e32 v80, s30, v82
	v_min_u32_e32 v0, s33, v80
	v_lshl_add_u64 v[6:7], v[0:1], 1, s[22:23]
	v_lshl_add_u64 v[8:9], v[6:7], 0, v[70:71]
	v_add_u32_e32 v78, 0x100, v80
	v_lshl_add_u64 v[10:11], v[6:7], 0, v[72:73]
	global_load_dwordx4 v[34:37], v[8:9], off nt
	global_load_dwordx4 v[30:33], v[10:11], off nt
	v_lshl_add_u64 v[8:9], v[6:7], 0, v[74:75]
	v_lshl_add_u64 v[6:7], v[6:7], 0, v[76:77]
	v_min_u32_e32 v0, s33, v78
	global_load_dwordx4 v[26:29], v[8:9], off nt
	global_load_dwordx4 v[22:25], v[6:7], off nt
	v_lshl_add_u64 v[6:7], v[0:1], 1, s[22:23]
	v_lshl_add_u64 v[8:9], v[6:7], 0, v[70:71]
	;; [unrolled: 1-line block ×3, first 2 shown]
	s_waitcnt vmcnt(12)
	v_lshl_add_u64 v[38:39], v[6:7], 0, v[74:75]
	global_load_dwordx4 v[18:21], v[8:9], off nt
	global_load_dwordx4 v[14:17], v[10:11], off nt
	v_lshl_add_u64 v[40:41], v[6:7], 0, v[76:77]
	global_load_dwordx4 v[10:13], v[38:39], off nt
	global_load_dwordx4 v[6:9], v[40:41], off nt
	s_mov_b32 s29, s28
	v_cmp_gt_u32_e32 vcc, s12, v80
	v_mov_b64_e32 v[56:57], s[28:29]
	v_mov_b32_e32 v53, 0
	v_mov_b32_e32 v52, 0
	;; [unrolled: 1-line block ×4, first 2 shown]
	v_mov_b64_e32 v[54:55], s[28:29]
	v_mov_b64_e32 v[60:61], s[28:29]
	;; [unrolled: 1-line block ×9, first 2 shown]
	s_and_saveexec_b64 s[4:5], vcc
	s_cbranch_execz .LBB81_23
; %bb.25:                               ;   in Loop: Header=BB81_24 Depth=2
	v_cmp_lt_u32_e32 vcc, s14, v80
                                        ; implicit-def: $vgpr48_vgpr49
	s_and_saveexec_b64 s[6:7], vcc
	s_xor_b64 s[6:7], exec, s[6:7]
	s_cbranch_execz .LBB81_27
; %bb.26:                               ;   in Loop: Header=BB81_24 Depth=2
	v_mov_b32_e32 v81, v1
	v_lshl_add_u64 v[38:39], v[80:81], 1, s[10:11]
	global_load_dwordx4 v[46:49], v[38:39], off
.LBB81_27:                              ;   in Loop: Header=BB81_24 Depth=2
	s_andn2_saveexec_b64 s[6:7], s[6:7]
	s_cbranch_execz .LBB81_29
; %bb.28:                               ;   in Loop: Header=BB81_24 Depth=2
	s_waitcnt vmcnt(0)
	ds_read_b128 v[46:49], v95
.LBB81_29:                              ;   in Loop: Header=BB81_24 Depth=2
	s_or_b64 exec, exec, s[6:7]
	v_add_u32_e32 v0, s30, v86
	v_cmp_lt_u32_e32 vcc, s14, v0
                                        ; implicit-def: $vgpr44_vgpr45
	s_and_saveexec_b64 s[6:7], vcc
	s_xor_b64 s[6:7], exec, s[6:7]
	s_cbranch_execz .LBB81_31
; %bb.30:                               ;   in Loop: Header=BB81_24 Depth=2
	v_lshl_add_u64 v[38:39], v[0:1], 1, s[10:11]
	global_load_dwordx4 v[42:45], v[38:39], off
.LBB81_31:                              ;   in Loop: Header=BB81_24 Depth=2
	s_andn2_saveexec_b64 s[6:7], s[6:7]
	s_cbranch_execz .LBB81_33
; %bb.32:                               ;   in Loop: Header=BB81_24 Depth=2
	v_add_u32_e32 v38, s40, v95
	s_waitcnt vmcnt(0)
	ds_read_b128 v[42:45], v38
.LBB81_33:                              ;   in Loop: Header=BB81_24 Depth=2
	s_or_b64 exec, exec, s[6:7]
	v_add_u32_e32 v80, s30, v85
	v_cmp_lt_u32_e32 vcc, s14, v80
                                        ; implicit-def: $vgpr40_vgpr41
	s_and_saveexec_b64 s[6:7], vcc
	s_xor_b64 s[6:7], exec, s[6:7]
	s_cbranch_execz .LBB81_35
; %bb.34:                               ;   in Loop: Header=BB81_24 Depth=2
	v_mov_b32_e32 v81, v1
	v_lshl_add_u64 v[38:39], v[80:81], 1, s[10:11]
	global_load_dwordx4 v[38:41], v[38:39], off
.LBB81_35:                              ;   in Loop: Header=BB81_24 Depth=2
	s_andn2_saveexec_b64 s[6:7], s[6:7]
	s_cbranch_execz .LBB81_37
; %bb.36:                               ;   in Loop: Header=BB81_24 Depth=2
	s_waitcnt vmcnt(0)
	v_add_u32_e32 v40, s41, v95
	ds_read2_b32 v[38:39], v40 offset1:1
	ds_read2_b32 v[40:41], v40 offset0:2 offset1:3
.LBB81_37:                              ;   in Loop: Header=BB81_24 Depth=2
	s_or_b64 exec, exec, s[6:7]
	s_mov_b32 s29, s28
	v_cmp_gt_u32_e32 vcc, s12, v78
	v_mov_b32_e32 v53, 0
	v_mov_b64_e32 v[56:57], s[28:29]
	v_mov_b32_e32 v52, 0
	v_mov_b32_e32 v51, 0
	;; [unrolled: 1-line block ×3, first 2 shown]
	v_mov_b64_e32 v[54:55], s[28:29]
	v_mov_b64_e32 v[60:61], s[28:29]
	;; [unrolled: 1-line block ×3, first 2 shown]
	s_and_saveexec_b64 s[6:7], vcc
	s_cbranch_execz .LBB81_22
; %bb.38:                               ;   in Loop: Header=BB81_24 Depth=2
	v_cmp_lt_u32_e32 vcc, s14, v78
                                        ; implicit-def: $vgpr60_vgpr61
	s_and_saveexec_b64 s[8:9], vcc
	s_xor_b64 s[8:9], exec, s[8:9]
	s_cbranch_execz .LBB81_40
; %bb.39:                               ;   in Loop: Header=BB81_24 Depth=2
	v_mov_b32_e32 v79, v1
	v_lshl_add_u64 v[50:51], v[78:79], 1, s[10:11]
	global_load_dwordx4 v[58:61], v[50:51], off
.LBB81_40:                              ;   in Loop: Header=BB81_24 Depth=2
	s_andn2_saveexec_b64 s[8:9], s[8:9]
	s_cbranch_execz .LBB81_42
; %bb.41:                               ;   in Loop: Header=BB81_24 Depth=2
	s_waitcnt vmcnt(0)
	ds_read_b128 v[58:61], v95 offset:512
.LBB81_42:                              ;   in Loop: Header=BB81_24 Depth=2
	s_or_b64 exec, exec, s[8:9]
	v_add_u32_e32 v0, 0x100, v0
	v_cmp_lt_u32_e32 vcc, s14, v0
                                        ; implicit-def: $vgpr56_vgpr57
	s_and_saveexec_b64 s[8:9], vcc
	s_xor_b64 s[8:9], exec, s[8:9]
	s_cbranch_execz .LBB81_44
; %bb.43:                               ;   in Loop: Header=BB81_24 Depth=2
	v_lshl_add_u64 v[50:51], v[0:1], 1, s[10:11]
	global_load_dwordx4 v[54:57], v[50:51], off
.LBB81_44:                              ;   in Loop: Header=BB81_24 Depth=2
	s_andn2_saveexec_b64 s[8:9], s[8:9]
	s_cbranch_execz .LBB81_46
; %bb.45:                               ;   in Loop: Header=BB81_24 Depth=2
	v_add_u32_e32 v0, s40, v95
	s_waitcnt vmcnt(0)
	ds_read_b128 v[54:57], v0 offset:512
.LBB81_46:                              ;   in Loop: Header=BB81_24 Depth=2
	s_or_b64 exec, exec, s[8:9]
	v_add_u32_e32 v0, 0x100, v80
	v_cmp_lt_u32_e32 vcc, s14, v0
                                        ; implicit-def: $vgpr53
	s_and_saveexec_b64 s[8:9], vcc
	s_xor_b64 s[8:9], exec, s[8:9]
	s_cbranch_execz .LBB81_48
; %bb.47:                               ;   in Loop: Header=BB81_24 Depth=2
	v_lshl_add_u64 v[50:51], v[0:1], 1, s[10:11]
	global_load_dwordx4 v[50:53], v[50:51], off
.LBB81_48:                              ;   in Loop: Header=BB81_24 Depth=2
	s_andn2_saveexec_b64 s[8:9], s[8:9]
	s_cbranch_execz .LBB81_21
; %bb.49:                               ;   in Loop: Header=BB81_24 Depth=2
	v_add_u32_e32 v0, s41, v95
	s_waitcnt vmcnt(0)
	ds_read2_b32 v[50:51], v0 offset0:128 offset1:129
	ds_read2_b32 v[52:53], v0 offset0:130 offset1:131
	s_branch .LBB81_21
.LBB81_50:                              ;   in Loop: Header=BB81_19 Depth=1
	v_cvt_i32_f32_e32 v0, v94
	v_cvt_i32_f32_e32 v6, v93
	;; [unrolled: 1-line block ×4, first 2 shown]
	v_cvt_f32_i32_dpp v0, v0 row_shr:8 row_mask:0xf bank_mask:0xf bound_ctrl:1
	v_cvt_f32_i32_dpp v6, v6 row_shr:8 row_mask:0xf bank_mask:0xf bound_ctrl:1
	;; [unrolled: 1-line block ×4, first 2 shown]
	v_add_f32_e32 v0, v94, v0
	v_cvt_i32_f32_e32 v9, v0
	v_add_f32_e32 v6, v93, v6
	v_cvt_i32_f32_e32 v11, v6
	v_add_f32_e32 v7, v92, v7
	v_cvt_f32_i32_dpp v9, v9 row_shr:4 row_mask:0xf bank_mask:0xf bound_ctrl:1
	v_cvt_i32_f32_e32 v12, v7
	v_cvt_f32_i32_dpp v11, v11 row_shr:4 row_mask:0xf bank_mask:0xf bound_ctrl:1
	v_add_f32_e32 v8, v91, v8
	v_add_f32_e32 v0, v0, v9
	v_cvt_i32_f32_e32 v9, v0
	v_add_f32_e32 v6, v6, v11
	v_cvt_i32_f32_e32 v11, v6
	v_cvt_f32_i32_dpp v12, v12 row_shr:4 row_mask:0xf bank_mask:0xf bound_ctrl:1
	v_cvt_f32_i32_dpp v9, v9 row_shr:2 row_mask:0xf bank_mask:0xf bound_ctrl:1
	v_cvt_i32_f32_e32 v13, v8
	v_cvt_f32_i32_dpp v11, v11 row_shr:2 row_mask:0xf bank_mask:0xf bound_ctrl:1
	v_add_f32_e32 v7, v7, v12
	v_add_f32_e32 v0, v0, v9
	v_cvt_i32_f32_e32 v9, v0
	v_add_f32_e32 v6, v6, v11
	v_cvt_i32_f32_e32 v11, v6
	v_cvt_i32_f32_e32 v12, v7
	v_cvt_f32_i32_dpp v9, v9 row_shr:1 row_mask:0xf bank_mask:0xf bound_ctrl:1
	v_cvt_f32_i32_dpp v13, v13 row_shr:4 row_mask:0xf bank_mask:0xf bound_ctrl:1
	;; [unrolled: 1-line block ×4, first 2 shown]
	v_add_f32_e32 v0, v0, v9
	v_cvt_i32_f32_e32 v9, v0
	v_add_f32_e32 v6, v6, v11
	v_cvt_i32_f32_e32 v11, v6
	v_add_f32_e32 v12, v7, v12
	v_cvt_f32_i32_dpp v9, v9 row_bcast:15 row_mask:0xf bank_mask:0xf bound_ctrl:1
	v_cvt_i32_f32_e32 v10, v90
	v_cvt_i32_f32_e32 v7, v12
	v_cvt_f32_i32_dpp v11, v11 row_bcast:15 row_mask:0xf bank_mask:0xf bound_ctrl:1
	v_add_f32_e32 v9, v0, v9
	v_cvt_i32_f32_e32 v0, v9
	v_add_f32_e32 v8, v8, v13
	v_cvt_f32_i32_dpp v13, v7 row_shr:1 row_mask:0xf bank_mask:0xf bound_ctrl:1
	v_add_f32_e32 v7, v6, v11
	v_mov_b32_dpp v11, v0 row_bcast:31 row_mask:0xf bank_mask:0xf bound_ctrl:1
	v_cvt_i32_f32_e32 v0, v8
	v_cvt_f32_i32_dpp v10, v10 row_shr:8 row_mask:0xf bank_mask:0xf bound_ctrl:1
	v_add_f32_e32 v12, v12, v13
	v_cvt_i32_f32_e32 v13, v12
	v_cvt_f32_i32_dpp v0, v0 row_shr:2 row_mask:0xf bank_mask:0xf bound_ctrl:1
	v_add_f32_e32 v14, v90, v10
	v_cvt_i32_f32_e32 v10, v14
	v_cvt_i32_f32_e32 v6, v7
	v_add_f32_e32 v0, v8, v0
	v_cvt_i32_f32_e32 v8, v0
	v_cvt_f32_i32_dpp v13, v13 row_bcast:15 row_mask:0xf bank_mask:0xf bound_ctrl:1
	v_cvt_f32_i32_dpp v15, v10 row_shr:4 row_mask:0xf bank_mask:0xf bound_ctrl:1
	v_mov_b32_dpp v10, v6 row_bcast:31 row_mask:0xf bank_mask:0xf bound_ctrl:1
	v_cvt_f32_i32_dpp v8, v8 row_shr:1 row_mask:0xf bank_mask:0xf bound_ctrl:1
	v_add_f32_e32 v6, v12, v13
	v_add_f32_e32 v12, v14, v15
	v_cvt_i32_f32_e32 v13, v12
	v_add_f32_e32 v0, v0, v8
	v_cvt_i32_f32_e32 v8, v89
	v_cvt_i32_f32_e32 v14, v0
	v_cvt_f32_i32_dpp v13, v13 row_shr:2 row_mask:0xf bank_mask:0xf bound_ctrl:1
	v_cvt_i32_f32_e32 v15, v6
	v_cvt_f32_i32_dpp v8, v8 row_shr:8 row_mask:0xf bank_mask:0xf bound_ctrl:1
	v_cvt_f32_i32_dpp v14, v14 row_bcast:15 row_mask:0xf bank_mask:0xf bound_ctrl:1
	v_add_f32_e32 v13, v12, v13
	v_cvt_i32_f32_e32 v16, v13
	v_add_f32_e32 v17, v89, v8
	v_cvt_i32_f32_e32 v18, v17
	v_mov_b32_dpp v12, v15 row_bcast:31 row_mask:0xf bank_mask:0xf bound_ctrl:1
	v_cvt_f32_i32_dpp v15, v16 row_shr:1 row_mask:0xf bank_mask:0xf bound_ctrl:1
	v_add_f32_e32 v8, v0, v14
	v_cvt_f32_i32_dpp v0, v18 row_shr:4 row_mask:0xf bank_mask:0xf bound_ctrl:1
	v_cvt_i32_f32_e32 v14, v8
	v_add_f32_e32 v15, v13, v15
	v_cvt_i32_f32_e32 v13, v88
	v_add_f32_e32 v0, v17, v0
	v_cvt_i32_f32_e32 v16, v0
	v_cvt_i32_f32_e32 v17, v15
	v_cvt_f32_i32_dpp v18, v13 row_shr:8 row_mask:0xf bank_mask:0xf bound_ctrl:1
	v_mov_b32_dpp v13, v14 row_bcast:31 row_mask:0xf bank_mask:0xf bound_ctrl:1
	v_cvt_f32_i32_dpp v14, v16 row_shr:2 row_mask:0xf bank_mask:0xf bound_ctrl:1
	v_cvt_f32_i32_dpp v16, v17 row_bcast:15 row_mask:0xf bank_mask:0xf bound_ctrl:1
	v_add_f32_e32 v17, v88, v18
	v_cvt_i32_f32_e32 v18, v17
	v_cvt_i32_f32_e32 v19, v87
	v_add_f32_e32 v0, v0, v14
	v_add_f32_e32 v14, v15, v16
	v_cvt_f32_i32_dpp v18, v18 row_shr:4 row_mask:0xf bank_mask:0xf bound_ctrl:1
	v_cvt_f32_i32_dpp v15, v19 row_shr:8 row_mask:0xf bank_mask:0xf bound_ctrl:1
	v_cvt_i32_f32_e32 v20, v0
	v_add_f32_e32 v17, v17, v18
	v_cvt_i32_f32_e32 v18, v17
	v_add_f32_e32 v15, v87, v15
	v_cvt_f32_i32_dpp v16, v20 row_shr:1 row_mask:0xf bank_mask:0xf bound_ctrl:1
	v_cvt_i32_f32_e32 v19, v15
	v_cvt_f32_i32_dpp v18, v18 row_shr:2 row_mask:0xf bank_mask:0xf bound_ctrl:1
	v_cvt_i32_f32_e32 v20, v14
	v_add_f32_e32 v0, v0, v16
	v_cvt_f32_i32_dpp v16, v19 row_shr:4 row_mask:0xf bank_mask:0xf bound_ctrl:1
	v_add_f32_e32 v17, v17, v18
	v_cvt_i32_f32_e32 v19, v0
	v_cvt_i32_f32_e32 v18, v17
	v_add_f32_e32 v16, v15, v16
	v_cvt_i32_f32_e32 v15, v16
	v_cvt_f32_i32_dpp v19, v19 row_bcast:15 row_mask:0xf bank_mask:0xf bound_ctrl:1
	v_cvt_f32_i32_dpp v18, v18 row_shr:1 row_mask:0xf bank_mask:0xf bound_ctrl:1
	v_mov_b32_dpp v20, v20 row_bcast:31 row_mask:0xf bank_mask:0xf bound_ctrl:1
	v_cvt_f32_i32_dpp v21, v15 row_shr:2 row_mask:0xf bank_mask:0xf bound_ctrl:1
	v_add_f32_e32 v15, v0, v19
	v_add_f32_e32 v0, v17, v18
	v_cvt_i32_f32_e32 v17, v69
	v_add_f32_e32 v16, v16, v21
	v_cvt_i32_f32_e32 v18, v16
	v_cvt_i32_f32_e32 v19, v0
	v_cvt_f32_i32_dpp v17, v17 row_shr:8 row_mask:0xf bank_mask:0xf bound_ctrl:1
	v_cvt_i32_f32_e32 v21, v15
	v_cvt_f32_i32_dpp v18, v18 row_shr:1 row_mask:0xf bank_mask:0xf bound_ctrl:1
	v_cvt_f32_i32_dpp v19, v19 row_bcast:15 row_mask:0xf bank_mask:0xf bound_ctrl:1
	v_add_f32_e32 v17, v69, v17
	v_cvt_i32_f32_e32 v23, v17
	v_add_f32_e32 v18, v16, v18
	v_mov_b32_dpp v22, v21 row_bcast:31 row_mask:0xf bank_mask:0xf bound_ctrl:1
	v_cvt_i32_f32_e32 v24, v18
	v_cvt_f32_i32_dpp v21, v23 row_shr:4 row_mask:0xf bank_mask:0xf bound_ctrl:1
	v_add_f32_e32 v16, v0, v19
	v_cvt_i32_f32_e32 v19, v67
	v_cvt_f32_i32_dpp v0, v24 row_bcast:15 row_mask:0xf bank_mask:0xf bound_ctrl:1
	v_add_f32_e32 v21, v17, v21
	v_cvt_i32_f32_e32 v23, v21
	v_cvt_f32_i32_dpp v19, v19 row_shr:8 row_mask:0xf bank_mask:0xf bound_ctrl:1
	v_add_f32_e32 v17, v18, v0
	v_cvt_i32_f32_e32 v18, v17
	v_cvt_f32_i32_dpp v0, v23 row_shr:2 row_mask:0xf bank_mask:0xf bound_ctrl:1
	v_add_f32_e32 v23, v67, v19
	v_cvt_i32_f32_e32 v19, v23
	v_cvt_i32_f32_e32 v24, v16
	v_add_f32_e32 v0, v21, v0
	v_cvt_i32_f32_e32 v21, v0
	v_cvt_f32_i32_dpp v25, v19 row_shr:4 row_mask:0xf bank_mask:0xf bound_ctrl:1
	v_mov_b32_dpp v19, v18 row_bcast:31 row_mask:0xf bank_mask:0xf bound_ctrl:1
	v_mov_b32_dpp v24, v24 row_bcast:31 row_mask:0xf bank_mask:0xf bound_ctrl:1
	v_cvt_f32_i32_dpp v18, v21 row_shr:1 row_mask:0xf bank_mask:0xf bound_ctrl:1
	v_cvt_i32_f32_e32 v21, v65
	v_add_f32_e32 v23, v23, v25
	v_cvt_i32_f32_e32 v25, v63
	v_add_f32_e32 v0, v0, v18
	v_cvt_f32_i32_dpp v21, v21 row_shr:8 row_mask:0xf bank_mask:0xf bound_ctrl:1
	v_cvt_i32_f32_e32 v26, v23
	v_cvt_f32_i32_dpp v18, v25 row_shr:8 row_mask:0xf bank_mask:0xf bound_ctrl:1
	v_cvt_i32_f32_e32 v28, v0
	v_add_f32_e32 v21, v65, v21
	v_cvt_f32_i32_dpp v25, v26 row_shr:2 row_mask:0xf bank_mask:0xf bound_ctrl:1
	v_add_f32_e32 v18, v63, v18
	v_cvt_i32_f32_e32 v26, v21
	v_cvt_i32_f32_e32 v27, v18
	v_add_f32_e32 v23, v23, v25
	v_cvt_f32_i32_dpp v28, v28 row_bcast:15 row_mask:0xf bank_mask:0xf bound_ctrl:1
	v_cvt_f32_i32_dpp v26, v26 row_shr:4 row_mask:0xf bank_mask:0xf bound_ctrl:1
	v_cvt_f32_i32_dpp v25, v27 row_shr:4 row_mask:0xf bank_mask:0xf bound_ctrl:1
	v_cvt_i32_f32_e32 v27, v23
	v_add_f32_e32 v21, v21, v26
	v_add_f32_e32 v18, v18, v25
	v_cvt_i32_f32_e32 v26, v21
	v_cvt_i32_f32_e32 v25, v18
	v_cvt_f32_i32_dpp v27, v27 row_shr:1 row_mask:0xf bank_mask:0xf bound_ctrl:1
	v_cvt_f32_i32_dpp v26, v26 row_shr:2 row_mask:0xf bank_mask:0xf bound_ctrl:1
	;; [unrolled: 1-line block ×3, first 2 shown]
	v_add_f32_e32 v23, v23, v27
	v_add_f32_e32 v27, v0, v28
	;; [unrolled: 1-line block ×4, first 2 shown]
	v_cvt_i32_f32_e32 v26, v21
	v_cvt_i32_f32_e32 v25, v18
	;; [unrolled: 1-line block ×4, first 2 shown]
	v_cvt_f32_i32_dpp v26, v26 row_shr:1 row_mask:0xf bank_mask:0xf bound_ctrl:1
	v_cvt_f32_i32_dpp v0, v25 row_shr:1 row_mask:0xf bank_mask:0xf bound_ctrl:1
	v_cvt_f32_i32_dpp v25, v29 row_bcast:15 row_mask:0xf bank_mask:0xf bound_ctrl:1
	v_add_f32_e32 v21, v21, v26
	v_add_f32_e32 v0, v18, v0
	v_cvt_i32_f32_e32 v26, v21
	v_cvt_i32_f32_e32 v18, v0
	s_nop 0
	v_cvt_f32_i32_dpp v29, v26 row_bcast:15 row_mask:0xf bank_mask:0xf bound_ctrl:1
	v_cvt_f32_i32_dpp v18, v18 row_bcast:15 row_mask:0xf bank_mask:0xf bound_ctrl:1
	v_add_f32_e32 v26, v23, v25
	v_cvt_i32_f32_e32 v25, v26
	v_add_f32_e32 v23, v21, v29
	v_add_f32_e32 v18, v0, v18
	v_cvt_i32_f32_e32 v21, v23
	v_cvt_i32_f32_e32 v0, v18
	v_mov_b32_dpp v29, v28 row_bcast:31 row_mask:0xf bank_mask:0xf bound_ctrl:1
	v_mov_b32_dpp v28, v25 row_bcast:31 row_mask:0xf bank_mask:0xf bound_ctrl:1
	v_mov_b32_dpp v25, v21 row_bcast:31 row_mask:0xf bank_mask:0xf bound_ctrl:1
	v_mov_b32_dpp v21, v0 row_bcast:31 row_mask:0xf bank_mask:0xf bound_ctrl:1
	s_and_saveexec_b64 s[30:31], s[0:1]
	s_cbranch_execz .LBB81_66
; %bb.51:                               ;   in Loop: Header=BB81_19 Depth=1
	s_andn2_b64 vcc, exec, s[26:27]
	s_waitcnt vmcnt(11)
	v_mov_b32_e32 v41, 0
	s_waitcnt vmcnt(10)
	v_mov_b32_e32 v40, 0
	;; [unrolled: 2-line block ×12, first 2 shown]
	s_cbranch_vccnz .LBB81_53
; %bb.52:                               ;   in Loop: Header=BB81_19 Depth=1
	v_mul_hi_u32 v0, v62, v83
	v_mul_lo_u32 v0, v0, s20
	v_sub_u32_e32 v0, v62, v0
	v_subrev_u32_e32 v30, s20, v0
	v_cmp_le_u32_e32 vcc, s20, v0
	v_mul_hi_u32 v32, v68, v83
	v_mul_lo_u32 v32, v32, s20
	v_cndmask_b32_e32 v0, v0, v30, vcc
	v_subrev_u32_e32 v30, s20, v0
	v_cmp_le_u32_e32 vcc, s20, v0
	v_sub_u32_e32 v32, v68, v32
	v_subrev_u32_e32 v33, s20, v32
	v_cndmask_b32_e32 v0, v0, v30, vcc
	v_cmp_le_u32_e32 vcc, s20, v32
	v_mov_b32_e32 v35, v1
	v_add_u32_e32 v36, s38, v0
	v_cndmask_b32_e32 v32, v32, v33, vcc
	v_subrev_u32_e32 v33, s20, v32
	v_cmp_le_u32_e32 vcc, s20, v32
	v_mov_b32_e32 v37, v1
	v_lshl_add_u64 v[50:51], v[36:37], 1, s[16:17]
	v_cndmask_b32_e32 v32, v32, v33, vcc
	v_mov_b32_e32 v33, v1
	v_lshl_add_u64 v[42:43], v[32:33], 1, s[16:17]
	v_mul_hi_u32 v33, v66, v83
	v_mul_lo_u32 v33, v33, s20
	v_sub_u32_e32 v33, v66, v33
	v_subrev_u32_e32 v34, s20, v33
	v_cmp_le_u32_e32 vcc, s20, v33
	v_add_u32_e32 v36, s38, v32
	v_lshl_add_u64 v[52:53], v[36:37], 1, s[16:17]
	v_cndmask_b32_e32 v33, v33, v34, vcc
	v_subrev_u32_e32 v34, s20, v33
	v_cmp_le_u32_e32 vcc, s20, v33
	v_lshl_add_u64 v[30:31], v[0:1], 1, s[16:17]
	v_mov_b32_e32 v47, v1
	v_cndmask_b32_e32 v34, v33, v34, vcc
	v_mul_hi_u32 v33, v64, v83
	v_mul_lo_u32 v33, v33, s20
	v_sub_u32_e32 v33, v64, v33
	v_lshl_add_u64 v[44:45], v[34:35], 1, s[16:17]
	v_subrev_u32_e32 v35, s20, v33
	v_cmp_le_u32_e32 vcc, s20, v33
	v_add_u32_e32 v36, s38, v34
	v_lshl_add_u64 v[54:55], v[36:37], 1, s[16:17]
	v_cndmask_b32_e32 v33, v33, v35, vcc
	v_subrev_u32_e32 v35, s20, v33
	v_cmp_le_u32_e32 vcc, s20, v33
	v_add_u32_e32 v0, s39, v0
	s_nop 0
	v_cndmask_b32_e32 v46, v33, v35, vcc
	v_add_u32_e32 v36, s38, v46
	v_lshl_add_u64 v[48:49], v[46:47], 1, s[16:17]
	v_lshl_add_u64 v[56:57], v[36:37], 1, s[16:17]
	global_load_ushort v41, v[30:31], off
	global_load_ushort v40, v[42:43], off
	;; [unrolled: 1-line block ×8, first 2 shown]
	v_lshl_add_u64 v[42:43], v[0:1], 1, s[16:17]
	v_add_u32_e32 v0, s39, v32
	v_lshl_add_u64 v[44:45], v[0:1], 1, s[16:17]
	v_add_u32_e32 v0, s39, v34
	;; [unrolled: 2-line block ×3, first 2 shown]
	v_lshl_add_u64 v[46:47], v[0:1], 1, s[16:17]
	global_load_ushort v34, v[42:43], off
	global_load_ushort v32, v[44:45], off
	;; [unrolled: 1-line block ×4, first 2 shown]
.LBB81_53:                              ;   in Loop: Header=BB81_19 Depth=1
	v_cmp_ne_u32_e32 vcc, 0, v2
	s_and_saveexec_b64 s[4:5], vcc
	s_cbranch_execnz .LBB81_71
; %bb.54:                               ;   in Loop: Header=BB81_19 Depth=1
	s_or_b64 exec, exec, s[4:5]
	v_cmp_ne_u32_e64 s[4:5], 0, v3
	s_and_saveexec_b64 s[6:7], s[4:5]
	s_cbranch_execnz .LBB81_72
.LBB81_55:                              ;   in Loop: Header=BB81_19 Depth=1
	s_or_b64 exec, exec, s[6:7]
	v_cmp_ne_u32_e64 s[6:7], 0, v4
	s_and_saveexec_b64 s[8:9], s[6:7]
	s_cbranch_execnz .LBB81_73
.LBB81_56:                              ;   in Loop: Header=BB81_19 Depth=1
	s_or_b64 exec, exec, s[8:9]
	v_cmp_ne_u32_e64 s[8:9], 0, v5
	s_and_saveexec_b64 s[34:35], s[8:9]
	s_cbranch_execnz .LBB81_74
.LBB81_57:                              ;   in Loop: Header=BB81_19 Depth=1
	s_or_b64 exec, exec, s[34:35]
	v_add_u32_e32 v0, s15, v62
	s_and_saveexec_b64 s[34:35], vcc
	s_cbranch_execnz .LBB81_75
.LBB81_58:                              ;   in Loop: Header=BB81_19 Depth=1
	s_or_b64 exec, exec, s[34:35]
	s_and_saveexec_b64 s[34:35], s[4:5]
	s_cbranch_execnz .LBB81_76
.LBB81_59:                              ;   in Loop: Header=BB81_19 Depth=1
	s_or_b64 exec, exec, s[34:35]
	s_and_saveexec_b64 s[34:35], s[6:7]
	s_cbranch_execnz .LBB81_77
.LBB81_60:                              ;   in Loop: Header=BB81_19 Depth=1
	s_or_b64 exec, exec, s[34:35]
	s_and_saveexec_b64 s[34:35], s[8:9]
	s_cbranch_execnz .LBB81_78
.LBB81_61:                              ;   in Loop: Header=BB81_19 Depth=1
	s_or_b64 exec, exec, s[34:35]
	v_add_u32_e32 v0, s15, v0
	s_and_saveexec_b64 s[34:35], vcc
	s_cbranch_execnz .LBB81_79
.LBB81_62:                              ;   in Loop: Header=BB81_19 Depth=1
	s_or_b64 exec, exec, s[34:35]
	s_and_saveexec_b64 s[34:35], s[4:5]
	s_cbranch_execnz .LBB81_80
.LBB81_63:                              ;   in Loop: Header=BB81_19 Depth=1
	s_or_b64 exec, exec, s[34:35]
	s_and_saveexec_b64 s[4:5], s[6:7]
	s_cbranch_execnz .LBB81_81
.LBB81_64:                              ;   in Loop: Header=BB81_19 Depth=1
	s_or_b64 exec, exec, s[4:5]
	s_and_b64 exec, exec, s[8:9]
	s_cbranch_execz .LBB81_66
.LBB81_65:                              ;   in Loop: Header=BB81_19 Depth=1
	v_cvt_f32_i32_e32 v6, v21
	s_waitcnt vmcnt(0)
	v_cvt_f32_f16_e32 v7, v30
	v_add_u32_e32 v0, 3, v0
	v_add_f32_e32 v6, v18, v6
	v_add_f32_e32 v6, v6, v7
	v_cvt_f16_f32_e32 v8, v6
	v_lshl_add_u64 v[6:7], v[0:1], 1, s[18:19]
	global_store_short v[6:7], v8, off
.LBB81_66:                              ;   in Loop: Header=BB81_19 Depth=1
	s_or_b64 exec, exec, s[30:31]
	v_add_u32_e32 v62, s37, v62
	v_add_u32_e32 v0, 4, v62
	v_cmp_gt_u32_e32 vcc, s15, v62
	v_cmp_le_u32_e64 s[4:5], s15, v0
	s_and_b64 s[4:5], vcc, s[4:5]
	s_and_saveexec_b64 s[6:7], s[4:5]
	s_cbranch_execz .LBB81_18
; %bb.67:                               ;   in Loop: Header=BB81_19 Depth=1
	v_cmp_ne_u32_e32 vcc, s21, v62
	s_and_saveexec_b64 s[8:9], vcc
	s_cbranch_execz .LBB81_17
; %bb.68:                               ;   in Loop: Header=BB81_19 Depth=1
	v_subrev_u32_e32 v0, s21, v62
	v_cmp_lt_u32_e32 vcc, 1, v0
	s_mov_b64 s[30:31], 0
	s_mov_b64 s[34:35], 0
	v_cndmask_b32_e32 v0, 1, v0, vcc
.LBB81_69:                              ;   Parent Loop BB81_19 Depth=1
                                        ; =>  This Inner Loop Header: Depth=2
	s_cmp_lg_u32 s34, 3
	s_cselect_b64 vcc, -1, 0
	s_cmp_lg_u32 s34, 2
	v_cndmask_b32_e32 v5, 0, v5, vcc
	s_cselect_b64 vcc, -1, 0
	s_cmp_lg_u32 s34, 1
	v_cndmask_b32_e32 v4, 0, v4, vcc
	s_cselect_b64 vcc, -1, 0
	s_cmp_lg_u32 s34, 0
	v_cndmask_b32_e32 v3, 0, v3, vcc
	s_cselect_b64 vcc, -1, 0
	s_add_u32 s34, s34, 1
	s_addc_u32 s35, s35, 0
	v_cmp_eq_u32_e64 s[4:5], s34, v0
	s_or_b64 s[30:31], s[4:5], s[30:31]
	v_cndmask_b32_e32 v2, 0, v2, vcc
	s_andn2_b64 exec, exec, s[30:31]
	s_cbranch_execnz .LBB81_69
; %bb.70:                               ;   in Loop: Header=BB81_19 Depth=1
	s_or_b64 exec, exec, s[30:31]
	s_branch .LBB81_17
.LBB81_71:                              ;   in Loop: Header=BB81_19 Depth=1
	v_cvt_f32_i32_e32 v0, v11
	s_waitcnt vmcnt(11)
	v_cvt_f32_f16_e32 v11, v41
	v_mov_b32_e32 v63, v1
	v_lshl_add_u64 v[42:43], v[62:63], 1, s[18:19]
	v_add_f32_e32 v0, v9, v0
	v_add_f32_e32 v0, v0, v11
	v_cvt_f16_f32_e32 v0, v0
	global_store_short v[42:43], v0, off
	s_or_b64 exec, exec, s[4:5]
	v_cmp_ne_u32_e64 s[4:5], 0, v3
	s_and_saveexec_b64 s[6:7], s[4:5]
	s_cbranch_execz .LBB81_55
.LBB81_72:                              ;   in Loop: Header=BB81_19 Depth=1
	v_cvt_f32_i32_e32 v0, v10
	s_waitcnt vmcnt(10)
	v_cvt_f32_f16_e32 v9, v40
	v_mov_b32_e32 v69, v1
	v_lshl_add_u64 v[10:11], v[68:69], 1, s[18:19]
	v_add_f32_e32 v0, v7, v0
	v_add_f32_e32 v0, v0, v9
	v_cvt_f16_f32_e32 v0, v0
	global_store_short v[10:11], v0, off
	s_or_b64 exec, exec, s[6:7]
	v_cmp_ne_u32_e64 s[6:7], 0, v4
	s_and_saveexec_b64 s[8:9], s[6:7]
	s_cbranch_execz .LBB81_56
.LBB81_73:                              ;   in Loop: Header=BB81_19 Depth=1
	v_cvt_f32_i32_e32 v0, v12
	s_waitcnt vmcnt(9)
	v_cvt_f32_f16_e32 v7, v39
	v_mov_b32_e32 v67, v1
	v_add_f32_e32 v0, v6, v0
	v_add_f32_e32 v0, v0, v7
	v_cvt_f16_f32_e32 v0, v0
	v_lshl_add_u64 v[6:7], v[66:67], 1, s[18:19]
	global_store_short v[6:7], v0, off
	s_or_b64 exec, exec, s[8:9]
	v_cmp_ne_u32_e64 s[8:9], 0, v5
	s_and_saveexec_b64 s[34:35], s[8:9]
	s_cbranch_execz .LBB81_57
.LBB81_74:                              ;   in Loop: Header=BB81_19 Depth=1
	v_cvt_f32_i32_e32 v0, v13
	s_waitcnt vmcnt(8)
	v_cvt_f32_f16_e32 v6, v38
	v_mov_b32_e32 v65, v1
	v_add_f32_e32 v0, v8, v0
	v_add_f32_e32 v0, v0, v6
	v_cvt_f16_f32_e32 v0, v0
	v_lshl_add_u64 v[6:7], v[64:65], 1, s[18:19]
	global_store_short v[6:7], v0, off
	s_or_b64 exec, exec, s[34:35]
	v_add_u32_e32 v0, s15, v62
	s_and_saveexec_b64 s[34:35], vcc
	s_cbranch_execz .LBB81_58
.LBB81_75:                              ;   in Loop: Header=BB81_19 Depth=1
	v_cvt_f32_i32_e32 v6, v20
	s_waitcnt vmcnt(7)
	v_cvt_f32_f16_e32 v7, v37
	v_add_f32_e32 v6, v14, v6
	v_add_f32_e32 v6, v6, v7
	v_cvt_f16_f32_e32 v8, v6
	v_lshl_add_u64 v[6:7], v[0:1], 1, s[18:19]
	global_store_short v[6:7], v8, off
	s_or_b64 exec, exec, s[34:35]
	s_and_saveexec_b64 s[34:35], s[4:5]
	s_cbranch_execz .LBB81_59
.LBB81_76:                              ;   in Loop: Header=BB81_19 Depth=1
	v_cvt_f32_i32_e32 v6, v22
	s_waitcnt vmcnt(6)
	v_cvt_f32_f16_e32 v7, v36
	v_add_f32_e32 v6, v15, v6
	v_add_f32_e32 v6, v6, v7
	v_cvt_f16_f32_e32 v8, v6
	v_add_u32_e32 v6, 1, v0
	v_mov_b32_e32 v7, v1
	v_lshl_add_u64 v[6:7], v[6:7], 1, s[18:19]
	global_store_short v[6:7], v8, off
	s_or_b64 exec, exec, s[34:35]
	s_and_saveexec_b64 s[34:35], s[6:7]
	s_cbranch_execz .LBB81_60
.LBB81_77:                              ;   in Loop: Header=BB81_19 Depth=1
	v_cvt_f32_i32_e32 v6, v24
	s_waitcnt vmcnt(5)
	v_cvt_f32_f16_e32 v7, v35
	v_add_f32_e32 v6, v16, v6
	v_add_f32_e32 v6, v6, v7
	v_cvt_f16_f32_e32 v8, v6
	v_add_u32_e32 v6, 2, v0
	v_mov_b32_e32 v7, v1
	v_lshl_add_u64 v[6:7], v[6:7], 1, s[18:19]
	global_store_short v[6:7], v8, off
	s_or_b64 exec, exec, s[34:35]
	s_and_saveexec_b64 s[34:35], s[8:9]
	s_cbranch_execz .LBB81_61
.LBB81_78:                              ;   in Loop: Header=BB81_19 Depth=1
	v_cvt_f32_i32_e32 v6, v19
	s_waitcnt vmcnt(4)
	v_cvt_f32_f16_e32 v7, v33
	v_add_f32_e32 v6, v17, v6
	v_add_f32_e32 v6, v6, v7
	v_cvt_f16_f32_e32 v8, v6
	v_add_u32_e32 v6, 3, v0
	v_mov_b32_e32 v7, v1
	v_lshl_add_u64 v[6:7], v[6:7], 1, s[18:19]
	global_store_short v[6:7], v8, off
	s_or_b64 exec, exec, s[34:35]
	v_add_u32_e32 v0, s15, v0
	s_and_saveexec_b64 s[34:35], vcc
	s_cbranch_execz .LBB81_62
.LBB81_79:                              ;   in Loop: Header=BB81_19 Depth=1
	v_cvt_f32_i32_e32 v6, v29
	s_waitcnt vmcnt(3)
	v_cvt_f32_f16_e32 v7, v34
	v_add_f32_e32 v6, v27, v6
	v_add_f32_e32 v6, v6, v7
	v_cvt_f16_f32_e32 v8, v6
	v_lshl_add_u64 v[6:7], v[0:1], 1, s[18:19]
	global_store_short v[6:7], v8, off
	s_or_b64 exec, exec, s[34:35]
	s_and_saveexec_b64 s[34:35], s[4:5]
	s_cbranch_execz .LBB81_63
.LBB81_80:                              ;   in Loop: Header=BB81_19 Depth=1
	v_cvt_f32_i32_e32 v6, v28
	s_waitcnt vmcnt(2)
	v_cvt_f32_f16_e32 v7, v32
	v_add_f32_e32 v6, v26, v6
	v_add_f32_e32 v6, v6, v7
	v_cvt_f16_f32_e32 v8, v6
	v_add_u32_e32 v6, 1, v0
	v_mov_b32_e32 v7, v1
	v_lshl_add_u64 v[6:7], v[6:7], 1, s[18:19]
	global_store_short v[6:7], v8, off
	s_or_b64 exec, exec, s[34:35]
	s_and_saveexec_b64 s[4:5], s[6:7]
	s_cbranch_execz .LBB81_64
.LBB81_81:                              ;   in Loop: Header=BB81_19 Depth=1
	v_cvt_f32_i32_e32 v6, v25
	s_waitcnt vmcnt(1)
	v_cvt_f32_f16_e32 v7, v31
	v_add_f32_e32 v6, v23, v6
	v_add_f32_e32 v6, v6, v7
	v_cvt_f16_f32_e32 v8, v6
	v_add_u32_e32 v6, 2, v0
	v_mov_b32_e32 v7, v1
	v_lshl_add_u64 v[6:7], v[6:7], 1, s[18:19]
	global_store_short v[6:7], v8, off
	s_or_b64 exec, exec, s[4:5]
	s_and_b64 exec, exec, s[8:9]
	s_cbranch_execnz .LBB81_65
	s_branch .LBB81_66
.LBB81_82:
	s_endpgm
	.section	.rodata,"a",@progbits
	.p2align	6, 0x0
	.amdhsa_kernel _Z12wvSplitK_hf_I6__halfLi32ELi4ELi16ELi8ELi2ELi3EEviiiiiiPKT_S3_S3_PS1_ii
		.amdhsa_group_segment_fixed_size 65536
		.amdhsa_private_segment_fixed_size 0
		.amdhsa_kernarg_size 64
		.amdhsa_user_sgpr_count 2
		.amdhsa_user_sgpr_dispatch_ptr 0
		.amdhsa_user_sgpr_queue_ptr 0
		.amdhsa_user_sgpr_kernarg_segment_ptr 1
		.amdhsa_user_sgpr_dispatch_id 0
		.amdhsa_user_sgpr_kernarg_preload_length 0
		.amdhsa_user_sgpr_kernarg_preload_offset 0
		.amdhsa_user_sgpr_private_segment_size 0
		.amdhsa_uses_dynamic_stack 0
		.amdhsa_enable_private_segment 0
		.amdhsa_system_sgpr_workgroup_id_x 1
		.amdhsa_system_sgpr_workgroup_id_y 0
		.amdhsa_system_sgpr_workgroup_id_z 0
		.amdhsa_system_sgpr_workgroup_info 0
		.amdhsa_system_vgpr_workitem_id 1
		.amdhsa_next_free_vgpr 96
		.amdhsa_next_free_sgpr 42
		.amdhsa_accum_offset 96
		.amdhsa_reserve_vcc 1
		.amdhsa_float_round_mode_32 0
		.amdhsa_float_round_mode_16_64 0
		.amdhsa_float_denorm_mode_32 3
		.amdhsa_float_denorm_mode_16_64 3
		.amdhsa_dx10_clamp 1
		.amdhsa_ieee_mode 1
		.amdhsa_fp16_overflow 0
		.amdhsa_tg_split 0
		.amdhsa_exception_fp_ieee_invalid_op 0
		.amdhsa_exception_fp_denorm_src 0
		.amdhsa_exception_fp_ieee_div_zero 0
		.amdhsa_exception_fp_ieee_overflow 0
		.amdhsa_exception_fp_ieee_underflow 0
		.amdhsa_exception_fp_ieee_inexact 0
		.amdhsa_exception_int_div_zero 0
	.end_amdhsa_kernel
	.section	.text._Z12wvSplitK_hf_I6__halfLi32ELi4ELi16ELi8ELi2ELi3EEviiiiiiPKT_S3_S3_PS1_ii,"axG",@progbits,_Z12wvSplitK_hf_I6__halfLi32ELi4ELi16ELi8ELi2ELi3EEviiiiiiPKT_S3_S3_PS1_ii,comdat
.Lfunc_end81:
	.size	_Z12wvSplitK_hf_I6__halfLi32ELi4ELi16ELi8ELi2ELi3EEviiiiiiPKT_S3_S3_PS1_ii, .Lfunc_end81-_Z12wvSplitK_hf_I6__halfLi32ELi4ELi16ELi8ELi2ELi3EEviiiiiiPKT_S3_S3_PS1_ii
                                        ; -- End function
	.section	.AMDGPU.csdata,"",@progbits
; Kernel info:
; codeLenInByte = 5500
; NumSgprs: 48
; NumVgprs: 96
; NumAgprs: 0
; TotalNumVgprs: 96
; ScratchSize: 0
; MemoryBound: 1
; FloatMode: 240
; IeeeMode: 1
; LDSByteSize: 65536 bytes/workgroup (compile time only)
; SGPRBlocks: 5
; VGPRBlocks: 11
; NumSGPRsForWavesPerEU: 48
; NumVGPRsForWavesPerEU: 96
; AccumOffset: 96
; Occupancy: 2
; WaveLimiterHint : 0
; COMPUTE_PGM_RSRC2:SCRATCH_EN: 0
; COMPUTE_PGM_RSRC2:USER_SGPR: 2
; COMPUTE_PGM_RSRC2:TRAP_HANDLER: 0
; COMPUTE_PGM_RSRC2:TGID_X_EN: 1
; COMPUTE_PGM_RSRC2:TGID_Y_EN: 0
; COMPUTE_PGM_RSRC2:TGID_Z_EN: 0
; COMPUTE_PGM_RSRC2:TIDIG_COMP_CNT: 1
; COMPUTE_PGM_RSRC3_GFX90A:ACCUM_OFFSET: 23
; COMPUTE_PGM_RSRC3_GFX90A:TG_SPLIT: 0
	.section	.text._Z16wvSplitK_hf_big_I6__halfLi32ELi4ELi16ELi8ELi2ELi3EEviiiiiiPKT_S3_S3_PS1_ii,"axG",@progbits,_Z16wvSplitK_hf_big_I6__halfLi32ELi4ELi16ELi8ELi2ELi3EEviiiiiiPKT_S3_S3_PS1_ii,comdat
	.protected	_Z16wvSplitK_hf_big_I6__halfLi32ELi4ELi16ELi8ELi2ELi3EEviiiiiiPKT_S3_S3_PS1_ii ; -- Begin function _Z16wvSplitK_hf_big_I6__halfLi32ELi4ELi16ELi8ELi2ELi3EEviiiiiiPKT_S3_S3_PS1_ii
	.globl	_Z16wvSplitK_hf_big_I6__halfLi32ELi4ELi16ELi8ELi2ELi3EEviiiiiiPKT_S3_S3_PS1_ii
	.p2align	8
	.type	_Z16wvSplitK_hf_big_I6__halfLi32ELi4ELi16ELi8ELi2ELi3EEviiiiiiPKT_S3_S3_PS1_ii,@function
_Z16wvSplitK_hf_big_I6__halfLi32ELi4ELi16ELi8ELi2ELi3EEviiiiiiPKT_S3_S3_PS1_ii: ; @_Z16wvSplitK_hf_big_I6__halfLi32ELi4ELi16ELi8ELi2ELi3EEviiiiiiPKT_S3_S3_PS1_ii
; %bb.0:
	s_load_dwordx2 s[8:9], s[0:1], 0x38
	v_bfe_u32 v7, v0, 10, 10
	s_waitcnt lgkmcnt(0)
	v_cmp_gt_u32_e32 vcc, s8, v7
	s_and_saveexec_b64 s[4:5], vcc
	s_cbranch_execz .LBB82_64
; %bb.1:
	s_load_dwordx4 s[20:23], s[0:1], 0x0
	s_mul_i32 s2, s2, s8
	v_add_lshl_u32 v62, s2, v7, 2
	s_mov_b32 s4, 1
	v_add_u32_e32 v1, 4, v62
	s_mov_b32 s5, s4
	s_waitcnt lgkmcnt(0)
	v_cmp_gt_u32_e32 vcc, s23, v62
	v_cmp_le_u32_e64 s[2:3], s23, v1
	s_mov_b32 s6, s4
	s_mov_b32 s7, s4
	v_mov_b64_e32 v[2:3], s[4:5]
	s_and_b64 s[10:11], vcc, s[2:3]
	v_mov_b64_e32 v[4:5], s[6:7]
	s_and_saveexec_b64 s[2:3], s[10:11]
	s_cbranch_execz .LBB82_7
; %bb.2:
	s_add_i32 s16, s23, -4
	v_mov_b64_e32 v[2:3], s[4:5]
	v_cmp_ne_u32_e32 vcc, s16, v62
	v_mov_b64_e32 v[4:5], s[6:7]
	s_and_saveexec_b64 s[10:11], vcc
	s_cbranch_execz .LBB82_6
; %bb.3:
	v_subrev_u32_e32 v1, s16, v62
	v_cmp_lt_u32_e32 vcc, 1, v1
	s_mov_b64 s[12:13], 0
	s_mov_b64 s[14:15], 0
	v_cndmask_b32_e32 v6, 1, v1, vcc
	s_mov_b32 s5, s4
	s_mov_b32 s6, s4
	;; [unrolled: 1-line block ×3, first 2 shown]
.LBB82_4:                               ; =>This Inner Loop Header: Depth=1
	s_cmp_lg_u32 s14, 3
	s_cselect_b32 s7, s7, 0
	s_cmp_lg_u32 s14, 2
	s_cselect_b32 s6, s6, 0
	;; [unrolled: 2-line block ×4, first 2 shown]
	s_add_u32 s14, s14, 1
	s_addc_u32 s15, s15, 0
	v_cmp_eq_u32_e32 vcc, s14, v6
	v_mov_b64_e32 v[2:3], s[4:5]
	s_or_b64 s[12:13], vcc, s[12:13]
	v_mov_b64_e32 v[4:5], s[6:7]
	s_andn2_b64 exec, exec, s[12:13]
	s_cbranch_execnz .LBB82_4
; %bb.5:
	s_or_b64 exec, exec, s[12:13]
	v_mov_b32_e32 v62, s16
.LBB82_6:
	s_or_b64 exec, exec, s[10:11]
.LBB82_7:
	s_or_b64 exec, exec, s[2:3]
	s_lshl_b32 s2, s8, 2
	s_abs_i32 s3, s2
	v_cvt_f32_u32_e32 v1, s3
	s_sub_i32 s6, 0, s3
	s_abs_i32 s5, s23
	s_ashr_i32 s4, s23, 31
	v_rcp_iflag_f32_e32 v1, v1
	s_nop 0
	v_mul_f32_e32 v1, 0x4f7ffffe, v1
	v_cvt_u32_f32_e32 v1, v1
	s_nop 0
	v_readfirstlane_b32 s7, v1
	s_mul_i32 s6, s6, s7
	s_mul_hi_u32 s6, s7, s6
	s_add_i32 s7, s7, s6
	s_mul_hi_u32 s6, s5, s7
	s_mul_i32 s6, s6, s3
	s_sub_i32 s5, s5, s6
	s_sub_i32 s6, s5, s3
	s_cmp_ge_u32 s5, s3
	s_cselect_b32 s5, s6, s5
	s_sub_i32 s6, s5, s3
	s_cmp_ge_u32 s5, s3
	s_cselect_b32 s3, s6, s5
	s_xor_b32 s3, s3, s4
	s_sub_i32 s3, s3, s4
	s_add_i32 s2, s2, s23
	s_sub_i32 s2, s2, s3
	s_cmp_eq_u32 s3, 0
	s_cselect_b32 s33, s23, s2
	v_cmp_gt_u32_e32 vcc, s33, v62
	s_and_b64 exec, exec, vcc
	s_cbranch_execz .LBB82_64
; %bb.8:
	s_load_dwordx8 s[12:19], s[0:1], 0x10
	s_min_u32 s40, s22, 0x2a00
	s_cmp_lg_u32 s20, 0
	s_load_dwordx2 s[24:25], s[0:1], 0x30
	s_cselect_b64 s[2:3], -1, 0
	s_cmp_lg_u32 s22, 0
	s_mul_i32 s0, s9, s8
	s_cselect_b64 s[4:5], -1, 0
	s_lshl_b32 s41, s8, 8
	s_add_i32 s42, s20, -8
	s_add_i32 s43, s23, -1
	s_lshl_b32 s44, s0, 2
	s_waitcnt lgkmcnt(0)
	s_cmp_lg_u64 s[18:19], 0
	s_cselect_b64 s[28:29], -1, 0
	s_abs_i32 s6, s13
	v_cvt_f32_u32_e32 v1, s12
	v_cvt_f32_u32_e32 v6, s6
	s_sub_i32 s7, 0, s12
	s_add_i32 s13, s23, -4
	v_rcp_iflag_f32_e32 v1, v1
	v_rcp_iflag_f32_e32 v6, v6
	v_and_b32_e32 v0, 0x3ff, v0
	v_lshlrev_b32_e32 v72, 3, v0
	v_mul_f32_e32 v1, 0x4f7ffffe, v1
	v_mul_f32_e32 v6, 0x4f7ffffe, v6
	v_cvt_u32_f32_e32 v1, v1
	v_cvt_u32_f32_e32 v6, v6
	v_cmp_eq_u32_e64 s[0:1], 31, v0
	v_lshlrev_b32_e32 v0, 4, v0
	v_mul_lo_u32 v8, s7, v1
	s_sub_i32 s7, 0, s6
	v_readfirstlane_b32 s9, v6
	s_mul_i32 s7, s7, s9
	s_mul_hi_u32 s7, s9, s7
	s_add_i32 s9, s9, s7
	s_sub_i32 s7, 1, s6
	s_cmp_lt_u32 s6, 2
	s_cselect_b32 s7, s7, 1
	s_sub_i32 s10, s7, s6
	s_cmp_ge_u32 s7, s6
	s_cselect_b32 s45, s10, s7
	s_lshr_b32 s7, s9, 31
	s_mul_i32 s7, s7, s6
	s_sub_i32 s7, 2, s7
	s_sub_i32 s9, s7, s6
	s_cmp_ge_u32 s7, s6
	s_cselect_b32 s7, s9, s7
	s_sub_i32 s9, s7, s6
	s_cmp_ge_u32 s7, s6
	v_lshl_add_u32 v74, v7, 9, v0
	v_cndmask_b32_e64 v0, 0, 1, s[2:3]
	v_mul_hi_u32 v8, v1, v8
	s_cselect_b32 s46, s9, s7
	s_add_u32 s30, s24, 2
	v_lshl_add_u32 v75, v7, 8, v72
	v_cmp_ne_u32_e64 s[2:3], 1, v0
	v_cndmask_b32_e64 v0, 0, 1, s[4:5]
	s_mov_b64 s[26:27], 0
	v_add_u32_e32 v73, v1, v8
	v_mov_b32_e32 v1, 0
	s_mul_i32 s45, s45, s12
	s_mul_i32 s46, s46, s12
	s_addc_u32 s31, s25, 0
	s_lshl_b32 s47, s40, 2
	s_lshl_b32 s48, s8, 9
	;; [unrolled: 1-line block ×3, first 2 shown]
	v_lshl_add_u32 v76, s22, 1, v75
	v_add_u32_e32 v77, s22, v75
	v_cmp_ne_u32_e64 s[4:5], 1, v0
	s_branch .LBB82_12
.LBB82_9:                               ;   in Loop: Header=BB82_12 Depth=1
	s_or_b64 exec, exec, s[10:11]
	v_mov_b32_e32 v62, s13
.LBB82_10:                              ;   in Loop: Header=BB82_12 Depth=1
	s_or_b64 exec, exec, s[8:9]
.LBB82_11:                              ;   in Loop: Header=BB82_12 Depth=1
	s_or_b64 exec, exec, s[34:35]
	v_cmp_le_u32_e32 vcc, s33, v62
	s_or_b64 s[26:27], vcc, s[26:27]
	s_andn2_b64 exec, exec, s[26:27]
	s_cbranch_execz .LBB82_64
.LBB82_12:                              ; =>This Loop Header: Depth=1
                                        ;     Child Loop BB82_17 Depth 2
                                        ;       Child Loop BB82_22 Depth 3
                                        ;     Child Loop BB82_51 Depth 2
	s_mov_b32 s36, 0
	s_and_b64 vcc, exec, s[2:3]
	v_mov_b32_e32 v88, v1
	v_mov_b32_e32 v87, v1
	;; [unrolled: 1-line block ×12, first 2 shown]
	s_cbranch_vccnz .LBB82_29
; %bb.13:                               ;   in Loop: Header=BB82_12 Depth=1
	v_add_u32_e32 v6, 1, v62
	v_add_u32_e32 v8, 2, v62
	;; [unrolled: 1-line block ×3, first 2 shown]
	v_min_u32_e32 v0, s43, v62
	v_min_u32_e32 v6, s43, v6
	;; [unrolled: 1-line block ×4, first 2 shown]
	v_mul_lo_u32 v0, v0, s21
	v_mul_lo_u32 v6, v6, s21
	v_mov_b32_e32 v7, v1
	v_mul_lo_u32 v8, v8, s21
	v_mov_b32_e32 v9, v1
	;; [unrolled: 2-line block ×3, first 2 shown]
	v_cmp_gt_u32_e64 s[6:7], s23, v62
	v_mov_b32_e32 v80, 0
	v_lshlrev_b64 v[64:65], 1, v[0:1]
	v_lshlrev_b64 v[66:67], 1, v[6:7]
	;; [unrolled: 1-line block ×4, first 2 shown]
	v_mov_b32_e32 v79, 0
	v_mov_b32_e32 v78, 0
	;; [unrolled: 1-line block ×11, first 2 shown]
	s_mov_b32 s37, 0
	s_branch .LBB82_17
.LBB82_14:                              ;   in Loop: Header=BB82_17 Depth=2
	s_or_b64 exec, exec, s[34:35]
.LBB82_15:                              ;   in Loop: Header=BB82_17 Depth=2
	s_or_b64 exec, exec, s[10:11]
	s_waitcnt vmcnt(7) lgkmcnt(2)
	;;#ASMSTART
	v_dot2c_f32_f16 v88, v58, v46
	;;#ASMEND
	s_waitcnt vmcnt(6)
	;;#ASMSTART
	v_dot2c_f32_f16 v87, v58, v42
	;;#ASMEND
	s_waitcnt vmcnt(5)
	;; [unrolled: 4-line block ×3, first 2 shown]
	;;#ASMSTART
	v_dot2c_f32_f16 v85, v58, v34
	;;#ASMEND
	s_waitcnt lgkmcnt(1)
	;;#ASMSTART
	v_dot2c_f32_f16 v84, v54, v46
	;;#ASMEND
	;;#ASMSTART
	v_dot2c_f32_f16 v83, v54, v42
	;;#ASMEND
	;; [unrolled: 3-line block ×4, first 2 shown]
	s_waitcnt lgkmcnt(0)
	;;#ASMSTART
	v_dot2c_f32_f16 v80, v50, v46
	;;#ASMEND
	;;#ASMSTART
	v_dot2c_f32_f16 v79, v50, v42
	;;#ASMEND
	;;#ASMSTART
	v_dot2c_f32_f16 v78, v50, v38
	;;#ASMEND
	;;#ASMSTART
	v_dot2c_f32_f16 v63, v50, v34
	;;#ASMEND
	;;#ASMSTART
	v_dot2c_f32_f16 v88, v59, v47
	;;#ASMEND
	;;#ASMSTART
	v_dot2c_f32_f16 v87, v59, v43
	;;#ASMEND
	;;#ASMSTART
	v_dot2c_f32_f16 v86, v59, v39
	;;#ASMEND
	;;#ASMSTART
	v_dot2c_f32_f16 v85, v59, v35
	;;#ASMEND
	;;#ASMSTART
	v_dot2c_f32_f16 v84, v55, v47
	;;#ASMEND
	;;#ASMSTART
	v_dot2c_f32_f16 v83, v55, v43
	;;#ASMEND
	;;#ASMSTART
	v_dot2c_f32_f16 v82, v55, v39
	;;#ASMEND
	;;#ASMSTART
	v_dot2c_f32_f16 v81, v55, v35
	;;#ASMEND
	s_nop 0
	;;#ASMSTART
	v_dot2c_f32_f16 v80, v51, v47
	;;#ASMEND
	;;#ASMSTART
	v_dot2c_f32_f16 v79, v51, v43
	;;#ASMEND
	;;#ASMSTART
	v_dot2c_f32_f16 v78, v51, v39
	;;#ASMEND
	;;#ASMSTART
	v_dot2c_f32_f16 v63, v51, v35
	;;#ASMEND
	;;#ASMSTART
	v_dot2c_f32_f16 v88, v60, v48
	;;#ASMEND
	;;#ASMSTART
	v_dot2c_f32_f16 v87, v60, v44
	;;#ASMEND
	;;#ASMSTART
	v_dot2c_f32_f16 v86, v60, v40
	;;#ASMEND
	;;#ASMSTART
	v_dot2c_f32_f16 v85, v60, v36
	;;#ASMEND
	;;#ASMSTART
	v_dot2c_f32_f16 v84, v56, v48
	;;#ASMEND
	;;#ASMSTART
	v_dot2c_f32_f16 v83, v56, v44
	;;#ASMEND
	;;#ASMSTART
	v_dot2c_f32_f16 v82, v56, v40
	;;#ASMEND
	;;#ASMSTART
	v_dot2c_f32_f16 v81, v56, v36
	;;#ASMEND
	s_nop 0
	;; [unrolled: 37-line block ×3, first 2 shown]
	;;#ASMSTART
	v_dot2c_f32_f16 v80, v53, v49
	;;#ASMEND
	;;#ASMSTART
	v_dot2c_f32_f16 v79, v53, v45
	;;#ASMEND
	;; [unrolled: 3-line block ×4, first 2 shown]
	s_waitcnt vmcnt(3)
	;;#ASMSTART
	v_dot2c_f32_f16 v88, v30, v18
	;;#ASMEND
	s_waitcnt vmcnt(2)
	;;#ASMSTART
	v_dot2c_f32_f16 v87, v30, v14
	;;#ASMEND
	;; [unrolled: 4-line block ×4, first 2 shown]
	;;#ASMSTART
	v_dot2c_f32_f16 v84, v26, v18
	;;#ASMEND
	;;#ASMSTART
	v_dot2c_f32_f16 v83, v26, v14
	;;#ASMEND
	;;#ASMSTART
	v_dot2c_f32_f16 v82, v26, v10
	;;#ASMEND
	;;#ASMSTART
	v_dot2c_f32_f16 v81, v26, v6
	;;#ASMEND
	;;#ASMSTART
	v_dot2c_f32_f16 v80, v22, v18
	;;#ASMEND
	;;#ASMSTART
	v_dot2c_f32_f16 v79, v22, v14
	;;#ASMEND
	;;#ASMSTART
	v_dot2c_f32_f16 v78, v22, v10
	;;#ASMEND
	;;#ASMSTART
	v_dot2c_f32_f16 v63, v22, v6
	;;#ASMEND
	;;#ASMSTART
	v_dot2c_f32_f16 v88, v31, v19
	;;#ASMEND
	;;#ASMSTART
	v_dot2c_f32_f16 v87, v31, v15
	;;#ASMEND
	;;#ASMSTART
	v_dot2c_f32_f16 v86, v31, v11
	;;#ASMEND
	s_nop 0
	;;#ASMSTART
	v_dot2c_f32_f16 v85, v31, v7
	;;#ASMEND
	;;#ASMSTART
	v_dot2c_f32_f16 v84, v27, v19
	;;#ASMEND
	;;#ASMSTART
	v_dot2c_f32_f16 v83, v27, v15
	;;#ASMEND
	;;#ASMSTART
	v_dot2c_f32_f16 v82, v27, v11
	;;#ASMEND
	;;#ASMSTART
	v_dot2c_f32_f16 v81, v27, v7
	;;#ASMEND
	;;#ASMSTART
	v_dot2c_f32_f16 v80, v23, v19
	;;#ASMEND
	;;#ASMSTART
	v_dot2c_f32_f16 v79, v23, v15
	;;#ASMEND
	;;#ASMSTART
	v_dot2c_f32_f16 v78, v23, v11
	;;#ASMEND
	;;#ASMSTART
	v_dot2c_f32_f16 v63, v23, v7
	;;#ASMEND
	;;#ASMSTART
	v_dot2c_f32_f16 v88, v32, v20
	;;#ASMEND
	;;#ASMSTART
	v_dot2c_f32_f16 v87, v32, v16
	;;#ASMEND
	;;#ASMSTART
	v_dot2c_f32_f16 v86, v32, v12
	;;#ASMEND
	s_nop 0
	;;#ASMSTART
	v_dot2c_f32_f16 v85, v32, v8
	;;#ASMEND
	;; [unrolled: 37-line block ×3, first 2 shown]
	;;#ASMSTART
	v_dot2c_f32_f16 v84, v29, v21
	;;#ASMEND
	;;#ASMSTART
	v_dot2c_f32_f16 v83, v29, v17
	;;#ASMEND
	;; [unrolled: 3-line block ×8, first 2 shown]
.LBB82_16:                              ;   in Loop: Header=BB82_17 Depth=2
	s_or_b64 exec, exec, s[8:9]
	s_addk_i32 s37, 0x200
	s_cmp_ge_u32 s37, s20
	s_cbranch_scc1 .LBB82_29
.LBB82_17:                              ;   Parent Loop BB82_12 Depth=1
                                        ; =>  This Loop Header: Depth=2
                                        ;       Child Loop BB82_22 Depth 3
	s_cmp_eq_u32 s37, 0
	s_cselect_b64 s[8:9], -1, 0
	s_add_i32 s10, s36, s40
	s_cmp_eq_u32 s37, s10
	s_cselect_b64 s[34:35], -1, 0
	s_or_b64 s[34:35], s[8:9], s[34:35]
	s_andn2_b64 vcc, exec, s[34:35]
	s_cbranch_vccz .LBB82_19
; %bb.18:                               ;   in Loop: Header=BB82_17 Depth=2
	s_and_saveexec_b64 s[8:9], s[6:7]
	s_cbranch_execz .LBB82_16
	s_branch .LBB82_26
.LBB82_19:                              ;   in Loop: Header=BB82_17 Depth=2
	s_and_b64 s[8:9], s[8:9], exec
	s_cselect_b32 s36, s36, s10
	s_and_b64 vcc, exec, s[4:5]
	s_barrier
	s_cbranch_vccnz .LBB82_25
; %bb.20:                               ;   in Loop: Header=BB82_17 Depth=2
	v_add_u32_e32 v6, s36, v76
	v_add_u32_e32 v7, s36, v77
	;; [unrolled: 1-line block ×3, first 2 shown]
	s_mov_b32 s38, 0
	s_mov_b64 s[10:11], 0
	v_mov_b32_e32 v9, v74
                                        ; implicit-def: $sgpr34_sgpr35
	s_branch .LBB82_22
.LBB82_21:                              ;   in Loop: Header=BB82_22 Depth=3
	s_or_b64 exec, exec, s[8:9]
	s_and_b64 s[8:9], exec, s[34:35]
	s_or_b64 s[10:11], s[8:9], s[10:11]
	s_andn2_b64 exec, exec, s[10:11]
	s_cbranch_execz .LBB82_24
.LBB82_22:                              ;   Parent Loop BB82_12 Depth=1
                                        ;     Parent Loop BB82_17 Depth=2
                                        ; =>    This Inner Loop Header: Depth=3
	v_add_u32_e32 v10, s38, v75
	v_add_u32_e32 v0, s38, v8
	v_cmp_gt_u32_e32 vcc, s22, v0
	v_cmp_gt_u32_e64 s[8:9], s40, v10
	s_and_b64 s[50:51], s[8:9], vcc
	s_or_b64 s[34:35], s[34:35], exec
	s_and_saveexec_b64 s[8:9], s[50:51]
	s_cbranch_execz .LBB82_21
; %bb.23:                               ;   in Loop: Header=BB82_22 Depth=3
	v_lshl_add_u64 v[18:19], v[0:1], 1, s[16:17]
	v_add_u32_e32 v0, s38, v7
	v_lshl_add_u64 v[20:21], v[0:1], 1, s[16:17]
	v_add_u32_e32 v0, s38, v6
	global_load_dwordx4 v[10:13], v[18:19], off
	global_load_dwordx4 v[14:17], v[20:21], off
	v_lshl_add_u64 v[18:19], v[0:1], 1, s[16:17]
	global_load_dwordx4 v[18:21], v[18:19], off
	s_add_i32 s38, s38, s41
	s_cmp_ge_u32 s38, s40
	s_cselect_b64 s[50:51], -1, 0
	s_andn2_b64 s[34:35], s[34:35], exec
	s_and_b64 s[50:51], s[50:51], exec
	v_add_u32_e32 v0, s49, v9
	v_add_u32_e32 v22, s47, v9
	s_or_b64 s[34:35], s[34:35], s[50:51]
	s_waitcnt vmcnt(2)
	ds_write_b128 v9, v[10:13]
	v_add_u32_e32 v9, s48, v9
	s_waitcnt vmcnt(1)
	ds_write2_b64 v0, v[14:15], v[16:17] offset1:1
	s_waitcnt vmcnt(0)
	ds_write2_b32 v22, v18, v19 offset1:1
	ds_write2_b32 v22, v20, v21 offset0:2 offset1:3
	s_branch .LBB82_21
.LBB82_24:                              ;   in Loop: Header=BB82_17 Depth=2
	s_or_b64 exec, exec, s[10:11]
.LBB82_25:                              ;   in Loop: Header=BB82_17 Depth=2
	s_waitcnt lgkmcnt(0)
	s_barrier
	s_and_saveexec_b64 s[8:9], s[6:7]
	s_cbranch_execz .LBB82_16
.LBB82_26:                              ;   in Loop: Header=BB82_17 Depth=2
	v_add_u32_e32 v89, s37, v72
	v_min_u32_e32 v0, s42, v89
	v_lshl_add_u64 v[6:7], v[0:1], 1, s[14:15]
	v_lshl_add_u64 v[8:9], v[6:7], 0, v[64:65]
	v_add_u32_e32 v90, 0x100, v89
	v_lshl_add_u64 v[10:11], v[6:7], 0, v[66:67]
	global_load_dwordx4 v[46:49], v[8:9], off nt
	global_load_dwordx4 v[42:45], v[10:11], off nt
	v_lshl_add_u64 v[8:9], v[6:7], 0, v[68:69]
	v_lshl_add_u64 v[6:7], v[6:7], 0, v[70:71]
	v_min_u32_e32 v0, s42, v90
	global_load_dwordx4 v[38:41], v[8:9], off nt
	global_load_dwordx4 v[34:37], v[6:7], off nt
	v_lshl_add_u64 v[6:7], v[0:1], 1, s[14:15]
	v_lshl_add_u64 v[8:9], v[6:7], 0, v[64:65]
	;; [unrolled: 1-line block ×4, first 2 shown]
	global_load_dwordx4 v[18:21], v[8:9], off nt
	global_load_dwordx4 v[14:17], v[10:11], off nt
	v_lshl_add_u64 v[24:25], v[6:7], 0, v[70:71]
	global_load_dwordx4 v[10:13], v[22:23], off nt
	global_load_dwordx4 v[6:9], v[24:25], off nt
	v_cmp_gt_u32_e32 vcc, s20, v89
	v_mov_b32_e32 v58, 0
	v_mov_b32_e32 v59, 0
	;; [unrolled: 1-line block ×14, first 2 shown]
	s_waitcnt vmcnt(8)
	v_mov_b32_e32 v32, 0
	v_mov_b32_e32 v33, 0
	;; [unrolled: 1-line block ×10, first 2 shown]
	s_and_saveexec_b64 s[10:11], vcc
	s_cbranch_execz .LBB82_15
; %bb.27:                               ;   in Loop: Header=BB82_17 Depth=2
	v_subrev_u32_e32 v0, s36, v89
	v_lshlrev_b32_e32 v91, 1, v0
	v_add_u32_e32 v89, s49, v91
	v_add_u32_e32 v0, s49, v89
	ds_read_b128 v[58:61], v91
	ds_read_b128 v[54:57], v89
	;; [unrolled: 1-line block ×3, first 2 shown]
	v_cmp_gt_u32_e32 vcc, s20, v90
	v_mov_b32_e32 v25, 0
	v_mov_b32_e32 v24, 0
	v_mov_b32_e32 v23, 0
	v_mov_b32_e32 v22, 0
	v_mov_b32_e32 v29, 0
	v_mov_b32_e32 v28, 0
	v_mov_b32_e32 v27, 0
	v_mov_b32_e32 v26, 0
	v_mov_b32_e32 v33, 0
	v_mov_b32_e32 v32, 0
	v_mov_b32_e32 v31, 0
	v_mov_b32_e32 v30, 0
	s_and_saveexec_b64 s[34:35], vcc
	s_cbranch_execz .LBB82_14
; %bb.28:                               ;   in Loop: Header=BB82_17 Depth=2
	ds_read_b128 v[30:33], v91 offset:512
	ds_read_b128 v[26:29], v89 offset:512
	;; [unrolled: 1-line block ×3, first 2 shown]
	s_branch .LBB82_14
.LBB82_29:                              ;   in Loop: Header=BB82_12 Depth=1
	v_cmp_le_u32_e32 vcc, s23, v62
	s_and_saveexec_b64 s[6:7], vcc
	s_xor_b64 s[6:7], exec, s[6:7]
; %bb.30:                               ;   in Loop: Header=BB82_12 Depth=1
	v_add_u32_e32 v62, s44, v62
                                        ; implicit-def: $vgpr88
                                        ; implicit-def: $vgpr87
                                        ; implicit-def: $vgpr86
                                        ; implicit-def: $vgpr85
                                        ; implicit-def: $vgpr84
                                        ; implicit-def: $vgpr83
                                        ; implicit-def: $vgpr82
                                        ; implicit-def: $vgpr81
                                        ; implicit-def: $vgpr63
                                        ; implicit-def: $vgpr78
                                        ; implicit-def: $vgpr79
                                        ; implicit-def: $vgpr80
; %bb.31:                               ;   in Loop: Header=BB82_12 Depth=1
	s_andn2_saveexec_b64 s[34:35], s[6:7]
	s_cbranch_execz .LBB82_11
; %bb.32:                               ;   in Loop: Header=BB82_12 Depth=1
	v_cvt_i32_f32_e32 v0, v88
	v_cvt_i32_f32_e32 v6, v87
	v_cvt_i32_f32_e32 v7, v86
	v_cvt_i32_f32_e32 v8, v85
	v_cvt_f32_i32_dpp v0, v0 row_shr:8 row_mask:0xf bank_mask:0xf bound_ctrl:1
	v_cvt_f32_i32_dpp v6, v6 row_shr:8 row_mask:0xf bank_mask:0xf bound_ctrl:1
	;; [unrolled: 1-line block ×4, first 2 shown]
	v_add_f32_e32 v0, v88, v0
	v_cvt_i32_f32_e32 v9, v0
	v_add_f32_e32 v6, v87, v6
	v_cvt_i32_f32_e32 v11, v6
	v_add_f32_e32 v7, v86, v7
	v_cvt_f32_i32_dpp v9, v9 row_shr:4 row_mask:0xf bank_mask:0xf bound_ctrl:1
	v_cvt_i32_f32_e32 v12, v7
	v_cvt_f32_i32_dpp v11, v11 row_shr:4 row_mask:0xf bank_mask:0xf bound_ctrl:1
	v_add_f32_e32 v8, v85, v8
	v_add_f32_e32 v0, v0, v9
	v_cvt_i32_f32_e32 v9, v0
	v_add_f32_e32 v6, v6, v11
	v_cvt_i32_f32_e32 v11, v6
	v_cvt_f32_i32_dpp v12, v12 row_shr:4 row_mask:0xf bank_mask:0xf bound_ctrl:1
	v_cvt_f32_i32_dpp v9, v9 row_shr:2 row_mask:0xf bank_mask:0xf bound_ctrl:1
	v_cvt_i32_f32_e32 v13, v8
	v_cvt_f32_i32_dpp v11, v11 row_shr:2 row_mask:0xf bank_mask:0xf bound_ctrl:1
	v_add_f32_e32 v7, v7, v12
	v_add_f32_e32 v0, v0, v9
	v_cvt_i32_f32_e32 v9, v0
	v_add_f32_e32 v6, v6, v11
	v_cvt_i32_f32_e32 v11, v6
	v_cvt_i32_f32_e32 v12, v7
	v_cvt_f32_i32_dpp v9, v9 row_shr:1 row_mask:0xf bank_mask:0xf bound_ctrl:1
	v_cvt_f32_i32_dpp v13, v13 row_shr:4 row_mask:0xf bank_mask:0xf bound_ctrl:1
	;; [unrolled: 1-line block ×4, first 2 shown]
	v_add_f32_e32 v0, v0, v9
	v_cvt_i32_f32_e32 v9, v0
	v_add_f32_e32 v6, v6, v11
	v_cvt_i32_f32_e32 v11, v6
	v_cvt_i32_f32_e32 v10, v84
	v_cvt_f32_i32_dpp v9, v9 row_bcast:15 row_mask:0xf bank_mask:0xf bound_ctrl:1
	v_add_f32_e32 v7, v7, v12
	v_cvt_f32_i32_dpp v14, v11 row_bcast:15 row_mask:0xf bank_mask:0xf bound_ctrl:1
	v_add_f32_e32 v8, v8, v13
	v_add_f32_e32 v11, v0, v9
	v_cvt_i32_f32_e32 v0, v11
	v_cvt_i32_f32_e32 v12, v7
	v_cvt_f32_i32_dpp v10, v10 row_shr:8 row_mask:0xf bank_mask:0xf bound_ctrl:1
	v_add_f32_e32 v9, v6, v14
	v_mov_b32_dpp v13, v0 row_bcast:31 row_mask:0xf bank_mask:0xf bound_ctrl:1
	v_cvt_i32_f32_e32 v0, v8
	v_cvt_f32_i32_dpp v12, v12 row_shr:1 row_mask:0xf bank_mask:0xf bound_ctrl:1
	v_add_f32_e32 v10, v84, v10
	v_cvt_i32_f32_e32 v14, v10
	v_cvt_f32_i32_dpp v0, v0 row_shr:2 row_mask:0xf bank_mask:0xf bound_ctrl:1
	v_add_f32_e32 v7, v7, v12
	v_cvt_i32_f32_e32 v6, v9
	v_cvt_i32_f32_e32 v12, v7
	v_add_f32_e32 v0, v8, v0
	v_cvt_i32_f32_e32 v8, v0
	v_cvt_f32_i32_dpp v14, v14 row_shr:4 row_mask:0xf bank_mask:0xf bound_ctrl:1
	v_cvt_f32_i32_dpp v15, v12 row_bcast:15 row_mask:0xf bank_mask:0xf bound_ctrl:1
	v_mov_b32_dpp v12, v6 row_bcast:31 row_mask:0xf bank_mask:0xf bound_ctrl:1
	v_cvt_f32_i32_dpp v6, v8 row_shr:1 row_mask:0xf bank_mask:0xf bound_ctrl:1
	v_add_f32_e32 v8, v10, v14
	v_cvt_i32_f32_e32 v10, v8
	v_add_f32_e32 v7, v7, v15
	v_add_f32_e32 v0, v0, v6
	v_cvt_i32_f32_e32 v6, v83
	v_cvt_f32_i32_dpp v10, v10 row_shr:2 row_mask:0xf bank_mask:0xf bound_ctrl:1
	v_cvt_i32_f32_e32 v14, v0
	v_cvt_i32_f32_e32 v15, v7
	v_cvt_f32_i32_dpp v6, v6 row_shr:8 row_mask:0xf bank_mask:0xf bound_ctrl:1
	v_add_f32_e32 v8, v8, v10
	v_cvt_f32_i32_dpp v16, v14 row_bcast:15 row_mask:0xf bank_mask:0xf bound_ctrl:1
	v_cvt_i32_f32_e32 v10, v8
	v_add_f32_e32 v6, v83, v6
	v_cvt_i32_f32_e32 v17, v6
	v_mov_b32_dpp v14, v15 row_bcast:31 row_mask:0xf bank_mask:0xf bound_ctrl:1
	v_cvt_f32_i32_dpp v15, v10 row_shr:1 row_mask:0xf bank_mask:0xf bound_ctrl:1
	v_add_f32_e32 v10, v0, v16
	v_cvt_f32_i32_dpp v0, v17 row_shr:4 row_mask:0xf bank_mask:0xf bound_ctrl:1
	v_cvt_i32_f32_e32 v16, v10
	v_add_f32_e32 v8, v8, v15
	v_cvt_i32_f32_e32 v15, v82
	v_add_f32_e32 v0, v6, v0
	v_cvt_i32_f32_e32 v6, v0
	v_cvt_i32_f32_e32 v17, v8
	v_cvt_f32_i32_dpp v18, v15 row_shr:8 row_mask:0xf bank_mask:0xf bound_ctrl:1
	v_mov_b32_dpp v15, v16 row_bcast:31 row_mask:0xf bank_mask:0xf bound_ctrl:1
	v_cvt_f32_i32_dpp v6, v6 row_shr:2 row_mask:0xf bank_mask:0xf bound_ctrl:1
	v_cvt_f32_i32_dpp v16, v17 row_bcast:15 row_mask:0xf bank_mask:0xf bound_ctrl:1
	v_add_f32_e32 v17, v82, v18
	v_cvt_i32_f32_e32 v18, v17
	v_add_f32_e32 v0, v0, v6
	v_cvt_i32_f32_e32 v6, v81
	v_cvt_i32_f32_e32 v19, v0
	v_cvt_f32_i32_dpp v18, v18 row_shr:4 row_mask:0xf bank_mask:0xf bound_ctrl:1
	v_add_f32_e32 v16, v8, v16
	v_cvt_f32_i32_dpp v6, v6 row_shr:8 row_mask:0xf bank_mask:0xf bound_ctrl:1
	v_cvt_f32_i32_dpp v8, v19 row_shr:1 row_mask:0xf bank_mask:0xf bound_ctrl:1
	v_add_f32_e32 v17, v17, v18
	v_cvt_i32_f32_e32 v18, v17
	v_add_f32_e32 v6, v81, v6
	v_cvt_i32_f32_e32 v19, v6
	v_add_f32_e32 v0, v0, v8
	v_cvt_f32_i32_dpp v18, v18 row_shr:2 row_mask:0xf bank_mask:0xf bound_ctrl:1
	v_cvt_i32_f32_e32 v20, v16
	v_cvt_f32_i32_dpp v8, v19 row_shr:4 row_mask:0xf bank_mask:0xf bound_ctrl:1
	v_cvt_i32_f32_e32 v19, v0
	v_add_f32_e32 v18, v17, v18
	v_cvt_i32_f32_e32 v17, v18
	v_add_f32_e32 v6, v6, v8
	v_cvt_i32_f32_e32 v8, v6
	v_cvt_f32_i32_dpp v19, v19 row_bcast:15 row_mask:0xf bank_mask:0xf bound_ctrl:1
	v_cvt_f32_i32_dpp v21, v17 row_shr:1 row_mask:0xf bank_mask:0xf bound_ctrl:1
	v_mov_b32_dpp v22, v20 row_bcast:31 row_mask:0xf bank_mask:0xf bound_ctrl:1
	v_cvt_f32_i32_dpp v8, v8 row_shr:2 row_mask:0xf bank_mask:0xf bound_ctrl:1
	v_add_f32_e32 v17, v0, v19
	v_add_f32_e32 v0, v18, v21
	v_cvt_i32_f32_e32 v18, v80
	v_add_f32_e32 v6, v6, v8
	v_cvt_i32_f32_e32 v8, v6
	v_cvt_i32_f32_e32 v19, v0
	v_cvt_f32_i32_dpp v18, v18 row_shr:8 row_mask:0xf bank_mask:0xf bound_ctrl:1
	v_cvt_i32_f32_e32 v20, v17
	v_cvt_f32_i32_dpp v8, v8 row_shr:1 row_mask:0xf bank_mask:0xf bound_ctrl:1
	v_cvt_f32_i32_dpp v19, v19 row_bcast:15 row_mask:0xf bank_mask:0xf bound_ctrl:1
	v_add_f32_e32 v21, v80, v18
	v_cvt_i32_f32_e32 v18, v21
	v_add_f32_e32 v6, v6, v8
	v_cvt_i32_f32_e32 v8, v6
	v_mov_b32_dpp v24, v20 row_bcast:31 row_mask:0xf bank_mask:0xf bound_ctrl:1
	v_cvt_f32_i32_dpp v20, v18 row_shr:4 row_mask:0xf bank_mask:0xf bound_ctrl:1
	v_add_f32_e32 v18, v0, v19
	v_cvt_f32_i32_dpp v0, v8 row_bcast:15 row_mask:0xf bank_mask:0xf bound_ctrl:1
	v_cvt_i32_f32_e32 v8, v79
	v_add_f32_e32 v20, v21, v20
	v_cvt_i32_f32_e32 v21, v20
	v_add_f32_e32 v19, v6, v0
	v_cvt_f32_i32_dpp v8, v8 row_shr:8 row_mask:0xf bank_mask:0xf bound_ctrl:1
	v_cvt_i32_f32_e32 v23, v18
	v_cvt_f32_i32_dpp v0, v21 row_shr:2 row_mask:0xf bank_mask:0xf bound_ctrl:1
	v_cvt_i32_f32_e32 v6, v19
	v_add_f32_e32 v8, v79, v8
	v_cvt_i32_f32_e32 v21, v8
	v_add_f32_e32 v0, v20, v0
	v_cvt_i32_f32_e32 v20, v0
	v_mov_b32_dpp v26, v23 row_bcast:31 row_mask:0xf bank_mask:0xf bound_ctrl:1
	v_cvt_f32_i32_dpp v23, v21 row_shr:4 row_mask:0xf bank_mask:0xf bound_ctrl:1
	v_mov_b32_dpp v21, v6 row_bcast:31 row_mask:0xf bank_mask:0xf bound_ctrl:1
	v_cvt_f32_i32_dpp v6, v20 row_shr:1 row_mask:0xf bank_mask:0xf bound_ctrl:1
	v_cvt_i32_f32_e32 v20, v78
	v_add_f32_e32 v8, v8, v23
	v_cvt_i32_f32_e32 v23, v63
	v_add_f32_e32 v0, v0, v6
	v_cvt_f32_i32_dpp v20, v20 row_shr:8 row_mask:0xf bank_mask:0xf bound_ctrl:1
	v_cvt_i32_f32_e32 v25, v8
	v_cvt_f32_i32_dpp v6, v23 row_shr:8 row_mask:0xf bank_mask:0xf bound_ctrl:1
	v_cvt_i32_f32_e32 v28, v0
	v_add_f32_e32 v20, v78, v20
	v_cvt_f32_i32_dpp v23, v25 row_shr:2 row_mask:0xf bank_mask:0xf bound_ctrl:1
	v_add_f32_e32 v6, v63, v6
	v_cvt_i32_f32_e32 v25, v20
	v_cvt_i32_f32_e32 v27, v6
	v_add_f32_e32 v8, v8, v23
	v_cvt_f32_i32_dpp v28, v28 row_bcast:15 row_mask:0xf bank_mask:0xf bound_ctrl:1
	v_cvt_f32_i32_dpp v25, v25 row_shr:4 row_mask:0xf bank_mask:0xf bound_ctrl:1
	v_cvt_f32_i32_dpp v23, v27 row_shr:4 row_mask:0xf bank_mask:0xf bound_ctrl:1
	v_cvt_i32_f32_e32 v27, v8
	v_add_f32_e32 v29, v0, v28
	v_add_f32_e32 v20, v20, v25
	;; [unrolled: 1-line block ×3, first 2 shown]
	v_cvt_i32_f32_e32 v25, v20
	v_cvt_i32_f32_e32 v23, v6
	v_cvt_f32_i32_dpp v27, v27 row_shr:1 row_mask:0xf bank_mask:0xf bound_ctrl:1
	v_cvt_f32_i32_dpp v25, v25 row_shr:2 row_mask:0xf bank_mask:0xf bound_ctrl:1
	;; [unrolled: 1-line block ×3, first 2 shown]
	v_add_f32_e32 v8, v8, v27
	v_cvt_i32_f32_e32 v27, v8
	v_add_f32_e32 v20, v20, v25
	v_add_f32_e32 v6, v6, v23
	v_cvt_i32_f32_e32 v25, v20
	v_cvt_i32_f32_e32 v23, v6
	s_nop 0
	v_cvt_f32_i32_dpp v25, v25 row_shr:1 row_mask:0xf bank_mask:0xf bound_ctrl:1
	v_cvt_f32_i32_dpp v0, v23 row_shr:1 row_mask:0xf bank_mask:0xf bound_ctrl:1
	v_cvt_f32_i32_dpp v23, v27 row_bcast:15 row_mask:0xf bank_mask:0xf bound_ctrl:1
	v_cvt_i32_f32_e32 v27, v29
	v_add_f32_e32 v20, v20, v25
	v_add_f32_e32 v0, v6, v0
	v_cvt_i32_f32_e32 v25, v20
	v_cvt_i32_f32_e32 v6, v0
	v_add_f32_e32 v28, v8, v23
	v_cvt_i32_f32_e32 v8, v28
	v_cvt_f32_i32_dpp v25, v25 row_bcast:15 row_mask:0xf bank_mask:0xf bound_ctrl:1
	v_cvt_f32_i32_dpp v6, v6 row_bcast:15 row_mask:0xf bank_mask:0xf bound_ctrl:1
	v_mov_b32_dpp v31, v27 row_bcast:31 row_mask:0xf bank_mask:0xf bound_ctrl:1
	v_mov_b32_dpp v30, v8 row_bcast:31 row_mask:0xf bank_mask:0xf bound_ctrl:1
	v_add_f32_e32 v25, v20, v25
	v_add_f32_e32 v20, v0, v6
	v_cvt_i32_f32_e32 v23, v25
	v_cvt_i32_f32_e32 v0, v20
	s_nop 0
	v_mov_b32_dpp v27, v23 row_bcast:31 row_mask:0xf bank_mask:0xf bound_ctrl:1
	v_mov_b32_dpp v23, v0 row_bcast:31 row_mask:0xf bank_mask:0xf bound_ctrl:1
	s_and_saveexec_b64 s[36:37], s[0:1]
	s_cbranch_execz .LBB82_48
; %bb.33:                               ;   in Loop: Header=BB82_12 Depth=1
	s_andn2_b64 vcc, exec, s[28:29]
	s_waitcnt vmcnt(11)
	v_mov_b32_e32 v43, 0
	v_add_u32_e32 v8, 2, v62
	v_add_u32_e32 v6, 3, v62
	s_waitcnt vmcnt(10)
	v_mov_b32_e32 v42, 0
	s_waitcnt vmcnt(9)
	v_mov_b32_e32 v41, 0
	;; [unrolled: 2-line block ×11, first 2 shown]
	s_cbranch_vccnz .LBB82_35
; %bb.34:                               ;   in Loop: Header=BB82_12 Depth=1
	v_mul_hi_u32 v0, v62, v73
	v_mul_lo_u32 v0, v0, s12
	v_sub_u32_e32 v0, v62, v0
	v_add_u32_e32 v34, 1, v62
	v_subrev_u32_e32 v32, s12, v0
	v_cmp_le_u32_e32 vcc, s12, v0
	v_mul_hi_u32 v35, v34, v73
	v_mul_lo_u32 v35, v35, s12
	v_cndmask_b32_e32 v0, v0, v32, vcc
	v_subrev_u32_e32 v32, s12, v0
	v_cmp_le_u32_e32 vcc, s12, v0
	v_sub_u32_e32 v34, v34, v35
	v_subrev_u32_e32 v35, s12, v34
	v_cndmask_b32_e32 v0, v0, v32, vcc
	v_cmp_le_u32_e32 vcc, s12, v34
	v_mov_b32_e32 v37, v1
	v_add_u32_e32 v38, s45, v0
	v_cndmask_b32_e32 v34, v34, v35, vcc
	v_subrev_u32_e32 v35, s12, v34
	v_cmp_le_u32_e32 vcc, s12, v34
	v_mov_b32_e32 v39, v1
	v_lshl_add_u64 v[52:53], v[38:39], 1, s[18:19]
	v_cndmask_b32_e32 v34, v34, v35, vcc
	v_mov_b32_e32 v35, v1
	v_lshl_add_u64 v[44:45], v[34:35], 1, s[18:19]
	v_mul_hi_u32 v35, v8, v73
	v_mul_lo_u32 v35, v35, s12
	v_sub_u32_e32 v35, v8, v35
	v_subrev_u32_e32 v36, s12, v35
	v_cmp_le_u32_e32 vcc, s12, v35
	v_add_u32_e32 v38, s45, v34
	v_lshl_add_u64 v[54:55], v[38:39], 1, s[18:19]
	v_cndmask_b32_e32 v35, v35, v36, vcc
	v_subrev_u32_e32 v36, s12, v35
	v_cmp_le_u32_e32 vcc, s12, v35
	v_lshl_add_u64 v[32:33], v[0:1], 1, s[18:19]
	v_mov_b32_e32 v49, v1
	v_cndmask_b32_e32 v36, v35, v36, vcc
	v_mul_hi_u32 v35, v6, v73
	v_mul_lo_u32 v35, v35, s12
	v_sub_u32_e32 v35, v6, v35
	v_lshl_add_u64 v[46:47], v[36:37], 1, s[18:19]
	v_subrev_u32_e32 v37, s12, v35
	v_cmp_le_u32_e32 vcc, s12, v35
	v_add_u32_e32 v38, s45, v36
	v_lshl_add_u64 v[56:57], v[38:39], 1, s[18:19]
	v_cndmask_b32_e32 v35, v35, v37, vcc
	v_subrev_u32_e32 v37, s12, v35
	v_cmp_le_u32_e32 vcc, s12, v35
	v_add_u32_e32 v0, s46, v0
	s_nop 0
	v_cndmask_b32_e32 v48, v35, v37, vcc
	v_add_u32_e32 v38, s45, v48
	v_lshl_add_u64 v[50:51], v[48:49], 1, s[18:19]
	v_lshl_add_u64 v[58:59], v[38:39], 1, s[18:19]
	global_load_ushort v43, v[32:33], off
	global_load_ushort v42, v[44:45], off
	;; [unrolled: 1-line block ×8, first 2 shown]
	v_lshl_add_u64 v[44:45], v[0:1], 1, s[18:19]
	v_add_u32_e32 v0, s46, v34
	v_lshl_add_u64 v[46:47], v[0:1], 1, s[18:19]
	v_add_u32_e32 v0, s46, v36
	;; [unrolled: 2-line block ×3, first 2 shown]
	v_lshl_add_u64 v[48:49], v[0:1], 1, s[18:19]
	global_load_ushort v36, v[44:45], off
	global_load_ushort v34, v[46:47], off
	;; [unrolled: 1-line block ×4, first 2 shown]
.LBB82_35:                              ;   in Loop: Header=BB82_12 Depth=1
	v_cmp_ne_u32_e32 vcc, 0, v2
	s_and_saveexec_b64 s[6:7], vcc
	s_cbranch_execnz .LBB82_53
; %bb.36:                               ;   in Loop: Header=BB82_12 Depth=1
	s_or_b64 exec, exec, s[6:7]
	v_cmp_ne_u32_e64 s[6:7], 0, v3
	s_and_saveexec_b64 s[8:9], s[6:7]
	s_cbranch_execnz .LBB82_54
.LBB82_37:                              ;   in Loop: Header=BB82_12 Depth=1
	s_or_b64 exec, exec, s[8:9]
	v_cmp_ne_u32_e64 s[8:9], 0, v4
	s_and_saveexec_b64 s[10:11], s[8:9]
	s_cbranch_execnz .LBB82_55
.LBB82_38:                              ;   in Loop: Header=BB82_12 Depth=1
	s_or_b64 exec, exec, s[10:11]
	v_cmp_ne_u32_e64 s[10:11], 0, v5
	s_and_saveexec_b64 s[38:39], s[10:11]
	s_cbranch_execnz .LBB82_56
.LBB82_39:                              ;   in Loop: Header=BB82_12 Depth=1
	s_or_b64 exec, exec, s[38:39]
	v_add_u32_e32 v0, s23, v62
	s_and_saveexec_b64 s[38:39], vcc
	s_cbranch_execnz .LBB82_57
.LBB82_40:                              ;   in Loop: Header=BB82_12 Depth=1
	s_or_b64 exec, exec, s[38:39]
	s_and_saveexec_b64 s[38:39], s[6:7]
	s_cbranch_execnz .LBB82_58
.LBB82_41:                              ;   in Loop: Header=BB82_12 Depth=1
	s_or_b64 exec, exec, s[38:39]
	s_and_saveexec_b64 s[38:39], s[8:9]
	s_cbranch_execnz .LBB82_59
.LBB82_42:                              ;   in Loop: Header=BB82_12 Depth=1
	s_or_b64 exec, exec, s[38:39]
	s_and_saveexec_b64 s[38:39], s[10:11]
	s_cbranch_execnz .LBB82_60
.LBB82_43:                              ;   in Loop: Header=BB82_12 Depth=1
	s_or_b64 exec, exec, s[38:39]
	v_add_u32_e32 v0, s23, v0
	s_and_saveexec_b64 s[38:39], vcc
	s_cbranch_execnz .LBB82_61
.LBB82_44:                              ;   in Loop: Header=BB82_12 Depth=1
	s_or_b64 exec, exec, s[38:39]
	s_and_saveexec_b64 s[38:39], s[6:7]
	s_cbranch_execnz .LBB82_62
.LBB82_45:                              ;   in Loop: Header=BB82_12 Depth=1
	s_or_b64 exec, exec, s[38:39]
	s_and_saveexec_b64 s[6:7], s[8:9]
	s_cbranch_execnz .LBB82_63
.LBB82_46:                              ;   in Loop: Header=BB82_12 Depth=1
	s_or_b64 exec, exec, s[6:7]
	s_and_b64 exec, exec, s[10:11]
	s_cbranch_execz .LBB82_48
.LBB82_47:                              ;   in Loop: Header=BB82_12 Depth=1
	v_cvt_f32_i32_e32 v6, v23
	s_waitcnt vmcnt(0)
	v_cvt_f32_f16_e32 v7, v32
	v_add_u32_e32 v0, 3, v0
	v_add_f32_e32 v6, v20, v6
	v_add_f32_e32 v6, v6, v7
	v_cvt_f16_f32_e32 v8, v6
	v_lshl_add_u64 v[6:7], v[0:1], 1, s[24:25]
	global_store_short v[6:7], v8, off
.LBB82_48:                              ;   in Loop: Header=BB82_12 Depth=1
	s_or_b64 exec, exec, s[36:37]
	v_add_u32_e32 v62, s44, v62
	v_add_u32_e32 v0, 4, v62
	v_cmp_gt_u32_e32 vcc, s23, v62
	v_cmp_le_u32_e64 s[6:7], s23, v0
	s_and_b64 s[6:7], vcc, s[6:7]
	s_and_saveexec_b64 s[8:9], s[6:7]
	s_cbranch_execz .LBB82_10
; %bb.49:                               ;   in Loop: Header=BB82_12 Depth=1
	v_cmp_ne_u32_e32 vcc, s13, v62
	s_and_saveexec_b64 s[10:11], vcc
	s_cbranch_execz .LBB82_9
; %bb.50:                               ;   in Loop: Header=BB82_12 Depth=1
	v_subrev_u32_e32 v0, s13, v62
	v_cmp_lt_u32_e32 vcc, 1, v0
	s_mov_b64 s[36:37], 0
	s_mov_b64 s[38:39], 0
	v_cndmask_b32_e32 v0, 1, v0, vcc
.LBB82_51:                              ;   Parent Loop BB82_12 Depth=1
                                        ; =>  This Inner Loop Header: Depth=2
	s_cmp_lg_u32 s38, 3
	s_cselect_b64 vcc, -1, 0
	s_cmp_lg_u32 s38, 2
	v_cndmask_b32_e32 v5, 0, v5, vcc
	s_cselect_b64 vcc, -1, 0
	s_cmp_lg_u32 s38, 1
	v_cndmask_b32_e32 v4, 0, v4, vcc
	;; [unrolled: 3-line block ×3, first 2 shown]
	s_cselect_b64 vcc, -1, 0
	s_add_u32 s38, s38, 1
	s_addc_u32 s39, s39, 0
	v_cmp_eq_u32_e64 s[6:7], s38, v0
	s_or_b64 s[36:37], s[6:7], s[36:37]
	v_cndmask_b32_e32 v2, 0, v2, vcc
	s_andn2_b64 exec, exec, s[36:37]
	s_cbranch_execnz .LBB82_51
; %bb.52:                               ;   in Loop: Header=BB82_12 Depth=1
	s_or_b64 exec, exec, s[36:37]
	s_branch .LBB82_9
.LBB82_53:                              ;   in Loop: Header=BB82_12 Depth=1
	v_cvt_f32_i32_e32 v0, v13
	s_waitcnt vmcnt(11)
	v_cvt_f32_f16_e32 v13, v43
	v_mov_b32_e32 v63, v1
	v_lshl_add_u64 v[44:45], v[62:63], 1, s[24:25]
	v_add_f32_e32 v0, v11, v0
	v_add_f32_e32 v0, v0, v13
	v_cvt_f16_f32_e32 v0, v0
	global_store_short v[44:45], v0, off
	s_or_b64 exec, exec, s[6:7]
	v_cmp_ne_u32_e64 s[6:7], 0, v3
	s_and_saveexec_b64 s[8:9], s[6:7]
	s_cbranch_execz .LBB82_37
.LBB82_54:                              ;   in Loop: Header=BB82_12 Depth=1
	v_cvt_f32_i32_e32 v0, v12
	s_waitcnt vmcnt(10)
	v_cvt_f32_f16_e32 v11, v42
	v_mov_b32_e32 v63, v1
	v_lshl_add_u64 v[12:13], v[62:63], 1, s[30:31]
	v_add_f32_e32 v0, v9, v0
	v_add_f32_e32 v0, v0, v11
	v_cvt_f16_f32_e32 v0, v0
	global_store_short v[12:13], v0, off
	s_or_b64 exec, exec, s[8:9]
	v_cmp_ne_u32_e64 s[8:9], 0, v4
	s_and_saveexec_b64 s[10:11], s[8:9]
	s_cbranch_execz .LBB82_38
.LBB82_55:                              ;   in Loop: Header=BB82_12 Depth=1
	v_cvt_f32_i32_e32 v0, v14
	s_waitcnt vmcnt(9)
	v_cvt_f32_f16_e32 v9, v41
	v_add_f32_e32 v0, v7, v0
	v_add_f32_e32 v0, v0, v9
	v_cvt_f16_f32_e32 v0, v0
	v_mov_b32_e32 v9, v1
	v_lshl_add_u64 v[8:9], v[8:9], 1, s[24:25]
	global_store_short v[8:9], v0, off
	s_or_b64 exec, exec, s[10:11]
	v_cmp_ne_u32_e64 s[10:11], 0, v5
	s_and_saveexec_b64 s[38:39], s[10:11]
	s_cbranch_execz .LBB82_39
.LBB82_56:                              ;   in Loop: Header=BB82_12 Depth=1
	v_cvt_f32_i32_e32 v0, v15
	s_waitcnt vmcnt(8)
	v_cvt_f32_f16_e32 v7, v40
	v_add_f32_e32 v0, v10, v0
	v_add_f32_e32 v0, v0, v7
	v_cvt_f16_f32_e32 v0, v0
	v_mov_b32_e32 v7, v1
	v_lshl_add_u64 v[6:7], v[6:7], 1, s[24:25]
	global_store_short v[6:7], v0, off
	s_or_b64 exec, exec, s[38:39]
	v_add_u32_e32 v0, s23, v62
	s_and_saveexec_b64 s[38:39], vcc
	s_cbranch_execz .LBB82_40
.LBB82_57:                              ;   in Loop: Header=BB82_12 Depth=1
	v_cvt_f32_i32_e32 v6, v22
	s_waitcnt vmcnt(7)
	v_cvt_f32_f16_e32 v7, v39
	v_add_f32_e32 v6, v16, v6
	v_add_f32_e32 v6, v6, v7
	v_cvt_f16_f32_e32 v8, v6
	v_lshl_add_u64 v[6:7], v[0:1], 1, s[24:25]
	global_store_short v[6:7], v8, off
	s_or_b64 exec, exec, s[38:39]
	s_and_saveexec_b64 s[38:39], s[6:7]
	s_cbranch_execz .LBB82_41
.LBB82_58:                              ;   in Loop: Header=BB82_12 Depth=1
	v_cvt_f32_i32_e32 v6, v24
	s_waitcnt vmcnt(6)
	v_cvt_f32_f16_e32 v7, v38
	v_add_f32_e32 v6, v17, v6
	v_add_f32_e32 v6, v6, v7
	v_cvt_f16_f32_e32 v8, v6
	v_add_u32_e32 v6, 1, v0
	v_mov_b32_e32 v7, v1
	v_lshl_add_u64 v[6:7], v[6:7], 1, s[24:25]
	global_store_short v[6:7], v8, off
	s_or_b64 exec, exec, s[38:39]
	s_and_saveexec_b64 s[38:39], s[8:9]
	s_cbranch_execz .LBB82_42
.LBB82_59:                              ;   in Loop: Header=BB82_12 Depth=1
	v_cvt_f32_i32_e32 v6, v26
	s_waitcnt vmcnt(5)
	v_cvt_f32_f16_e32 v7, v37
	v_add_f32_e32 v6, v18, v6
	v_add_f32_e32 v6, v6, v7
	v_cvt_f16_f32_e32 v8, v6
	v_add_u32_e32 v6, 2, v0
	v_mov_b32_e32 v7, v1
	v_lshl_add_u64 v[6:7], v[6:7], 1, s[24:25]
	global_store_short v[6:7], v8, off
	s_or_b64 exec, exec, s[38:39]
	s_and_saveexec_b64 s[38:39], s[10:11]
	s_cbranch_execz .LBB82_43
.LBB82_60:                              ;   in Loop: Header=BB82_12 Depth=1
	v_cvt_f32_i32_e32 v6, v21
	s_waitcnt vmcnt(4)
	v_cvt_f32_f16_e32 v7, v35
	v_add_f32_e32 v6, v19, v6
	v_add_f32_e32 v6, v6, v7
	v_cvt_f16_f32_e32 v8, v6
	v_add_u32_e32 v6, 3, v0
	v_mov_b32_e32 v7, v1
	v_lshl_add_u64 v[6:7], v[6:7], 1, s[24:25]
	global_store_short v[6:7], v8, off
	s_or_b64 exec, exec, s[38:39]
	v_add_u32_e32 v0, s23, v0
	s_and_saveexec_b64 s[38:39], vcc
	s_cbranch_execz .LBB82_44
.LBB82_61:                              ;   in Loop: Header=BB82_12 Depth=1
	v_cvt_f32_i32_e32 v6, v31
	s_waitcnt vmcnt(3)
	v_cvt_f32_f16_e32 v7, v36
	v_add_f32_e32 v6, v29, v6
	v_add_f32_e32 v6, v6, v7
	v_cvt_f16_f32_e32 v8, v6
	v_lshl_add_u64 v[6:7], v[0:1], 1, s[24:25]
	global_store_short v[6:7], v8, off
	s_or_b64 exec, exec, s[38:39]
	s_and_saveexec_b64 s[38:39], s[6:7]
	s_cbranch_execz .LBB82_45
.LBB82_62:                              ;   in Loop: Header=BB82_12 Depth=1
	v_cvt_f32_i32_e32 v6, v30
	s_waitcnt vmcnt(2)
	v_cvt_f32_f16_e32 v7, v34
	v_add_f32_e32 v6, v28, v6
	v_add_f32_e32 v6, v6, v7
	v_cvt_f16_f32_e32 v8, v6
	v_add_u32_e32 v6, 1, v0
	v_mov_b32_e32 v7, v1
	v_lshl_add_u64 v[6:7], v[6:7], 1, s[24:25]
	global_store_short v[6:7], v8, off
	s_or_b64 exec, exec, s[38:39]
	s_and_saveexec_b64 s[6:7], s[8:9]
	s_cbranch_execz .LBB82_46
.LBB82_63:                              ;   in Loop: Header=BB82_12 Depth=1
	v_cvt_f32_i32_e32 v6, v27
	s_waitcnt vmcnt(1)
	v_cvt_f32_f16_e32 v7, v33
	v_add_f32_e32 v6, v25, v6
	v_add_f32_e32 v6, v6, v7
	v_cvt_f16_f32_e32 v8, v6
	v_add_u32_e32 v6, 2, v0
	v_mov_b32_e32 v7, v1
	v_lshl_add_u64 v[6:7], v[6:7], 1, s[24:25]
	global_store_short v[6:7], v8, off
	s_or_b64 exec, exec, s[6:7]
	s_and_b64 exec, exec, s[10:11]
	s_cbranch_execnz .LBB82_47
	s_branch .LBB82_48
.LBB82_64:
	s_endpgm
	.section	.rodata,"a",@progbits
	.p2align	6, 0x0
	.amdhsa_kernel _Z16wvSplitK_hf_big_I6__halfLi32ELi4ELi16ELi8ELi2ELi3EEviiiiiiPKT_S3_S3_PS1_ii
		.amdhsa_group_segment_fixed_size 65536
		.amdhsa_private_segment_fixed_size 0
		.amdhsa_kernarg_size 64
		.amdhsa_user_sgpr_count 2
		.amdhsa_user_sgpr_dispatch_ptr 0
		.amdhsa_user_sgpr_queue_ptr 0
		.amdhsa_user_sgpr_kernarg_segment_ptr 1
		.amdhsa_user_sgpr_dispatch_id 0
		.amdhsa_user_sgpr_kernarg_preload_length 0
		.amdhsa_user_sgpr_kernarg_preload_offset 0
		.amdhsa_user_sgpr_private_segment_size 0
		.amdhsa_uses_dynamic_stack 0
		.amdhsa_enable_private_segment 0
		.amdhsa_system_sgpr_workgroup_id_x 1
		.amdhsa_system_sgpr_workgroup_id_y 0
		.amdhsa_system_sgpr_workgroup_id_z 0
		.amdhsa_system_sgpr_workgroup_info 0
		.amdhsa_system_vgpr_workitem_id 1
		.amdhsa_next_free_vgpr 92
		.amdhsa_next_free_sgpr 52
		.amdhsa_accum_offset 92
		.amdhsa_reserve_vcc 1
		.amdhsa_float_round_mode_32 0
		.amdhsa_float_round_mode_16_64 0
		.amdhsa_float_denorm_mode_32 3
		.amdhsa_float_denorm_mode_16_64 3
		.amdhsa_dx10_clamp 1
		.amdhsa_ieee_mode 1
		.amdhsa_fp16_overflow 0
		.amdhsa_tg_split 0
		.amdhsa_exception_fp_ieee_invalid_op 0
		.amdhsa_exception_fp_denorm_src 0
		.amdhsa_exception_fp_ieee_div_zero 0
		.amdhsa_exception_fp_ieee_overflow 0
		.amdhsa_exception_fp_ieee_underflow 0
		.amdhsa_exception_fp_ieee_inexact 0
		.amdhsa_exception_int_div_zero 0
	.end_amdhsa_kernel
	.section	.text._Z16wvSplitK_hf_big_I6__halfLi32ELi4ELi16ELi8ELi2ELi3EEviiiiiiPKT_S3_S3_PS1_ii,"axG",@progbits,_Z16wvSplitK_hf_big_I6__halfLi32ELi4ELi16ELi8ELi2ELi3EEviiiiiiPKT_S3_S3_PS1_ii,comdat
.Lfunc_end82:
	.size	_Z16wvSplitK_hf_big_I6__halfLi32ELi4ELi16ELi8ELi2ELi3EEviiiiiiPKT_S3_S3_PS1_ii, .Lfunc_end82-_Z16wvSplitK_hf_big_I6__halfLi32ELi4ELi16ELi8ELi2ELi3EEviiiiiiPKT_S3_S3_PS1_ii
                                        ; -- End function
	.section	.AMDGPU.csdata,"",@progbits
; Kernel info:
; codeLenInByte = 5276
; NumSgprs: 58
; NumVgprs: 92
; NumAgprs: 0
; TotalNumVgprs: 92
; ScratchSize: 0
; MemoryBound: 0
; FloatMode: 240
; IeeeMode: 1
; LDSByteSize: 65536 bytes/workgroup (compile time only)
; SGPRBlocks: 7
; VGPRBlocks: 11
; NumSGPRsForWavesPerEU: 58
; NumVGPRsForWavesPerEU: 92
; AccumOffset: 92
; Occupancy: 2
; WaveLimiterHint : 0
; COMPUTE_PGM_RSRC2:SCRATCH_EN: 0
; COMPUTE_PGM_RSRC2:USER_SGPR: 2
; COMPUTE_PGM_RSRC2:TRAP_HANDLER: 0
; COMPUTE_PGM_RSRC2:TGID_X_EN: 1
; COMPUTE_PGM_RSRC2:TGID_Y_EN: 0
; COMPUTE_PGM_RSRC2:TGID_Z_EN: 0
; COMPUTE_PGM_RSRC2:TIDIG_COMP_CNT: 1
; COMPUTE_PGM_RSRC3_GFX90A:ACCUM_OFFSET: 22
; COMPUTE_PGM_RSRC3_GFX90A:TG_SPLIT: 0
	.section	.text._Z16wvSplitK_hf_sml_I6__halfLi64ELi1ELi16ELi8ELi4ELi3EEviiiiiiPKT_S3_S3_PS1_ii,"axG",@progbits,_Z16wvSplitK_hf_sml_I6__halfLi64ELi1ELi16ELi8ELi4ELi3EEviiiiiiPKT_S3_S3_PS1_ii,comdat
	.protected	_Z16wvSplitK_hf_sml_I6__halfLi64ELi1ELi16ELi8ELi4ELi3EEviiiiiiPKT_S3_S3_PS1_ii ; -- Begin function _Z16wvSplitK_hf_sml_I6__halfLi64ELi1ELi16ELi8ELi4ELi3EEviiiiiiPKT_S3_S3_PS1_ii
	.globl	_Z16wvSplitK_hf_sml_I6__halfLi64ELi1ELi16ELi8ELi4ELi3EEviiiiiiPKT_S3_S3_PS1_ii
	.p2align	8
	.type	_Z16wvSplitK_hf_sml_I6__halfLi64ELi1ELi16ELi8ELi4ELi3EEviiiiiiPKT_S3_S3_PS1_ii,@function
_Z16wvSplitK_hf_sml_I6__halfLi64ELi1ELi16ELi8ELi4ELi3EEviiiiiiPKT_S3_S3_PS1_ii: ; @_Z16wvSplitK_hf_sml_I6__halfLi64ELi1ELi16ELi8ELi4ELi3EEviiiiiiPKT_S3_S3_PS1_ii
; %bb.0:
	s_load_dwordx4 s[4:7], s[0:1], 0x0
	s_load_dwordx2 s[8:9], s[0:1], 0x10
	s_load_dwordx2 s[10:11], s[0:1], 0x28
	v_and_b32_e32 v2, 0x3ff, v0
	v_bfe_u32 v3, v0, 10, 10
	v_lshlrev_b32_e32 v70, 3, v2
	s_waitcnt lgkmcnt(0)
	s_mul_i32 s3, s6, 3
	v_lshl_add_u32 v4, v3, 9, v70
	s_min_u32 s3, s3, 0x8000
	v_cmp_gt_u32_e32 vcc, s3, v4
	s_and_saveexec_b64 s[12:13], vcc
	s_cbranch_execz .LBB83_3
; %bb.1:
	s_load_dwordx2 s[14:15], s[0:1], 0x20
	v_mov_b32_e32 v7, 0
	v_lshlrev_b32_e32 v6, 10, v3
	v_lshlrev_b32_e32 v8, 4, v2
	v_mov_b32_e32 v9, v7
	v_lshl_add_u64 v[0:1], v[6:7], 0, v[8:9]
	s_waitcnt lgkmcnt(0)
	v_lshl_add_u64 v[0:1], s[14:15], 0, v[0:1]
	v_add_u32_e32 v5, v6, v8
	s_mov_b64 s[14:15], 0
	s_mov_b64 s[16:17], 0x4000
.LBB83_2:                               ; =>This Inner Loop Header: Depth=1
	global_load_dwordx4 v[6:9], v[0:1], off
	v_add_u32_e32 v4, 0x2000, v4
	v_cmp_le_u32_e32 vcc, s3, v4
	v_lshl_add_u64 v[0:1], v[0:1], 0, s[16:17]
	s_or_b64 s[14:15], vcc, s[14:15]
	s_waitcnt vmcnt(0)
	ds_write_b128 v5, v[6:9]
	v_add_u32_e32 v5, 0x4000, v5
	s_andn2_b64 exec, exec, s[14:15]
	s_cbranch_execnz .LBB83_2
.LBB83_3:
	s_or_b64 exec, exec, s[12:13]
	s_load_dwordx2 s[20:21], s[0:1], 0x38
	s_waitcnt lgkmcnt(0)
	s_barrier
	v_cmp_gt_u32_e32 vcc, s20, v3
	s_and_saveexec_b64 s[12:13], vcc
	s_cbranch_execz .LBB83_24
; %bb.4:
	s_mul_i32 s2, s2, s20
	v_add_u32_e32 v48, s2, v3
	v_cmp_gt_u32_e32 vcc, s7, v48
	s_and_b64 exec, exec, vcc
	s_cbranch_execz .LBB83_24
; %bb.5:
	s_cmp_lg_u32 s4, 0
	s_cselect_b64 s[2:3], -1, 0
	s_add_i32 s28, s4, -8
	s_add_i32 s29, s7, -1
	s_cmp_lg_u64 s[10:11], 0
	s_cselect_b64 s[18:19], -1, 0
	s_abs_i32 s22, s9
	v_cvt_f32_u32_e32 v0, s8
	v_cvt_f32_u32_e32 v1, s22
	s_mul_i32 s9, s21, s20
	s_sub_i32 s20, 0, s8
	v_rcp_iflag_f32_e32 v0, v0
	v_rcp_iflag_f32_e32 v1, v1
	s_load_dwordx2 s[12:13], s[0:1], 0x18
	s_load_dwordx2 s[14:15], s[0:1], 0x30
	v_cmp_eq_u32_e64 s[0:1], 63, v2
	v_mul_f32_e32 v0, 0x4f7ffffe, v0
	v_mul_f32_e32 v1, 0x4f7ffffe, v1
	v_cvt_u32_f32_e32 v0, v0
	v_cvt_u32_f32_e32 v1, v1
	s_mov_b64 s[16:17], 0
	v_mov_b32_e32 v51, 0
	v_mul_lo_u32 v3, s20, v0
	s_sub_i32 s20, 0, s22
	v_readfirstlane_b32 s21, v1
	s_mul_i32 s20, s20, s21
	s_mul_hi_u32 s20, s21, s20
	s_add_i32 s21, s21, s20
	s_sub_i32 s20, 1, s22
	s_cmp_lt_u32 s22, 2
	s_cselect_b32 s20, s20, 1
	s_sub_i32 s23, s20, s22
	s_cmp_ge_u32 s20, s22
	s_cselect_b32 s30, s23, s20
	s_lshr_b32 s20, s21, 31
	s_mul_i32 s20, s20, s22
	s_sub_i32 s20, 2, s20
	s_sub_i32 s21, s20, s22
	s_cmp_ge_u32 s20, s22
	s_cselect_b32 s20, s21, s20
	s_sub_i32 s21, s20, s22
	v_mul_hi_u32 v3, v0, v3
	s_cmp_ge_u32 s20, s22
	v_add_u32_e32 v71, v0, v3
	s_cselect_b32 s31, s21, s20
	v_cndmask_b32_e64 v0, 0, 1, s[2:3]
	s_mul_i32 s30, s30, s8
	s_mul_i32 s31, s31, s8
	s_lshl_b32 s33, s6, 2
	v_lshlrev_b32_e32 v72, 4, v2
	s_lshl_b32 s6, s6, 1
	v_cmp_ne_u32_e64 s[2:3], 1, v0
	s_branch .LBB83_8
.LBB83_6:                               ;   in Loop: Header=BB83_8 Depth=1
	v_cvt_f32_i32_e32 v5, v5
	s_waitcnt vmcnt(2)
	v_cvt_f32_f16_e32 v8, v8
	v_cvt_f32_i32_e32 v4, v4
	v_cvt_f32_i32_e32 v3, v3
	v_add_f32_e32 v1, v1, v5
	v_add_f32_e32 v1, v1, v8
	;; [unrolled: 1-line block ×3, first 2 shown]
	v_cvt_f16_f32_e32 v4, v1
	s_waitcnt vmcnt(1)
	v_cvt_f32_f16_e32 v5, v7
	v_add_f32_e32 v3, v0, v3
	s_waitcnt lgkmcnt(0)
	v_lshl_add_u64 v[0:1], v[48:49], 1, s[14:15]
	global_store_short v[0:1], v4, off
	v_add_f32_e32 v0, v2, v5
	s_waitcnt vmcnt(1)
	v_cvt_f32_f16_e32 v2, v6
	v_cvt_f16_f32_e32 v4, v0
	v_add_u32_e32 v50, s7, v48
	v_lshl_add_u64 v[0:1], v[50:51], 1, s[14:15]
	v_add_f32_e32 v2, v3, v2
	v_cvt_f16_f32_e32 v2, v2
	v_add_u32_e32 v50, s7, v50
	global_store_short v[0:1], v4, off
	v_lshl_add_u64 v[0:1], v[50:51], 1, s[14:15]
	global_store_short v[0:1], v2, off
.LBB83_7:                               ;   in Loop: Header=BB83_8 Depth=1
	s_or_b64 exec, exec, s[20:21]
	v_add_u32_e32 v48, s9, v48
	v_cmp_le_u32_e32 vcc, s7, v48
	s_or_b64 s[16:17], vcc, s[16:17]
	s_andn2_b64 exec, exec, s[16:17]
	s_cbranch_execz .LBB83_24
.LBB83_8:                               ; =>This Loop Header: Depth=1
                                        ;     Child Loop BB83_14 Depth 2
	s_mov_b32 s34, 0
	s_and_b64 vcc, exec, s[2:3]
	v_mov_b32_e32 v74, v51
	v_mov_b32_e32 v73, v51
	;; [unrolled: 1-line block ×3, first 2 shown]
	s_cbranch_vccnz .LBB83_19
; %bb.9:                                ;   in Loop: Header=BB83_8 Depth=1
	v_min_u32_e32 v0, s29, v48
	v_mul_lo_u32 v50, v0, s5
	s_waitcnt lgkmcnt(0)
	v_lshl_add_u64 v[52:53], v[50:51], 1, s[12:13]
	v_mov_b32_e32 v49, 0
	v_mov_b32_e32 v75, v72
	;; [unrolled: 1-line block ×4, first 2 shown]
	s_branch .LBB83_14
.LBB83_10:                              ;   in Loop: Header=BB83_14 Depth=2
	s_or_b64 exec, exec, s[26:27]
.LBB83_11:                              ;   in Loop: Header=BB83_14 Depth=2
	s_or_b64 exec, exec, s[24:25]
.LBB83_12:                              ;   in Loop: Header=BB83_14 Depth=2
	s_or_b64 exec, exec, s[22:23]
.LBB83_13:                              ;   in Loop: Header=BB83_14 Depth=2
	s_or_b64 exec, exec, s[20:21]
	s_waitcnt vmcnt(3) lgkmcnt(1)
	;;#ASMSTART
	v_dot2c_f32_f16 v74, v24, v12
	;;#ASMEND
	;;#ASMSTART
	v_dot2c_f32_f16 v73, v20, v12
	;;#ASMEND
	;; [unrolled: 3-line block ×3, first 2 shown]
	s_addk_i32 s34, 0x800
	;;#ASMSTART
	v_dot2c_f32_f16 v74, v25, v13
	;;#ASMEND
	;;#ASMSTART
	v_dot2c_f32_f16 v73, v21, v13
	;;#ASMEND
	;; [unrolled: 3-line block ×3, first 2 shown]
	s_cmp_ge_u32 s34, s4
	;;#ASMSTART
	v_dot2c_f32_f16 v74, v26, v14
	;;#ASMEND
	;;#ASMSTART
	v_dot2c_f32_f16 v73, v22, v14
	;;#ASMEND
	s_waitcnt lgkmcnt(0)
	;;#ASMSTART
	v_dot2c_f32_f16 v49, v60, v14
	;;#ASMEND
	v_add_u32_e32 v75, 0x1000, v75
	;;#ASMSTART
	v_dot2c_f32_f16 v74, v27, v15
	;;#ASMEND
	;;#ASMSTART
	v_dot2c_f32_f16 v73, v23, v15
	;;#ASMEND
	;;#ASMSTART
	v_dot2c_f32_f16 v49, v61, v15
	;;#ASMEND
	s_waitcnt vmcnt(2)
	;;#ASMSTART
	v_dot2c_f32_f16 v74, v44, v8
	;;#ASMEND
	;;#ASMSTART
	v_dot2c_f32_f16 v73, v36, v8
	;;#ASMEND
	;;#ASMSTART
	v_dot2c_f32_f16 v49, v68, v8
	;;#ASMEND
	s_nop 0
	;;#ASMSTART
	v_dot2c_f32_f16 v74, v45, v9
	;;#ASMEND
	;;#ASMSTART
	v_dot2c_f32_f16 v73, v37, v9
	;;#ASMEND
	;;#ASMSTART
	v_dot2c_f32_f16 v49, v69, v9
	;;#ASMEND
	s_nop 0
	;;#ASMSTART
	v_dot2c_f32_f16 v74, v46, v10
	;;#ASMEND
	;;#ASMSTART
	v_dot2c_f32_f16 v73, v38, v10
	;;#ASMEND
	;;#ASMSTART
	v_dot2c_f32_f16 v49, v66, v10
	;;#ASMEND
	s_nop 0
	;;#ASMSTART
	v_dot2c_f32_f16 v74, v47, v11
	;;#ASMEND
	;;#ASMSTART
	v_dot2c_f32_f16 v73, v39, v11
	;;#ASMEND
	;;#ASMSTART
	v_dot2c_f32_f16 v49, v67, v11
	;;#ASMEND
	s_waitcnt vmcnt(1)
	;;#ASMSTART
	v_dot2c_f32_f16 v74, v40, v4
	;;#ASMEND
	;;#ASMSTART
	v_dot2c_f32_f16 v73, v28, v4
	;;#ASMEND
	;;#ASMSTART
	v_dot2c_f32_f16 v49, v64, v4
	;;#ASMEND
	s_nop 0
	;;#ASMSTART
	v_dot2c_f32_f16 v74, v41, v5
	;;#ASMEND
	;;#ASMSTART
	v_dot2c_f32_f16 v73, v29, v5
	;;#ASMEND
	;;#ASMSTART
	v_dot2c_f32_f16 v49, v65, v5
	;;#ASMEND
	s_nop 0
	;;#ASMSTART
	v_dot2c_f32_f16 v74, v42, v6
	;;#ASMEND
	;;#ASMSTART
	v_dot2c_f32_f16 v73, v30, v6
	;;#ASMEND
	;;#ASMSTART
	v_dot2c_f32_f16 v49, v62, v6
	;;#ASMEND
	s_nop 0
	;; [unrolled: 40-line block ×3, first 2 shown]
	;;#ASMSTART
	v_dot2c_f32_f16 v74, v35, v3
	;;#ASMEND
	;;#ASMSTART
	v_dot2c_f32_f16 v73, v19, v3
	;;#ASMEND
	;; [unrolled: 3-line block ×3, first 2 shown]
	s_cbranch_scc1 .LBB83_19
.LBB83_14:                              ;   Parent Loop BB83_8 Depth=1
                                        ; =>  This Inner Loop Header: Depth=2
	v_add_u32_e32 v20, s34, v70
	v_min_u32_e32 v50, s28, v20
	v_add_u32_e32 v79, 0x200, v20
	v_lshl_add_u64 v[0:1], v[50:51], 1, v[52:53]
	v_min_u32_e32 v50, s28, v79
	v_add_u32_e32 v77, 0x400, v20
	v_lshl_add_u64 v[2:3], v[50:51], 1, v[52:53]
	;; [unrolled: 3-line block ×3, first 2 shown]
	v_min_u32_e32 v50, s28, v76
	global_load_dwordx4 v[12:15], v[0:1], off nt
	global_load_dwordx4 v[8:11], v[2:3], off nt
	v_lshl_add_u64 v[18:19], v[50:51], 1, v[52:53]
	global_load_dwordx4 v[4:7], v[16:17], off nt
	global_load_dwordx4 v[0:3], v[18:19], off nt
	v_cmp_gt_u32_e32 vcc, s4, v20
	v_mov_b32_e32 v27, 0
	v_mov_b32_e32 v24, 0
	;; [unrolled: 1-line block ×48, first 2 shown]
	s_and_saveexec_b64 s[20:21], vcc
	s_cbranch_execz .LBB83_13
; %bb.15:                               ;   in Loop: Header=BB83_14 Depth=2
	v_add_u32_e32 v50, s6, v75
	v_add_u32_e32 v78, s33, v75
	ds_read_b128 v[20:23], v50
	ds_read2_b32 v[58:59], v78 offset1:1
	ds_read_b128 v[24:27], v75
	ds_read2_b32 v[60:61], v78 offset0:2 offset1:3
	v_cmp_gt_u32_e32 vcc, s4, v79
	v_mov_b32_e32 v55, 0
	v_mov_b32_e32 v54, 0
	;; [unrolled: 1-line block ×36, first 2 shown]
	s_and_saveexec_b64 s[22:23], vcc
	s_cbranch_execz .LBB83_12
; %bb.16:                               ;   in Loop: Header=BB83_14 Depth=2
	v_add_u32_e32 v16, 0x400, v78
	ds_read_b128 v[36:39], v50 offset:1024
	ds_read2_b32 v[68:69], v16 offset1:1
	v_add_u32_e32 v16, 0x408, v78
	ds_read_b128 v[44:47], v75 offset:1024
	ds_read2_b32 v[66:67], v16 offset1:1
	v_cmp_gt_u32_e32 vcc, s4, v77
	v_mov_b32_e32 v55, 0
	v_mov_b32_e32 v54, 0
	v_mov_b32_e32 v57, 0
	v_mov_b32_e32 v56, 0
	v_mov_b32_e32 v19, 0
	v_mov_b32_e32 v18, 0
	v_mov_b32_e32 v17, 0
	v_mov_b32_e32 v16, 0
	v_mov_b32_e32 v35, 0
	v_mov_b32_e32 v34, 0
	v_mov_b32_e32 v33, 0
	v_mov_b32_e32 v32, 0
	v_mov_b32_e32 v63, 0
	v_mov_b32_e32 v62, 0
	v_mov_b32_e32 v65, 0
	v_mov_b32_e32 v64, 0
	v_mov_b32_e32 v31, 0
	v_mov_b32_e32 v30, 0
	v_mov_b32_e32 v29, 0
	v_mov_b32_e32 v28, 0
	v_mov_b32_e32 v43, 0
	v_mov_b32_e32 v42, 0
	v_mov_b32_e32 v41, 0
	v_mov_b32_e32 v40, 0
	s_and_saveexec_b64 s[24:25], vcc
	s_cbranch_execz .LBB83_11
; %bb.17:                               ;   in Loop: Header=BB83_14 Depth=2
	v_add_u32_e32 v16, 0x800, v78
	ds_read_b128 v[28:31], v50 offset:2048
	ds_read2_b32 v[64:65], v16 offset1:1
	v_add_u32_e32 v16, 0x808, v78
	ds_read_b128 v[40:43], v75 offset:2048
	ds_read2_b32 v[62:63], v16 offset1:1
	v_cmp_gt_u32_e32 vcc, s4, v76
	v_mov_b32_e32 v55, 0
	v_mov_b32_e32 v54, 0
	;; [unrolled: 1-line block ×12, first 2 shown]
	s_and_saveexec_b64 s[26:27], vcc
	s_cbranch_execz .LBB83_10
; %bb.18:                               ;   in Loop: Header=BB83_14 Depth=2
	v_add_u32_e32 v32, 0xc00, v78
	ds_read_b128 v[16:19], v50 offset:3072
	ds_read2_b32 v[56:57], v32 offset1:1
	v_add_u32_e32 v50, 0xc08, v78
	ds_read_b128 v[32:35], v75 offset:3072
	ds_read2_b32 v[54:55], v50 offset1:1
	s_branch .LBB83_10
.LBB83_19:                              ;   in Loop: Header=BB83_8 Depth=1
	; sched_barrier mask(0x00000000)
	v_cvt_i32_f32_e32 v0, v74
	v_cvt_i32_f32_e32 v1, v73
	v_cvt_i32_f32_e32 v2, v49
	v_cvt_f32_i32_dpp v0, v0 row_shr:8 row_mask:0xf bank_mask:0xf bound_ctrl:1
	v_cvt_f32_i32_dpp v1, v1 row_shr:8 row_mask:0xf bank_mask:0xf bound_ctrl:1
	v_cvt_f32_i32_dpp v2, v2 row_shr:8 row_mask:0xf bank_mask:0xf bound_ctrl:1
	v_add_f32_e32 v0, v74, v0
	v_add_f32_e32 v1, v73, v1
	v_add_f32_e32 v2, v49, v2
	v_cvt_i32_f32_e32 v3, v0
	v_cvt_i32_f32_e32 v4, v1
	v_cvt_i32_f32_e32 v5, v2
	v_cvt_f32_i32_dpp v3, v3 row_shr:4 row_mask:0xf bank_mask:0xf bound_ctrl:1
	v_cvt_f32_i32_dpp v4, v4 row_shr:4 row_mask:0xf bank_mask:0xf bound_ctrl:1
	v_cvt_f32_i32_dpp v5, v5 row_shr:4 row_mask:0xf bank_mask:0xf bound_ctrl:1
	v_add_f32_e32 v0, v0, v3
	v_add_f32_e32 v1, v1, v4
	v_add_f32_e32 v2, v2, v5
	;; [unrolled: 9-line block ×4, first 2 shown]
	v_cvt_i32_f32_e32 v1, v0
	v_cvt_i32_f32_e32 v2, v3
	;; [unrolled: 1-line block ×3, first 2 shown]
	v_cvt_f32_i32_dpp v1, v1 row_bcast:15 row_mask:0xf bank_mask:0xf bound_ctrl:1
	v_cvt_f32_i32_dpp v2, v2 row_bcast:15 row_mask:0xf bank_mask:0xf bound_ctrl:1
	;; [unrolled: 1-line block ×3, first 2 shown]
	v_add_f32_e32 v1, v0, v1
	v_add_f32_e32 v2, v3, v2
	v_add_f32_e32 v0, v4, v5
	v_cvt_i32_f32_e32 v3, v1
	v_cvt_i32_f32_e32 v4, v2
	;; [unrolled: 1-line block ×3, first 2 shown]
	v_mov_b32_dpp v5, v3 row_bcast:31 row_mask:0xf bank_mask:0xf bound_ctrl:1
	v_mov_b32_dpp v4, v4 row_bcast:31 row_mask:0xf bank_mask:0xf bound_ctrl:1
	;; [unrolled: 1-line block ×3, first 2 shown]
	s_and_saveexec_b64 s[20:21], s[0:1]
	s_cbranch_execz .LBB83_7
; %bb.20:                               ;   in Loop: Header=BB83_8 Depth=1
	s_and_b64 vcc, exec, s[18:19]
	s_cbranch_vccz .LBB83_22
; %bb.21:                               ;   in Loop: Header=BB83_8 Depth=1
	v_mul_hi_u32 v6, v48, v71
	v_mul_lo_u32 v6, v6, s8
	v_sub_u32_e32 v6, v48, v6
	v_subrev_u32_e32 v7, s8, v6
	v_cmp_le_u32_e32 vcc, s8, v6
	v_mov_b32_e32 v49, v51
	s_nop 0
	v_cndmask_b32_e32 v6, v6, v7, vcc
	v_subrev_u32_e32 v7, s8, v6
	v_cmp_le_u32_e32 vcc, s8, v6
	s_nop 1
	v_cndmask_b32_e32 v50, v6, v7, vcc
	v_lshl_add_u64 v[10:11], v[50:51], 1, s[10:11]
	v_add_u32_e32 v6, s30, v50
	v_mov_b32_e32 v7, v51
	v_add_u32_e32 v50, s31, v50
	v_lshl_add_u64 v[12:13], v[6:7], 1, s[10:11]
	v_lshl_add_u64 v[14:15], v[50:51], 1, s[10:11]
	global_load_ushort v8, v[10:11], off
	global_load_ushort v7, v[12:13], off
	;; [unrolled: 1-line block ×3, first 2 shown]
	s_cbranch_execnz .LBB83_6
	s_branch .LBB83_23
.LBB83_22:                              ;   in Loop: Header=BB83_8 Depth=1
                                        ; implicit-def: $vgpr6
                                        ; implicit-def: $vgpr7
                                        ; implicit-def: $vgpr8
.LBB83_23:                              ;   in Loop: Header=BB83_8 Depth=1
	v_mov_b32_e32 v49, v51
	s_waitcnt vmcnt(2)
	v_mov_b32_e32 v8, 0
	s_waitcnt vmcnt(1)
	;; [unrolled: 2-line block ×3, first 2 shown]
	v_mov_b32_e32 v6, 0
	s_branch .LBB83_6
.LBB83_24:
	s_endpgm
	.section	.rodata,"a",@progbits
	.p2align	6, 0x0
	.amdhsa_kernel _Z16wvSplitK_hf_sml_I6__halfLi64ELi1ELi16ELi8ELi4ELi3EEviiiiiiPKT_S3_S3_PS1_ii
		.amdhsa_group_segment_fixed_size 65536
		.amdhsa_private_segment_fixed_size 0
		.amdhsa_kernarg_size 64
		.amdhsa_user_sgpr_count 2
		.amdhsa_user_sgpr_dispatch_ptr 0
		.amdhsa_user_sgpr_queue_ptr 0
		.amdhsa_user_sgpr_kernarg_segment_ptr 1
		.amdhsa_user_sgpr_dispatch_id 0
		.amdhsa_user_sgpr_kernarg_preload_length 0
		.amdhsa_user_sgpr_kernarg_preload_offset 0
		.amdhsa_user_sgpr_private_segment_size 0
		.amdhsa_uses_dynamic_stack 0
		.amdhsa_enable_private_segment 0
		.amdhsa_system_sgpr_workgroup_id_x 1
		.amdhsa_system_sgpr_workgroup_id_y 0
		.amdhsa_system_sgpr_workgroup_id_z 0
		.amdhsa_system_sgpr_workgroup_info 0
		.amdhsa_system_vgpr_workitem_id 1
		.amdhsa_next_free_vgpr 80
		.amdhsa_next_free_sgpr 35
		.amdhsa_accum_offset 80
		.amdhsa_reserve_vcc 1
		.amdhsa_float_round_mode_32 0
		.amdhsa_float_round_mode_16_64 0
		.amdhsa_float_denorm_mode_32 3
		.amdhsa_float_denorm_mode_16_64 3
		.amdhsa_dx10_clamp 1
		.amdhsa_ieee_mode 1
		.amdhsa_fp16_overflow 0
		.amdhsa_tg_split 0
		.amdhsa_exception_fp_ieee_invalid_op 0
		.amdhsa_exception_fp_denorm_src 0
		.amdhsa_exception_fp_ieee_div_zero 0
		.amdhsa_exception_fp_ieee_overflow 0
		.amdhsa_exception_fp_ieee_underflow 0
		.amdhsa_exception_fp_ieee_inexact 0
		.amdhsa_exception_int_div_zero 0
	.end_amdhsa_kernel
	.section	.text._Z16wvSplitK_hf_sml_I6__halfLi64ELi1ELi16ELi8ELi4ELi3EEviiiiiiPKT_S3_S3_PS1_ii,"axG",@progbits,_Z16wvSplitK_hf_sml_I6__halfLi64ELi1ELi16ELi8ELi4ELi3EEviiiiiiPKT_S3_S3_PS1_ii,comdat
.Lfunc_end83:
	.size	_Z16wvSplitK_hf_sml_I6__halfLi64ELi1ELi16ELi8ELi4ELi3EEviiiiiiPKT_S3_S3_PS1_ii, .Lfunc_end83-_Z16wvSplitK_hf_sml_I6__halfLi64ELi1ELi16ELi8ELi4ELi3EEviiiiiiPKT_S3_S3_PS1_ii
                                        ; -- End function
	.section	.AMDGPU.csdata,"",@progbits
; Kernel info:
; codeLenInByte = 2476
; NumSgprs: 41
; NumVgprs: 80
; NumAgprs: 0
; TotalNumVgprs: 80
; ScratchSize: 0
; MemoryBound: 0
; FloatMode: 240
; IeeeMode: 1
; LDSByteSize: 65536 bytes/workgroup (compile time only)
; SGPRBlocks: 5
; VGPRBlocks: 9
; NumSGPRsForWavesPerEU: 41
; NumVGPRsForWavesPerEU: 80
; AccumOffset: 80
; Occupancy: 4
; WaveLimiterHint : 0
; COMPUTE_PGM_RSRC2:SCRATCH_EN: 0
; COMPUTE_PGM_RSRC2:USER_SGPR: 2
; COMPUTE_PGM_RSRC2:TRAP_HANDLER: 0
; COMPUTE_PGM_RSRC2:TGID_X_EN: 1
; COMPUTE_PGM_RSRC2:TGID_Y_EN: 0
; COMPUTE_PGM_RSRC2:TGID_Z_EN: 0
; COMPUTE_PGM_RSRC2:TIDIG_COMP_CNT: 1
; COMPUTE_PGM_RSRC3_GFX90A:ACCUM_OFFSET: 19
; COMPUTE_PGM_RSRC3_GFX90A:TG_SPLIT: 0
	.section	.text._Z12wvSplitK_hf_I6__halfLi64ELi1ELi16ELi8ELi4ELi3EEviiiiiiPKT_S3_S3_PS1_ii,"axG",@progbits,_Z12wvSplitK_hf_I6__halfLi64ELi1ELi16ELi8ELi4ELi3EEviiiiiiPKT_S3_S3_PS1_ii,comdat
	.protected	_Z12wvSplitK_hf_I6__halfLi64ELi1ELi16ELi8ELi4ELi3EEviiiiiiPKT_S3_S3_PS1_ii ; -- Begin function _Z12wvSplitK_hf_I6__halfLi64ELi1ELi16ELi8ELi4ELi3EEviiiiiiPKT_S3_S3_PS1_ii
	.globl	_Z12wvSplitK_hf_I6__halfLi64ELi1ELi16ELi8ELi4ELi3EEviiiiiiPKT_S3_S3_PS1_ii
	.p2align	8
	.type	_Z12wvSplitK_hf_I6__halfLi64ELi1ELi16ELi8ELi4ELi3EEviiiiiiPKT_S3_S3_PS1_ii,@function
_Z12wvSplitK_hf_I6__halfLi64ELi1ELi16ELi8ELi4ELi3EEviiiiiiPKT_S3_S3_PS1_ii: ; @_Z12wvSplitK_hf_I6__halfLi64ELi1ELi16ELi8ELi4ELi3EEviiiiiiPKT_S3_S3_PS1_ii
; %bb.0:
	s_load_dwordx2 s[4:5], s[0:1], 0x38
	s_load_dwordx4 s[8:11], s[0:1], 0x0
	s_load_dwordx2 s[16:17], s[0:1], 0x10
	v_bfe_u32 v3, v0, 10, 10
	v_mov_b32_e32 v80, 1
	s_waitcnt lgkmcnt(0)
	s_mul_i32 s2, s2, s4
	v_add_u32_e32 v64, s2, v3
	v_add_u32_e32 v1, 1, v64
	v_cmp_gt_u32_e32 vcc, s11, v64
	v_cmp_le_u32_e64 s[2:3], s11, v1
	s_and_b64 s[6:7], vcc, s[2:3]
	s_and_saveexec_b64 s[2:3], s[6:7]
; %bb.1:
	v_subrev_u32_e32 v1, s11, v64
	v_cmp_eq_u32_e32 vcc, -1, v1
	s_add_i32 s6, s11, -1
	v_mov_b32_e32 v64, s6
	v_cndmask_b32_e64 v80, 0, 1, vcc
; %bb.2:
	s_or_b64 exec, exec, s[2:3]
	s_load_dwordx4 s[12:15], s[0:1], 0x20
	v_and_b32_e32 v2, 0x3ff, v0
	v_lshlrev_b32_e32 v81, 3, v2
	s_mul_i32 s2, s10, 3
	v_lshl_add_u32 v4, v3, 9, v81
	s_min_u32 s20, s2, 0x8000
	v_cmp_gt_u32_e32 vcc, s20, v4
	s_and_saveexec_b64 s[2:3], vcc
	s_cbranch_execz .LBB84_5
; %bb.3:
	v_mov_b32_e32 v7, 0
	v_lshlrev_b32_e32 v6, 10, v3
	v_lshlrev_b32_e32 v8, 4, v2
	v_mov_b32_e32 v9, v7
	v_lshl_add_u64 v[0:1], v[6:7], 0, v[8:9]
	s_waitcnt lgkmcnt(0)
	v_lshl_add_u64 v[0:1], s[12:13], 0, v[0:1]
	v_add_u32_e32 v5, v6, v8
	s_mov_b64 s[6:7], 0
	s_mov_b64 s[18:19], 0x4000
.LBB84_4:                               ; =>This Inner Loop Header: Depth=1
	global_load_dwordx4 v[6:9], v[0:1], off
	v_add_u32_e32 v4, 0x2000, v4
	v_cmp_le_u32_e32 vcc, s20, v4
	v_lshl_add_u64 v[0:1], v[0:1], 0, s[18:19]
	s_or_b64 s[6:7], vcc, s[6:7]
	s_waitcnt vmcnt(0)
	ds_write_b128 v5, v[6:9]
	v_add_u32_e32 v5, 0x4000, v5
	s_andn2_b64 exec, exec, s[6:7]
	s_cbranch_execnz .LBB84_4
.LBB84_5:
	s_or_b64 exec, exec, s[2:3]
	v_cmp_gt_u32_e32 vcc, s4, v3
	v_cmp_gt_u32_e64 s[2:3], s11, v64
	s_and_b64 s[2:3], vcc, s[2:3]
	s_waitcnt lgkmcnt(0)
	s_barrier
	s_and_saveexec_b64 s[6:7], s[2:3]
	s_cbranch_execz .LBB84_72
; %bb.6:
	s_cmp_lg_u32 s8, 0
	s_cselect_b64 s[2:3], -1, 0
	s_add_i32 s33, s8, -8
	s_add_i32 s36, s11, -1
	s_cmp_lg_u64 s[14:15], 0
	s_cselect_b64 s[24:25], -1, 0
	s_mul_i32 s37, s5, s4
	s_abs_i32 s4, s17
	v_cvt_f32_u32_e32 v0, s16
	v_cvt_f32_u32_e32 v1, s4
	s_sub_i32 s5, 0, s16
	s_sub_i32 s38, s37, s11
	v_rcp_iflag_f32_e32 v0, v0
	v_rcp_iflag_f32_e32 v1, v1
	s_add_i32 s38, s38, 2
	s_lshl_b32 s17, s10, 1
	v_mul_f32_e32 v0, 0x4f7ffffe, v0
	v_mul_f32_e32 v1, 0x4f7ffffe, v1
	v_cvt_u32_f32_e32 v0, v0
	v_cvt_u32_f32_e32 v1, v1
	s_load_dwordx2 s[18:19], s[0:1], 0x18
	s_load_dwordx2 s[20:21], s[0:1], 0x30
	v_cmp_eq_u32_e64 s[0:1], 63, v2
	v_mul_lo_u32 v3, s5, v0
	s_sub_i32 s5, 0, s4
	v_readfirstlane_b32 s6, v1
	s_mul_i32 s5, s5, s6
	s_mul_hi_u32 s5, s6, s5
	s_add_i32 s6, s6, s5
	s_sub_i32 s5, 1, s4
	s_cmp_lt_u32 s4, 2
	s_cselect_b32 s5, s5, 1
	s_sub_i32 s7, s5, s4
	s_cmp_ge_u32 s5, s4
	s_cselect_b32 s39, s7, s5
	s_lshr_b32 s5, s6, 31
	s_mul_i32 s5, s5, s4
	s_sub_i32 s5, 2, s5
	s_sub_i32 s6, s5, s4
	s_cmp_ge_u32 s5, s4
	s_cselect_b32 s5, s6, s5
	s_sub_i32 s6, s5, s4
	v_mul_hi_u32 v3, v0, v3
	s_cmp_ge_u32 s5, s4
	v_add_u32_e32 v82, v0, v3
	s_cselect_b32 s40, s6, s5
	v_cndmask_b32_e64 v0, 0, 1, s[2:3]
	s_mov_b64 s[22:23], 0
	v_mov_b32_e32 v67, 0
	s_mul_i32 s39, s39, s16
	s_mul_i32 s40, s40, s16
	v_lshlrev_b32_e32 v83, 4, v2
	s_lshl_b32 s41, s10, 2
	v_add_u32_e32 v84, s17, v81
	v_add_u32_e32 v85, s10, v81
	v_cmp_ne_u32_e64 s[2:3], 1, v0
	s_movk_i32 s10, 0x7fff
	s_mov_b32 s26, 0
	s_branch .LBB84_8
.LBB84_7:                               ;   in Loop: Header=BB84_8 Depth=1
	s_or_b64 exec, exec, s[4:5]
	v_add_u32_e32 v0, s37, v64
	v_add_u32_e32 v1, 1, v0
	v_cmp_le_u32_e32 vcc, s11, v0
	v_cmp_gt_u32_e64 s[4:5], s11, v1
	v_add_u32_e32 v1, s38, v64
	v_cmp_eq_u32_e64 s[6:7], 1, v1
	v_mov_b32_e32 v1, s36
	s_or_b64 vcc, vcc, s[4:5]
	v_cndmask_b32_e32 v64, v1, v0, vcc
	v_cmp_le_u32_e64 s[4:5], s11, v64
	s_or_b64 vcc, vcc, s[6:7]
	s_or_b64 s[22:23], s[4:5], s[22:23]
	v_cndmask_b32_e32 v80, 0, v80, vcc
	s_andn2_b64 exec, exec, s[22:23]
	s_cbranch_execz .LBB84_72
.LBB84_8:                               ; =>This Loop Header: Depth=1
                                        ;     Child Loop BB84_15 Depth 2
	s_and_b64 vcc, exec, s[2:3]
	v_mov_b32_e32 v87, v67
	v_mov_b32_e32 v86, v67
	;; [unrolled: 1-line block ×3, first 2 shown]
	s_cbranch_vccnz .LBB84_67
; %bb.9:                                ;   in Loop: Header=BB84_8 Depth=1
	v_min_u32_e32 v0, s36, v64
	v_mul_lo_u32 v66, v0, s9
	s_waitcnt lgkmcnt(0)
	v_lshl_add_u64 v[68:69], v[66:67], 1, s[18:19]
	v_mov_b32_e32 v65, 0
	v_mov_b32_e32 v88, v83
	;; [unrolled: 1-line block ×4, first 2 shown]
	s_mov_b32 s42, s26
	s_branch .LBB84_15
.LBB84_10:                              ;   in Loop: Header=BB84_15 Depth=2
	s_or_b64 exec, exec, s[34:35]
.LBB84_11:                              ;   in Loop: Header=BB84_15 Depth=2
	s_or_b64 exec, exec, s[30:31]
.LBB84_12:                              ;   in Loop: Header=BB84_15 Depth=2
	s_or_b64 exec, exec, s[28:29]
.LBB84_13:                              ;   in Loop: Header=BB84_15 Depth=2
	s_or_b64 exec, exec, s[6:7]
.LBB84_14:                              ;   in Loop: Header=BB84_15 Depth=2
	s_or_b64 exec, exec, s[4:5]
	s_waitcnt vmcnt(3)
	;;#ASMSTART
	v_dot2c_f32_f16 v87, v24, v12
	;;#ASMEND
	s_waitcnt vmcnt(0) lgkmcnt(0)
	;;#ASMSTART
	v_dot2c_f32_f16 v86, v20, v12
	;;#ASMEND
	;;#ASMSTART
	v_dot2c_f32_f16 v65, v16, v12
	;;#ASMEND
	s_addk_i32 s42, 0x800
	;;#ASMSTART
	v_dot2c_f32_f16 v87, v70, v13
	;;#ASMEND
	;;#ASMSTART
	v_dot2c_f32_f16 v86, v21, v13
	;;#ASMEND
	;; [unrolled: 3-line block ×3, first 2 shown]
	s_cmp_ge_u32 s42, s8
	;;#ASMSTART
	v_dot2c_f32_f16 v87, v71, v14
	;;#ASMEND
	;;#ASMSTART
	v_dot2c_f32_f16 v86, v22, v14
	;;#ASMEND
	;;#ASMSTART
	v_dot2c_f32_f16 v65, v18, v14
	;;#ASMEND
	v_add_u32_e32 v88, 0x1000, v88
	;;#ASMSTART
	v_dot2c_f32_f16 v87, v27, v15
	;;#ASMEND
	;;#ASMSTART
	v_dot2c_f32_f16 v86, v23, v15
	;;#ASMEND
	;;#ASMSTART
	v_dot2c_f32_f16 v65, v19, v15
	;;#ASMEND
	s_nop 0
	;;#ASMSTART
	v_dot2c_f32_f16 v87, v36, v4
	;;#ASMEND
	;;#ASMSTART
	v_dot2c_f32_f16 v86, v32, v4
	;;#ASMEND
	;;#ASMSTART
	v_dot2c_f32_f16 v65, v28, v4
	;;#ASMEND
	s_nop 0
	;; [unrolled: 10-line block ×12, first 2 shown]
	;;#ASMSTART
	v_dot2c_f32_f16 v87, v63, v3
	;;#ASMEND
	;;#ASMSTART
	v_dot2c_f32_f16 v86, v55, v3
	;;#ASMEND
	;; [unrolled: 3-line block ×3, first 2 shown]
	s_cbranch_scc1 .LBB84_67
.LBB84_15:                              ;   Parent Loop BB84_8 Depth=1
                                        ; =>  This Inner Loop Header: Depth=2
	v_add_u32_e32 v26, s42, v81
	v_min_u32_e32 v66, s33, v26
	v_add_u32_e32 v78, 0x200, v26
	v_lshl_add_u64 v[0:1], v[66:67], 1, v[68:69]
	v_min_u32_e32 v66, s33, v78
	v_add_u32_e32 v76, 0x400, v26
	v_lshl_add_u64 v[2:3], v[66:67], 1, v[68:69]
	;; [unrolled: 3-line block ×3, first 2 shown]
	v_min_u32_e32 v66, s33, v72
	global_load_dwordx4 v[12:15], v[0:1], off nt
	global_load_dwordx4 v[4:7], v[2:3], off nt
	v_lshl_add_u64 v[18:19], v[66:67], 1, v[68:69]
	global_load_dwordx4 v[8:11], v[16:17], off nt
	global_load_dwordx4 v[0:3], v[18:19], off nt
	s_mov_b32 s27, s26
	v_cmp_gt_u32_e32 vcc, s8, v26
	v_mov_b64_e32 v[54:55], s[26:27]
	v_mov_b32_e32 v59, 0
	v_mov_b32_e32 v58, 0
	;; [unrolled: 1-line block ×4, first 2 shown]
	v_mov_b64_e32 v[52:53], s[26:27]
	v_mov_b64_e32 v[62:63], s[26:27]
	;; [unrolled: 1-line block ×20, first 2 shown]
	v_mov_b32_e32 v24, 0
	v_mov_b32_e32 v27, 0
	s_and_saveexec_b64 s[4:5], vcc
	s_cbranch_execz .LBB84_14
; %bb.16:                               ;   in Loop: Header=BB84_15 Depth=2
	v_cmp_lt_u32_e32 vcc, s10, v26
                                        ; implicit-def: $vgpr70_vgpr71
                                        ; implicit-def: $vgpr24
	s_and_saveexec_b64 s[6:7], vcc
	s_xor_b64 s[6:7], exec, s[6:7]
	s_cbranch_execz .LBB84_18
; %bb.17:                               ;   in Loop: Header=BB84_15 Depth=2
	v_mov_b32_e32 v27, v67
	v_lshl_add_u64 v[16:17], v[26:27], 1, s[12:13]
	global_load_dwordx4 v[24:27], v[16:17], off
	s_waitcnt vmcnt(0)
	v_mov_b32_e32 v70, v25
	v_mov_b32_e32 v71, v26
.LBB84_18:                              ;   in Loop: Header=BB84_15 Depth=2
	s_andn2_saveexec_b64 s[6:7], s[6:7]
	s_cbranch_execz .LBB84_20
; %bb.19:                               ;   in Loop: Header=BB84_15 Depth=2
	ds_read_b128 v[24:27], v88
	s_waitcnt lgkmcnt(0)
	v_mov_b32_e32 v70, v25
	v_mov_b32_e32 v71, v26
.LBB84_20:                              ;   in Loop: Header=BB84_15 Depth=2
	s_or_b64 exec, exec, s[6:7]
	v_add_u32_e32 v66, s42, v85
	v_cmp_lt_u32_e32 vcc, s10, v66
                                        ; implicit-def: $vgpr22_vgpr23
	s_and_saveexec_b64 s[6:7], vcc
	s_xor_b64 s[6:7], exec, s[6:7]
	s_cbranch_execz .LBB84_22
; %bb.21:                               ;   in Loop: Header=BB84_15 Depth=2
	v_lshl_add_u64 v[16:17], v[66:67], 1, s[12:13]
	global_load_dwordx4 v[20:23], v[16:17], off
.LBB84_22:                              ;   in Loop: Header=BB84_15 Depth=2
	s_andn2_saveexec_b64 s[6:7], s[6:7]
	s_cbranch_execz .LBB84_24
; %bb.23:                               ;   in Loop: Header=BB84_15 Depth=2
	v_add_u32_e32 v16, s17, v88
	s_waitcnt vmcnt(0)
	ds_read_b128 v[20:23], v16
.LBB84_24:                              ;   in Loop: Header=BB84_15 Depth=2
	s_or_b64 exec, exec, s[6:7]
	v_add_u32_e32 v74, s42, v84
	v_cmp_lt_u32_e32 vcc, s10, v74
                                        ; implicit-def: $vgpr18_vgpr19
	s_and_saveexec_b64 s[6:7], vcc
	s_xor_b64 s[6:7], exec, s[6:7]
	s_cbranch_execz .LBB84_26
; %bb.25:                               ;   in Loop: Header=BB84_15 Depth=2
	v_mov_b32_e32 v75, v67
	v_lshl_add_u64 v[16:17], v[74:75], 1, s[12:13]
	global_load_dwordx4 v[16:19], v[16:17], off
.LBB84_26:                              ;   in Loop: Header=BB84_15 Depth=2
	s_andn2_saveexec_b64 s[6:7], s[6:7]
	s_cbranch_execz .LBB84_28
; %bb.27:                               ;   in Loop: Header=BB84_15 Depth=2
	s_waitcnt vmcnt(0)
	v_add_u32_e32 v18, s41, v88
	ds_read2_b32 v[16:17], v18 offset1:1
	ds_read2_b32 v[18:19], v18 offset0:2 offset1:3
.LBB84_28:                              ;   in Loop: Header=BB84_15 Depth=2
	s_or_b64 exec, exec, s[6:7]
	s_mov_b32 s27, s26
	v_cmp_gt_u32_e32 vcc, s8, v78
	v_mov_b32_e32 v59, 0
	v_mov_b64_e32 v[54:55], s[26:27]
	v_mov_b32_e32 v58, 0
	v_mov_b32_e32 v57, 0
	v_mov_b32_e32 v56, 0
	v_mov_b64_e32 v[52:53], s[26:27]
	v_mov_b64_e32 v[62:63], s[26:27]
	;; [unrolled: 1-line block ×15, first 2 shown]
	s_and_saveexec_b64 s[6:7], vcc
	s_cbranch_execz .LBB84_13
; %bb.29:                               ;   in Loop: Header=BB84_15 Depth=2
	v_cmp_lt_u32_e32 vcc, s10, v78
                                        ; implicit-def: $vgpr38_vgpr39
	s_and_saveexec_b64 s[28:29], vcc
	s_xor_b64 s[28:29], exec, s[28:29]
	s_cbranch_execz .LBB84_31
; %bb.30:                               ;   in Loop: Header=BB84_15 Depth=2
	v_mov_b32_e32 v79, v67
	v_lshl_add_u64 v[28:29], v[78:79], 1, s[12:13]
	global_load_dwordx4 v[36:39], v[28:29], off
.LBB84_31:                              ;   in Loop: Header=BB84_15 Depth=2
	s_andn2_saveexec_b64 s[28:29], s[28:29]
	s_cbranch_execz .LBB84_33
; %bb.32:                               ;   in Loop: Header=BB84_15 Depth=2
	s_waitcnt vmcnt(0)
	ds_read_b128 v[36:39], v88 offset:1024
.LBB84_33:                              ;   in Loop: Header=BB84_15 Depth=2
	s_or_b64 exec, exec, s[28:29]
	v_add_u32_e32 v28, 0x200, v66
	v_cmp_lt_u32_e32 vcc, s10, v28
                                        ; implicit-def: $vgpr34_vgpr35
	s_and_saveexec_b64 s[28:29], vcc
	s_xor_b64 s[28:29], exec, s[28:29]
	s_cbranch_execz .LBB84_35
; %bb.34:                               ;   in Loop: Header=BB84_15 Depth=2
	v_mov_b32_e32 v29, v67
	v_lshl_add_u64 v[28:29], v[28:29], 1, s[12:13]
	global_load_dwordx4 v[32:35], v[28:29], off
.LBB84_35:                              ;   in Loop: Header=BB84_15 Depth=2
	s_andn2_saveexec_b64 s[28:29], s[28:29]
	s_cbranch_execz .LBB84_37
; %bb.36:                               ;   in Loop: Header=BB84_15 Depth=2
	v_add_u32_e32 v25, s17, v88
	s_waitcnt vmcnt(0)
	ds_read_b128 v[32:35], v25 offset:1024
.LBB84_37:                              ;   in Loop: Header=BB84_15 Depth=2
	s_or_b64 exec, exec, s[28:29]
	v_add_u32_e32 v28, 0x200, v74
	v_cmp_lt_u32_e32 vcc, s10, v28
                                        ; implicit-def: $vgpr30_vgpr31
	s_and_saveexec_b64 s[28:29], vcc
	s_xor_b64 s[28:29], exec, s[28:29]
	s_cbranch_execz .LBB84_39
; %bb.38:                               ;   in Loop: Header=BB84_15 Depth=2
	v_mov_b32_e32 v29, v67
	v_lshl_add_u64 v[28:29], v[28:29], 1, s[12:13]
	global_load_dwordx4 v[28:31], v[28:29], off
.LBB84_39:                              ;   in Loop: Header=BB84_15 Depth=2
	s_andn2_saveexec_b64 s[28:29], s[28:29]
	s_cbranch_execz .LBB84_41
; %bb.40:                               ;   in Loop: Header=BB84_15 Depth=2
	v_add_u32_e32 v25, s41, v88
	v_add_u32_e32 v26, 0x400, v25
	;; [unrolled: 1-line block ×3, first 2 shown]
	s_waitcnt vmcnt(0)
	ds_read2_b32 v[28:29], v26 offset1:1
	ds_read2_b32 v[30:31], v25 offset1:1
.LBB84_41:                              ;   in Loop: Header=BB84_15 Depth=2
	s_or_b64 exec, exec, s[28:29]
	s_mov_b32 s27, s26
	v_cmp_gt_u32_e32 vcc, s8, v76
	v_mov_b32_e32 v59, 0
	v_mov_b64_e32 v[54:55], s[26:27]
	v_mov_b32_e32 v58, 0
	v_mov_b32_e32 v57, 0
	;; [unrolled: 1-line block ×3, first 2 shown]
	v_mov_b64_e32 v[52:53], s[26:27]
	v_mov_b64_e32 v[62:63], s[26:27]
	;; [unrolled: 1-line block ×9, first 2 shown]
	s_and_saveexec_b64 s[28:29], vcc
	s_cbranch_execz .LBB84_12
; %bb.42:                               ;   in Loop: Header=BB84_15 Depth=2
	v_cmp_lt_u32_e32 vcc, s10, v76
                                        ; implicit-def: $vgpr50_vgpr51
	s_and_saveexec_b64 s[30:31], vcc
	s_xor_b64 s[30:31], exec, s[30:31]
	s_cbranch_execz .LBB84_44
; %bb.43:                               ;   in Loop: Header=BB84_15 Depth=2
	v_mov_b32_e32 v77, v67
	v_lshl_add_u64 v[40:41], v[76:77], 1, s[12:13]
	global_load_dwordx4 v[48:51], v[40:41], off
.LBB84_44:                              ;   in Loop: Header=BB84_15 Depth=2
	s_andn2_saveexec_b64 s[30:31], s[30:31]
	s_cbranch_execz .LBB84_46
; %bb.45:                               ;   in Loop: Header=BB84_15 Depth=2
	s_waitcnt vmcnt(0)
	ds_read_b128 v[48:51], v88 offset:2048
.LBB84_46:                              ;   in Loop: Header=BB84_15 Depth=2
	s_or_b64 exec, exec, s[30:31]
	v_add_u32_e32 v40, 0x400, v66
	v_cmp_lt_u32_e32 vcc, s10, v40
                                        ; implicit-def: $vgpr42_vgpr43
	s_and_saveexec_b64 s[30:31], vcc
	s_xor_b64 s[30:31], exec, s[30:31]
	s_cbranch_execz .LBB84_48
; %bb.47:                               ;   in Loop: Header=BB84_15 Depth=2
	v_mov_b32_e32 v41, v67
	v_lshl_add_u64 v[40:41], v[40:41], 1, s[12:13]
	global_load_dwordx4 v[40:43], v[40:41], off
.LBB84_48:                              ;   in Loop: Header=BB84_15 Depth=2
	s_andn2_saveexec_b64 s[30:31], s[30:31]
	s_cbranch_execz .LBB84_50
; %bb.49:                               ;   in Loop: Header=BB84_15 Depth=2
	v_add_u32_e32 v25, s17, v88
	s_waitcnt vmcnt(0)
	ds_read_b128 v[40:43], v25 offset:2048
.LBB84_50:                              ;   in Loop: Header=BB84_15 Depth=2
	s_or_b64 exec, exec, s[30:31]
	v_add_u32_e32 v44, 0x400, v74
	v_cmp_lt_u32_e32 vcc, s10, v44
                                        ; implicit-def: $vgpr46_vgpr47
	s_and_saveexec_b64 s[30:31], vcc
	s_xor_b64 s[30:31], exec, s[30:31]
	s_cbranch_execz .LBB84_52
; %bb.51:                               ;   in Loop: Header=BB84_15 Depth=2
	v_mov_b32_e32 v45, v67
	v_lshl_add_u64 v[44:45], v[44:45], 1, s[12:13]
	global_load_dwordx4 v[44:47], v[44:45], off
.LBB84_52:                              ;   in Loop: Header=BB84_15 Depth=2
	s_andn2_saveexec_b64 s[30:31], s[30:31]
	s_cbranch_execz .LBB84_54
; %bb.53:                               ;   in Loop: Header=BB84_15 Depth=2
	v_add_u32_e32 v25, s41, v88
	v_add_u32_e32 v26, 0x800, v25
	;; [unrolled: 1-line block ×3, first 2 shown]
	s_waitcnt vmcnt(0)
	ds_read2_b32 v[44:45], v26 offset1:1
	ds_read2_b32 v[46:47], v25 offset1:1
.LBB84_54:                              ;   in Loop: Header=BB84_15 Depth=2
	s_or_b64 exec, exec, s[30:31]
	s_mov_b32 s27, s26
	v_cmp_gt_u32_e32 vcc, s8, v72
	v_mov_b32_e32 v59, 0
	v_mov_b64_e32 v[54:55], s[26:27]
	v_mov_b32_e32 v58, 0
	v_mov_b32_e32 v57, 0
	;; [unrolled: 1-line block ×3, first 2 shown]
	v_mov_b64_e32 v[52:53], s[26:27]
	v_mov_b64_e32 v[62:63], s[26:27]
	;; [unrolled: 1-line block ×3, first 2 shown]
	s_and_saveexec_b64 s[30:31], vcc
	s_cbranch_execz .LBB84_11
; %bb.55:                               ;   in Loop: Header=BB84_15 Depth=2
	v_cmp_lt_u32_e32 vcc, s10, v72
                                        ; implicit-def: $vgpr62_vgpr63
	s_and_saveexec_b64 s[34:35], vcc
	s_xor_b64 s[34:35], exec, s[34:35]
	s_cbranch_execz .LBB84_57
; %bb.56:                               ;   in Loop: Header=BB84_15 Depth=2
	v_mov_b32_e32 v73, v67
	v_lshl_add_u64 v[52:53], v[72:73], 1, s[12:13]
	global_load_dwordx4 v[60:63], v[52:53], off
.LBB84_57:                              ;   in Loop: Header=BB84_15 Depth=2
	s_andn2_saveexec_b64 s[34:35], s[34:35]
	s_cbranch_execz .LBB84_59
; %bb.58:                               ;   in Loop: Header=BB84_15 Depth=2
	s_waitcnt vmcnt(0)
	ds_read_b128 v[60:63], v88 offset:3072
.LBB84_59:                              ;   in Loop: Header=BB84_15 Depth=2
	s_or_b64 exec, exec, s[34:35]
	v_add_u32_e32 v66, 0x600, v66
	v_cmp_lt_u32_e32 vcc, s10, v66
                                        ; implicit-def: $vgpr54_vgpr55
	s_and_saveexec_b64 s[34:35], vcc
	s_xor_b64 s[34:35], exec, s[34:35]
	s_cbranch_execz .LBB84_61
; %bb.60:                               ;   in Loop: Header=BB84_15 Depth=2
	v_lshl_add_u64 v[52:53], v[66:67], 1, s[12:13]
	global_load_dwordx4 v[52:55], v[52:53], off
.LBB84_61:                              ;   in Loop: Header=BB84_15 Depth=2
	s_andn2_saveexec_b64 s[34:35], s[34:35]
	s_cbranch_execz .LBB84_63
; %bb.62:                               ;   in Loop: Header=BB84_15 Depth=2
	v_add_u32_e32 v25, s17, v88
	s_waitcnt vmcnt(0)
	ds_read_b128 v[52:55], v25 offset:3072
.LBB84_63:                              ;   in Loop: Header=BB84_15 Depth=2
	s_or_b64 exec, exec, s[34:35]
	v_add_u32_e32 v66, 0x600, v74
	v_cmp_lt_u32_e32 vcc, s10, v66
                                        ; implicit-def: $vgpr59
	s_and_saveexec_b64 s[34:35], vcc
	s_xor_b64 s[34:35], exec, s[34:35]
	s_cbranch_execz .LBB84_65
; %bb.64:                               ;   in Loop: Header=BB84_15 Depth=2
	v_lshl_add_u64 v[56:57], v[66:67], 1, s[12:13]
	global_load_dwordx4 v[56:59], v[56:57], off
.LBB84_65:                              ;   in Loop: Header=BB84_15 Depth=2
	s_andn2_saveexec_b64 s[34:35], s[34:35]
	s_cbranch_execz .LBB84_10
; %bb.66:                               ;   in Loop: Header=BB84_15 Depth=2
	v_add_u32_e32 v25, s41, v88
	v_add_u32_e32 v26, 0xc00, v25
	;; [unrolled: 1-line block ×3, first 2 shown]
	s_waitcnt vmcnt(0)
	ds_read2_b32 v[56:57], v26 offset1:1
	ds_read2_b32 v[58:59], v25 offset1:1
	s_branch .LBB84_10
.LBB84_67:                              ;   in Loop: Header=BB84_8 Depth=1
	v_cvt_i32_f32_e32 v0, v87
	v_cvt_i32_f32_e32 v1, v86
	v_cvt_i32_f32_e32 v2, v65
	v_cvt_f32_i32_dpp v0, v0 row_shr:8 row_mask:0xf bank_mask:0xf bound_ctrl:1
	v_cvt_f32_i32_dpp v1, v1 row_shr:8 row_mask:0xf bank_mask:0xf bound_ctrl:1
	v_cvt_f32_i32_dpp v2, v2 row_shr:8 row_mask:0xf bank_mask:0xf bound_ctrl:1
	v_add_f32_e32 v0, v87, v0
	v_add_f32_e32 v1, v86, v1
	v_add_f32_e32 v2, v65, v2
	v_cvt_i32_f32_e32 v3, v0
	v_cvt_i32_f32_e32 v4, v1
	v_cvt_i32_f32_e32 v5, v2
	v_cvt_f32_i32_dpp v3, v3 row_shr:4 row_mask:0xf bank_mask:0xf bound_ctrl:1
	v_cvt_f32_i32_dpp v4, v4 row_shr:4 row_mask:0xf bank_mask:0xf bound_ctrl:1
	v_cvt_f32_i32_dpp v5, v5 row_shr:4 row_mask:0xf bank_mask:0xf bound_ctrl:1
	v_add_f32_e32 v0, v0, v3
	v_add_f32_e32 v1, v1, v4
	v_add_f32_e32 v2, v2, v5
	;; [unrolled: 9-line block ×4, first 2 shown]
	v_cvt_i32_f32_e32 v3, v0
	v_cvt_i32_f32_e32 v4, v1
	;; [unrolled: 1-line block ×3, first 2 shown]
	v_cvt_f32_i32_dpp v3, v3 row_bcast:15 row_mask:0xf bank_mask:0xf bound_ctrl:1
	v_cvt_f32_i32_dpp v4, v4 row_bcast:15 row_mask:0xf bank_mask:0xf bound_ctrl:1
	;; [unrolled: 1-line block ×3, first 2 shown]
	v_add_f32_e32 v0, v0, v3
	v_add_f32_e32 v1, v1, v4
	;; [unrolled: 1-line block ×3, first 2 shown]
	v_cvt_i32_f32_e32 v3, v0
	v_cvt_i32_f32_e32 v4, v1
	s_waitcnt vmcnt(0)
	v_cvt_i32_f32_e32 v6, v2
	v_mov_b32_dpp v5, v3 row_bcast:31 row_mask:0xf bank_mask:0xf bound_ctrl:1
	v_mov_b32_dpp v4, v4 row_bcast:31 row_mask:0xf bank_mask:0xf bound_ctrl:1
	v_mov_b32_dpp v3, v6 row_bcast:31 row_mask:0xf bank_mask:0xf bound_ctrl:1
	s_and_saveexec_b64 s[4:5], s[0:1]
	s_cbranch_execz .LBB84_7
; %bb.68:                               ;   in Loop: Header=BB84_8 Depth=1
	s_andn2_b64 vcc, exec, s[24:25]
	v_mov_b32_e32 v8, 0
	v_mov_b32_e32 v7, 0
	;; [unrolled: 1-line block ×3, first 2 shown]
	s_cbranch_vccnz .LBB84_70
; %bb.69:                               ;   in Loop: Header=BB84_8 Depth=1
	v_mul_hi_u32 v6, v64, v82
	v_mul_lo_u32 v6, v6, s16
	v_sub_u32_e32 v6, v64, v6
	v_subrev_u32_e32 v7, s16, v6
	v_cmp_le_u32_e32 vcc, s16, v6
	s_nop 1
	v_cndmask_b32_e32 v6, v6, v7, vcc
	v_subrev_u32_e32 v7, s16, v6
	v_cmp_le_u32_e32 vcc, s16, v6
	s_nop 1
	v_cndmask_b32_e32 v66, v6, v7, vcc
	v_lshl_add_u64 v[10:11], v[66:67], 1, s[14:15]
	v_add_u32_e32 v6, s39, v66
	v_mov_b32_e32 v7, v67
	v_add_u32_e32 v66, s40, v66
	v_lshl_add_u64 v[12:13], v[6:7], 1, s[14:15]
	v_lshl_add_u64 v[14:15], v[66:67], 1, s[14:15]
	global_load_ushort v8, v[10:11], off
	global_load_ushort v7, v[12:13], off
	;; [unrolled: 1-line block ×3, first 2 shown]
.LBB84_70:                              ;   in Loop: Header=BB84_8 Depth=1
	v_cmp_ne_u32_e32 vcc, 0, v80
	s_and_b64 exec, exec, vcc
	s_cbranch_execz .LBB84_7
; %bb.71:                               ;   in Loop: Header=BB84_8 Depth=1
	v_cvt_f32_i32_e32 v5, v5
	s_waitcnt vmcnt(2)
	v_cvt_f32_f16_e32 v8, v8
	v_cvt_f32_i32_e32 v3, v3
	v_cvt_f32_i32_e32 v4, v4
	v_add_f32_e32 v0, v0, v5
	v_add_f32_e32 v0, v0, v8
	;; [unrolled: 1-line block ×3, first 2 shown]
	v_cvt_f16_f32_e32 v3, v0
	v_mov_b32_e32 v65, v67
	v_add_f32_e32 v4, v1, v4
	s_waitcnt vmcnt(1)
	v_cvt_f32_f16_e32 v5, v7
	s_waitcnt lgkmcnt(0)
	v_lshl_add_u64 v[0:1], v[64:65], 1, s[20:21]
	global_store_short v[0:1], v3, off
	s_waitcnt vmcnt(1)
	v_cvt_f32_f16_e32 v3, v6
	v_add_f32_e32 v0, v4, v5
	v_cvt_f16_f32_e32 v4, v0
	v_add_u32_e32 v66, s11, v64
	v_add_f32_e32 v2, v2, v3
	v_cvt_f16_f32_e32 v2, v2
	v_lshl_add_u64 v[0:1], v[66:67], 1, s[20:21]
	v_add_u32_e32 v66, s11, v66
	global_store_short v[0:1], v4, off
	v_lshl_add_u64 v[0:1], v[66:67], 1, s[20:21]
	global_store_short v[0:1], v2, off
	s_branch .LBB84_7
.LBB84_72:
	s_endpgm
	.section	.rodata,"a",@progbits
	.p2align	6, 0x0
	.amdhsa_kernel _Z12wvSplitK_hf_I6__halfLi64ELi1ELi16ELi8ELi4ELi3EEviiiiiiPKT_S3_S3_PS1_ii
		.amdhsa_group_segment_fixed_size 65536
		.amdhsa_private_segment_fixed_size 0
		.amdhsa_kernarg_size 64
		.amdhsa_user_sgpr_count 2
		.amdhsa_user_sgpr_dispatch_ptr 0
		.amdhsa_user_sgpr_queue_ptr 0
		.amdhsa_user_sgpr_kernarg_segment_ptr 1
		.amdhsa_user_sgpr_dispatch_id 0
		.amdhsa_user_sgpr_kernarg_preload_length 0
		.amdhsa_user_sgpr_kernarg_preload_offset 0
		.amdhsa_user_sgpr_private_segment_size 0
		.amdhsa_uses_dynamic_stack 0
		.amdhsa_enable_private_segment 0
		.amdhsa_system_sgpr_workgroup_id_x 1
		.amdhsa_system_sgpr_workgroup_id_y 0
		.amdhsa_system_sgpr_workgroup_id_z 0
		.amdhsa_system_sgpr_workgroup_info 0
		.amdhsa_system_vgpr_workitem_id 1
		.amdhsa_next_free_vgpr 89
		.amdhsa_next_free_sgpr 43
		.amdhsa_accum_offset 92
		.amdhsa_reserve_vcc 1
		.amdhsa_float_round_mode_32 0
		.amdhsa_float_round_mode_16_64 0
		.amdhsa_float_denorm_mode_32 3
		.amdhsa_float_denorm_mode_16_64 3
		.amdhsa_dx10_clamp 1
		.amdhsa_ieee_mode 1
		.amdhsa_fp16_overflow 0
		.amdhsa_tg_split 0
		.amdhsa_exception_fp_ieee_invalid_op 0
		.amdhsa_exception_fp_denorm_src 0
		.amdhsa_exception_fp_ieee_div_zero 0
		.amdhsa_exception_fp_ieee_overflow 0
		.amdhsa_exception_fp_ieee_underflow 0
		.amdhsa_exception_fp_ieee_inexact 0
		.amdhsa_exception_int_div_zero 0
	.end_amdhsa_kernel
	.section	.text._Z12wvSplitK_hf_I6__halfLi64ELi1ELi16ELi8ELi4ELi3EEviiiiiiPKT_S3_S3_PS1_ii,"axG",@progbits,_Z12wvSplitK_hf_I6__halfLi64ELi1ELi16ELi8ELi4ELi3EEviiiiiiPKT_S3_S3_PS1_ii,comdat
.Lfunc_end84:
	.size	_Z12wvSplitK_hf_I6__halfLi64ELi1ELi16ELi8ELi4ELi3EEviiiiiiPKT_S3_S3_PS1_ii, .Lfunc_end84-_Z12wvSplitK_hf_I6__halfLi64ELi1ELi16ELi8ELi4ELi3EEviiiiiiPKT_S3_S3_PS1_ii
                                        ; -- End function
	.section	.AMDGPU.csdata,"",@progbits
; Kernel info:
; codeLenInByte = 3116
; NumSgprs: 49
; NumVgprs: 89
; NumAgprs: 0
; TotalNumVgprs: 89
; ScratchSize: 0
; MemoryBound: 1
; FloatMode: 240
; IeeeMode: 1
; LDSByteSize: 65536 bytes/workgroup (compile time only)
; SGPRBlocks: 6
; VGPRBlocks: 11
; NumSGPRsForWavesPerEU: 49
; NumVGPRsForWavesPerEU: 89
; AccumOffset: 92
; Occupancy: 4
; WaveLimiterHint : 0
; COMPUTE_PGM_RSRC2:SCRATCH_EN: 0
; COMPUTE_PGM_RSRC2:USER_SGPR: 2
; COMPUTE_PGM_RSRC2:TRAP_HANDLER: 0
; COMPUTE_PGM_RSRC2:TGID_X_EN: 1
; COMPUTE_PGM_RSRC2:TGID_Y_EN: 0
; COMPUTE_PGM_RSRC2:TGID_Z_EN: 0
; COMPUTE_PGM_RSRC2:TIDIG_COMP_CNT: 1
; COMPUTE_PGM_RSRC3_GFX90A:ACCUM_OFFSET: 22
; COMPUTE_PGM_RSRC3_GFX90A:TG_SPLIT: 0
	.section	.text._Z16wvSplitK_hf_big_I6__halfLi64ELi1ELi16ELi8ELi4ELi3EEviiiiiiPKT_S3_S3_PS1_ii,"axG",@progbits,_Z16wvSplitK_hf_big_I6__halfLi64ELi1ELi16ELi8ELi4ELi3EEviiiiiiPKT_S3_S3_PS1_ii,comdat
	.protected	_Z16wvSplitK_hf_big_I6__halfLi64ELi1ELi16ELi8ELi4ELi3EEviiiiiiPKT_S3_S3_PS1_ii ; -- Begin function _Z16wvSplitK_hf_big_I6__halfLi64ELi1ELi16ELi8ELi4ELi3EEviiiiiiPKT_S3_S3_PS1_ii
	.globl	_Z16wvSplitK_hf_big_I6__halfLi64ELi1ELi16ELi8ELi4ELi3EEviiiiiiPKT_S3_S3_PS1_ii
	.p2align	8
	.type	_Z16wvSplitK_hf_big_I6__halfLi64ELi1ELi16ELi8ELi4ELi3EEviiiiiiPKT_S3_S3_PS1_ii,@function
_Z16wvSplitK_hf_big_I6__halfLi64ELi1ELi16ELi8ELi4ELi3EEviiiiiiPKT_S3_S3_PS1_ii: ; @_Z16wvSplitK_hf_big_I6__halfLi64ELi1ELi16ELi8ELi4ELi3EEviiiiiiPKT_S3_S3_PS1_ii
; %bb.0:
	s_load_dwordx2 s[4:5], s[0:1], 0x38
	v_bfe_u32 v1, v0, 10, 10
	s_waitcnt lgkmcnt(0)
	v_cmp_gt_u32_e32 vcc, s4, v1
	s_and_saveexec_b64 s[6:7], vcc
	s_cbranch_execz .LBB85_38
; %bb.1:
	s_load_dwordx4 s[20:23], s[0:1], 0x0
	s_mul_i32 s2, s2, s4
	v_add_u32_e32 v64, s2, v1
	v_add_u32_e32 v2, 1, v64
	v_mov_b32_e32 v70, 1
	s_waitcnt lgkmcnt(0)
	v_cmp_gt_u32_e32 vcc, s23, v64
	v_cmp_le_u32_e64 s[2:3], s23, v2
	s_and_b64 s[6:7], vcc, s[2:3]
	s_and_saveexec_b64 s[2:3], s[6:7]
; %bb.2:
	v_subrev_u32_e32 v2, s23, v64
	v_cmp_eq_u32_e32 vcc, -1, v2
	s_add_i32 s6, s23, -1
	v_mov_b32_e32 v64, s6
	v_cndmask_b32_e64 v70, 0, 1, vcc
; %bb.3:
	s_or_b64 exec, exec, s[2:3]
	s_abs_i32 s2, s4
	v_cvt_f32_u32_e32 v2, s2
	s_sub_i32 s7, 0, s2
	s_abs_i32 s6, s23
	s_ashr_i32 s3, s23, 31
	v_rcp_iflag_f32_e32 v2, v2
	s_nop 0
	v_mul_f32_e32 v2, 0x4f7ffffe, v2
	v_cvt_u32_f32_e32 v2, v2
	s_nop 0
	v_readfirstlane_b32 s8, v2
	s_mul_i32 s7, s7, s8
	s_mul_hi_u32 s7, s8, s7
	s_add_i32 s8, s8, s7
	s_mul_hi_u32 s7, s6, s8
	s_mul_i32 s7, s7, s2
	s_sub_i32 s6, s6, s7
	s_sub_i32 s7, s6, s2
	s_cmp_ge_u32 s6, s2
	s_cselect_b32 s6, s7, s6
	s_sub_i32 s7, s6, s2
	s_cmp_ge_u32 s6, s2
	s_cselect_b32 s2, s7, s6
	s_xor_b32 s2, s2, s3
	s_sub_i32 s2, s2, s3
	s_add_i32 s3, s4, s23
	s_sub_i32 s3, s3, s2
	s_cmp_eq_u32 s2, 0
	s_cselect_b32 s33, s23, s3
	v_cmp_gt_u32_e32 vcc, s33, v64
	s_and_b64 exec, exec, vcc
	s_cbranch_execz .LBB85_38
; %bb.4:
	s_load_dwordx8 s[12:19], s[0:1], 0x10
	s_min_u32 s38, s22, 0x2800
	s_cmp_lg_u32 s20, 0
	s_cselect_b64 s[2:3], -1, 0
	s_cmp_lg_u32 s22, 0
	s_cselect_b64 s[6:7], -1, 0
	s_lshl_b32 s39, s4, 9
	s_add_i32 s40, s20, -8
	s_add_i32 s41, s23, -1
	s_waitcnt lgkmcnt(0)
	s_cmp_lg_u64 s[18:19], 0
	s_cselect_b64 s[26:27], -1, 0
	s_abs_i32 s8, s13
	v_cvt_f32_u32_e32 v2, s12
	v_cvt_f32_u32_e32 v3, s8
	s_mul_i32 s42, s5, s4
	s_sub_i32 s5, s42, s23
	v_rcp_iflag_f32_e32 v2, v2
	v_rcp_iflag_f32_e32 v3, v3
	s_add_i32 s13, s5, 2
	s_sub_i32 s5, 0, s12
	v_mul_f32_e32 v2, 0x4f7ffffe, v2
	v_mul_f32_e32 v3, 0x4f7ffffe, v3
	v_cvt_u32_f32_e32 v2, v2
	v_cvt_u32_f32_e32 v3, v3
	s_load_dwordx2 s[10:11], s[0:1], 0x30
	v_and_b32_e32 v0, 0x3ff, v0
	v_mul_lo_u32 v4, s5, v2
	s_sub_i32 s5, 0, s8
	v_readfirstlane_b32 s9, v3
	s_mul_i32 s5, s5, s9
	s_mul_hi_u32 s5, s9, s5
	s_add_i32 s9, s9, s5
	s_sub_i32 s5, 1, s8
	s_cmp_lt_u32 s8, 2
	s_cselect_b32 s5, s5, 1
	s_sub_i32 s28, s5, s8
	s_cmp_ge_u32 s5, s8
	s_cselect_b32 s43, s28, s5
	s_lshr_b32 s5, s9, 31
	s_mul_i32 s5, s5, s8
	s_sub_i32 s5, 2, s5
	s_sub_i32 s9, s5, s8
	s_cmp_ge_u32 s5, s8
	s_cselect_b32 s5, s9, s5
	v_lshlrev_b32_e32 v71, 3, v0
	v_cmp_eq_u32_e64 s[0:1], 63, v0
	s_sub_i32 s9, s5, s8
	v_lshlrev_b32_e32 v0, 4, v0
	s_cmp_ge_u32 s5, s8
	v_lshl_add_u32 v73, v1, 10, v0
	v_cndmask_b32_e64 v0, 0, 1, s[2:3]
	v_mul_hi_u32 v4, v2, v4
	s_cselect_b32 s44, s9, s5
	v_lshl_add_u32 v74, v1, 9, v71
	v_cmp_ne_u32_e64 s[2:3], 1, v0
	v_cndmask_b32_e64 v0, 0, 1, s[6:7]
	s_mov_b64 s[24:25], 0
	v_add_u32_e32 v72, v2, v4
	v_mov_b32_e32 v67, 0
	s_mul_i32 s43, s43, s12
	s_mul_i32 s44, s44, s12
	s_lshl_b32 s45, s38, 2
	s_lshl_b32 s46, s4, 10
	;; [unrolled: 1-line block ×3, first 2 shown]
	v_lshl_add_u32 v75, s22, 1, v74
	v_add_u32_e32 v76, s22, v74
	v_cmp_ne_u32_e64 s[4:5], 1, v0
	s_branch .LBB85_7
.LBB85_5:                               ;   in Loop: Header=BB85_7 Depth=1
	s_or_b64 exec, exec, s[6:7]
.LBB85_6:                               ;   in Loop: Header=BB85_7 Depth=1
	s_or_b64 exec, exec, s[8:9]
	v_cmp_le_u32_e32 vcc, s33, v0
	s_or_b64 s[24:25], vcc, s[24:25]
	v_mov_b32_e32 v64, v0
	s_andn2_b64 exec, exec, s[24:25]
	s_cbranch_execz .LBB85_38
.LBB85_7:                               ; =>This Loop Header: Depth=1
                                        ;     Child Loop BB85_14 Depth 2
                                        ;       Child Loop BB85_19 Depth 3
	s_mov_b32 s48, 0
	s_and_b64 vcc, exec, s[2:3]
	v_mov_b32_e32 v78, v67
	v_mov_b32_e32 v77, v67
	;; [unrolled: 1-line block ×3, first 2 shown]
	s_cbranch_vccnz .LBB85_28
; %bb.8:                                ;   in Loop: Header=BB85_7 Depth=1
	v_min_u32_e32 v0, s41, v64
	v_mul_lo_u32 v66, v0, s21
	v_cmp_gt_u32_e64 s[6:7], s23, v64
	v_lshl_add_u64 v[68:69], v[66:67], 1, s[14:15]
	v_mov_b32_e32 v65, 0
	v_mov_b32_e32 v77, 0
	v_mov_b32_e32 v78, 0
	s_mov_b32 s49, 0
	s_branch .LBB85_14
.LBB85_9:                               ;   in Loop: Header=BB85_14 Depth=2
	s_or_b64 exec, exec, s[36:37]
.LBB85_10:                              ;   in Loop: Header=BB85_14 Depth=2
	s_or_b64 exec, exec, s[34:35]
.LBB85_11:                              ;   in Loop: Header=BB85_14 Depth=2
	s_or_b64 exec, exec, s[30:31]
.LBB85_12:                              ;   in Loop: Header=BB85_14 Depth=2
	s_or_b64 exec, exec, s[28:29]
	s_waitcnt vmcnt(3) lgkmcnt(0)
	;;#ASMSTART
	v_dot2c_f32_f16 v78, v60, v28
	;;#ASMEND
	;;#ASMSTART
	v_dot2c_f32_f16 v77, v52, v28
	;;#ASMEND
	;;#ASMSTART
	v_dot2c_f32_f16 v65, v44, v28
	;;#ASMEND
	s_nop 0
	;;#ASMSTART
	v_dot2c_f32_f16 v78, v61, v29
	;;#ASMEND
	;;#ASMSTART
	v_dot2c_f32_f16 v77, v53, v29
	;;#ASMEND
	;;#ASMSTART
	v_dot2c_f32_f16 v65, v45, v29
	;;#ASMEND
	s_nop 0
	;;#ASMSTART
	v_dot2c_f32_f16 v78, v62, v30
	;;#ASMEND
	;;#ASMSTART
	v_dot2c_f32_f16 v77, v54, v30
	;;#ASMEND
	;;#ASMSTART
	v_dot2c_f32_f16 v65, v46, v30
	;;#ASMEND
	s_nop 0
	;;#ASMSTART
	v_dot2c_f32_f16 v78, v63, v31
	;;#ASMEND
	;;#ASMSTART
	v_dot2c_f32_f16 v77, v55, v31
	;;#ASMEND
	;;#ASMSTART
	v_dot2c_f32_f16 v65, v47, v31
	;;#ASMEND
	s_waitcnt vmcnt(2)
	;;#ASMSTART
	v_dot2c_f32_f16 v78, v56, v12
	;;#ASMEND
	;;#ASMSTART
	v_dot2c_f32_f16 v77, v48, v12
	;;#ASMEND
	;;#ASMSTART
	v_dot2c_f32_f16 v65, v36, v12
	;;#ASMEND
	s_nop 0
	;;#ASMSTART
	v_dot2c_f32_f16 v78, v57, v13
	;;#ASMEND
	;;#ASMSTART
	v_dot2c_f32_f16 v77, v49, v13
	;;#ASMEND
	;;#ASMSTART
	v_dot2c_f32_f16 v65, v37, v13
	;;#ASMEND
	s_nop 0
	;;#ASMSTART
	v_dot2c_f32_f16 v78, v58, v14
	;;#ASMEND
	;;#ASMSTART
	v_dot2c_f32_f16 v77, v50, v14
	;;#ASMEND
	;;#ASMSTART
	v_dot2c_f32_f16 v65, v38, v14
	;;#ASMEND
	s_nop 0
	;;#ASMSTART
	v_dot2c_f32_f16 v78, v59, v15
	;;#ASMEND
	;;#ASMSTART
	v_dot2c_f32_f16 v77, v51, v15
	;;#ASMEND
	;;#ASMSTART
	v_dot2c_f32_f16 v65, v39, v15
	;;#ASMEND
	s_waitcnt vmcnt(1)
	;; [unrolled: 40-line block ×3, first 2 shown]
	;;#ASMSTART
	v_dot2c_f32_f16 v78, v20, v0
	;;#ASMEND
	;;#ASMSTART
	v_dot2c_f32_f16 v77, v16, v0
	;;#ASMEND
	;;#ASMSTART
	v_dot2c_f32_f16 v65, v8, v0
	;;#ASMEND
	s_nop 0
	;;#ASMSTART
	v_dot2c_f32_f16 v78, v21, v1
	;;#ASMEND
	;;#ASMSTART
	v_dot2c_f32_f16 v77, v17, v1
	;;#ASMEND
	;;#ASMSTART
	v_dot2c_f32_f16 v65, v9, v1
	;;#ASMEND
	s_nop 0
	;;#ASMSTART
	v_dot2c_f32_f16 v78, v22, v2
	;;#ASMEND
	;;#ASMSTART
	v_dot2c_f32_f16 v77, v18, v2
	;;#ASMEND
	;;#ASMSTART
	v_dot2c_f32_f16 v65, v10, v2
	;;#ASMEND
	s_nop 0
	;;#ASMSTART
	v_dot2c_f32_f16 v78, v23, v3
	;;#ASMEND
	;;#ASMSTART
	v_dot2c_f32_f16 v77, v19, v3
	;;#ASMEND
	;; [unrolled: 3-line block ×3, first 2 shown]
.LBB85_13:                              ;   in Loop: Header=BB85_14 Depth=2
	s_or_b64 exec, exec, s[8:9]
	s_addk_i32 s49, 0x800
	s_cmp_ge_u32 s49, s20
	s_cbranch_scc1 .LBB85_28
.LBB85_14:                              ;   Parent Loop BB85_7 Depth=1
                                        ; =>  This Loop Header: Depth=2
                                        ;       Child Loop BB85_19 Depth 3
	s_cmp_eq_u32 s49, 0
	s_cselect_b64 s[8:9], -1, 0
	s_add_i32 s28, s48, s38
	s_cmp_eq_u32 s49, s28
	s_cselect_b64 s[30:31], -1, 0
	s_or_b64 s[30:31], s[8:9], s[30:31]
	s_andn2_b64 vcc, exec, s[30:31]
	s_cbranch_vccz .LBB85_16
; %bb.15:                               ;   in Loop: Header=BB85_14 Depth=2
	s_and_saveexec_b64 s[8:9], s[6:7]
	s_cbranch_execz .LBB85_13
	s_branch .LBB85_23
.LBB85_16:                              ;   in Loop: Header=BB85_14 Depth=2
	s_and_b64 s[8:9], s[8:9], exec
	s_cselect_b32 s48, s48, s28
	s_and_b64 vcc, exec, s[4:5]
	s_waitcnt lgkmcnt(0)
	s_barrier
	s_cbranch_vccnz .LBB85_22
; %bb.17:                               ;   in Loop: Header=BB85_14 Depth=2
	v_add_u32_e32 v0, s48, v75
	v_add_u32_e32 v1, s48, v76
	;; [unrolled: 1-line block ×3, first 2 shown]
	s_mov_b32 s34, 0
	s_mov_b64 s[28:29], 0
	v_mov_b32_e32 v3, v73
                                        ; implicit-def: $sgpr30_sgpr31
	s_branch .LBB85_19
.LBB85_18:                              ;   in Loop: Header=BB85_19 Depth=3
	s_or_b64 exec, exec, s[8:9]
	s_and_b64 s[8:9], exec, s[30:31]
	s_or_b64 s[28:29], s[8:9], s[28:29]
	s_andn2_b64 exec, exec, s[28:29]
	s_cbranch_execz .LBB85_21
.LBB85_19:                              ;   Parent Loop BB85_7 Depth=1
                                        ;     Parent Loop BB85_14 Depth=2
                                        ; =>    This Inner Loop Header: Depth=3
	v_add_u32_e32 v4, s34, v74
	v_add_u32_e32 v66, s34, v2
	v_cmp_gt_u32_e32 vcc, s22, v66
	v_cmp_gt_u32_e64 s[8:9], s38, v4
	s_and_b64 s[36:37], s[8:9], vcc
	s_or_b64 s[30:31], s[30:31], exec
	s_and_saveexec_b64 s[8:9], s[36:37]
	s_cbranch_execz .LBB85_18
; %bb.20:                               ;   in Loop: Header=BB85_19 Depth=3
	v_lshl_add_u64 v[12:13], v[66:67], 1, s[16:17]
	v_add_u32_e32 v66, s34, v1
	v_lshl_add_u64 v[14:15], v[66:67], 1, s[16:17]
	v_add_u32_e32 v66, s34, v0
	global_load_dwordx4 v[4:7], v[12:13], off
	global_load_dwordx4 v[8:11], v[14:15], off
	v_lshl_add_u64 v[12:13], v[66:67], 1, s[16:17]
	global_load_dwordx4 v[12:15], v[12:13], off
	s_add_i32 s34, s34, s39
	s_cmp_ge_u32 s34, s38
	s_cselect_b64 s[36:37], -1, 0
	s_andn2_b64 s[30:31], s[30:31], exec
	s_and_b64 s[36:37], s[36:37], exec
	v_add_u32_e32 v16, s47, v3
	v_add_u32_e32 v17, s45, v3
	s_or_b64 s[30:31], s[30:31], s[36:37]
	s_waitcnt vmcnt(2)
	ds_write_b128 v3, v[4:7]
	v_add_u32_e32 v3, s46, v3
	s_waitcnt vmcnt(1)
	ds_write2_b64 v16, v[8:9], v[10:11] offset1:1
	s_waitcnt vmcnt(0)
	ds_write2_b32 v17, v12, v13 offset1:1
	ds_write2_b32 v17, v14, v15 offset0:2 offset1:3
	s_branch .LBB85_18
.LBB85_21:                              ;   in Loop: Header=BB85_14 Depth=2
	s_or_b64 exec, exec, s[28:29]
.LBB85_22:                              ;   in Loop: Header=BB85_14 Depth=2
	s_waitcnt lgkmcnt(0)
	s_barrier
	s_and_saveexec_b64 s[8:9], s[6:7]
	s_cbranch_execz .LBB85_13
.LBB85_23:                              ;   in Loop: Header=BB85_14 Depth=2
	v_add_u32_e32 v81, s49, v71
	v_min_u32_e32 v66, s40, v81
	v_add_u32_e32 v83, 0x200, v81
	v_lshl_add_u64 v[0:1], v[66:67], 1, v[68:69]
	v_min_u32_e32 v66, s40, v83
	v_add_u32_e32 v80, 0x400, v81
	v_lshl_add_u64 v[2:3], v[66:67], 1, v[68:69]
	v_min_u32_e32 v66, s40, v80
	v_add_u32_e32 v79, 0x600, v81
	s_waitcnt vmcnt(2)
	v_lshl_add_u64 v[8:9], v[66:67], 1, v[68:69]
	v_min_u32_e32 v66, s40, v79
	global_load_dwordx4 v[28:31], v[0:1], off nt
	global_load_dwordx4 v[12:15], v[2:3], off nt
	v_lshl_add_u64 v[10:11], v[66:67], 1, v[68:69]
	global_load_dwordx4 v[4:7], v[8:9], off nt
	global_load_dwordx4 v[0:3], v[10:11], off nt
	v_cmp_gt_u32_e32 vcc, s20, v81
	v_mov_b32_e32 v63, 0
	v_mov_b32_e32 v60, 0
	;; [unrolled: 1-line block ×48, first 2 shown]
	s_and_saveexec_b64 s[28:29], vcc
	s_cbranch_execz .LBB85_12
; %bb.24:                               ;   in Loop: Header=BB85_14 Depth=2
	v_subrev_u32_e32 v8, s48, v81
	v_lshlrev_b32_e32 v82, 1, v8
	v_add_u32_e32 v81, s47, v82
	v_add_u32_e32 v66, s47, v81
	ds_read_b128 v[60:63], v82
	ds_read_b128 v[52:55], v81
	;; [unrolled: 1-line block ×3, first 2 shown]
	v_cmp_gt_u32_e32 vcc, s20, v83
	v_mov_b32_e32 v11, 0
	v_mov_b32_e32 v10, 0
	;; [unrolled: 1-line block ×36, first 2 shown]
	s_and_saveexec_b64 s[30:31], vcc
	s_cbranch_execz .LBB85_11
; %bb.25:                               ;   in Loop: Header=BB85_14 Depth=2
	ds_read_b128 v[56:59], v82 offset:1024
	ds_read_b128 v[48:51], v81 offset:1024
	;; [unrolled: 1-line block ×3, first 2 shown]
	v_cmp_gt_u32_e32 vcc, s20, v80
	v_mov_b32_e32 v11, 0
	v_mov_b32_e32 v10, 0
	;; [unrolled: 1-line block ×24, first 2 shown]
	s_and_saveexec_b64 s[34:35], vcc
	s_cbranch_execz .LBB85_10
; %bb.26:                               ;   in Loop: Header=BB85_14 Depth=2
	ds_read_b128 v[40:43], v82 offset:2048
	ds_read_b128 v[32:35], v81 offset:2048
	;; [unrolled: 1-line block ×3, first 2 shown]
	v_cmp_gt_u32_e32 vcc, s20, v79
	v_mov_b32_e32 v11, 0
	v_mov_b32_e32 v10, 0
	;; [unrolled: 1-line block ×12, first 2 shown]
	s_and_saveexec_b64 s[36:37], vcc
	s_cbranch_execz .LBB85_9
; %bb.27:                               ;   in Loop: Header=BB85_14 Depth=2
	ds_read_b128 v[20:23], v82 offset:3072
	ds_read_b128 v[16:19], v81 offset:3072
	ds_read_b128 v[8:11], v66 offset:3072
	s_branch .LBB85_9
.LBB85_28:                              ;   in Loop: Header=BB85_7 Depth=1
	v_cmp_le_u32_e32 vcc, s23, v64
                                        ; implicit-def: $vgpr0
	s_and_saveexec_b64 s[6:7], vcc
	s_xor_b64 s[6:7], exec, s[6:7]
; %bb.29:                               ;   in Loop: Header=BB85_7 Depth=1
	v_add_u32_e32 v0, s42, v64
                                        ; implicit-def: $vgpr64
                                        ; implicit-def: $vgpr78
                                        ; implicit-def: $vgpr77
                                        ; implicit-def: $vgpr65
; %bb.30:                               ;   in Loop: Header=BB85_7 Depth=1
	s_andn2_saveexec_b64 s[8:9], s[6:7]
	s_cbranch_execz .LBB85_6
; %bb.31:                               ;   in Loop: Header=BB85_7 Depth=1
	v_cvt_i32_f32_e32 v0, v78
	v_cvt_i32_f32_e32 v1, v77
	v_cvt_i32_f32_e32 v2, v65
	v_cvt_f32_i32_dpp v0, v0 row_shr:8 row_mask:0xf bank_mask:0xf bound_ctrl:1
	v_cvt_f32_i32_dpp v1, v1 row_shr:8 row_mask:0xf bank_mask:0xf bound_ctrl:1
	v_cvt_f32_i32_dpp v2, v2 row_shr:8 row_mask:0xf bank_mask:0xf bound_ctrl:1
	v_add_f32_e32 v0, v78, v0
	v_add_f32_e32 v1, v77, v1
	v_add_f32_e32 v2, v65, v2
	v_cvt_i32_f32_e32 v3, v0
	v_cvt_i32_f32_e32 v4, v1
	v_cvt_i32_f32_e32 v5, v2
	v_cvt_f32_i32_dpp v3, v3 row_shr:4 row_mask:0xf bank_mask:0xf bound_ctrl:1
	v_cvt_f32_i32_dpp v4, v4 row_shr:4 row_mask:0xf bank_mask:0xf bound_ctrl:1
	v_cvt_f32_i32_dpp v5, v5 row_shr:4 row_mask:0xf bank_mask:0xf bound_ctrl:1
	v_add_f32_e32 v0, v0, v3
	v_add_f32_e32 v1, v1, v4
	v_add_f32_e32 v2, v2, v5
	;; [unrolled: 9-line block ×4, first 2 shown]
	v_cvt_i32_f32_e32 v3, v0
	v_cvt_i32_f32_e32 v4, v1
	;; [unrolled: 1-line block ×3, first 2 shown]
	v_cvt_f32_i32_dpp v3, v3 row_bcast:15 row_mask:0xf bank_mask:0xf bound_ctrl:1
	v_cvt_f32_i32_dpp v4, v4 row_bcast:15 row_mask:0xf bank_mask:0xf bound_ctrl:1
	;; [unrolled: 1-line block ×3, first 2 shown]
	v_add_f32_e32 v0, v0, v3
	v_add_f32_e32 v1, v1, v4
	;; [unrolled: 1-line block ×3, first 2 shown]
	v_cvt_i32_f32_e32 v3, v0
	v_cvt_i32_f32_e32 v4, v1
	s_waitcnt vmcnt(0)
	v_cvt_i32_f32_e32 v6, v2
	v_mov_b32_dpp v5, v3 row_bcast:31 row_mask:0xf bank_mask:0xf bound_ctrl:1
	v_mov_b32_dpp v4, v4 row_bcast:31 row_mask:0xf bank_mask:0xf bound_ctrl:1
	;; [unrolled: 1-line block ×3, first 2 shown]
	s_and_saveexec_b64 s[6:7], s[0:1]
	s_cbranch_execz .LBB85_36
; %bb.32:                               ;   in Loop: Header=BB85_7 Depth=1
	s_andn2_b64 vcc, exec, s[26:27]
	v_mov_b32_e32 v8, 0
	v_mov_b32_e32 v7, 0
	;; [unrolled: 1-line block ×3, first 2 shown]
	s_cbranch_vccnz .LBB85_34
; %bb.33:                               ;   in Loop: Header=BB85_7 Depth=1
	v_mul_hi_u32 v6, v64, v72
	v_mul_lo_u32 v6, v6, s12
	v_sub_u32_e32 v6, v64, v6
	v_subrev_u32_e32 v7, s12, v6
	v_cmp_le_u32_e32 vcc, s12, v6
	s_nop 1
	v_cndmask_b32_e32 v6, v6, v7, vcc
	v_subrev_u32_e32 v7, s12, v6
	v_cmp_le_u32_e32 vcc, s12, v6
	s_nop 1
	v_cndmask_b32_e32 v66, v6, v7, vcc
	v_lshl_add_u64 v[10:11], v[66:67], 1, s[18:19]
	v_add_u32_e32 v6, s43, v66
	v_mov_b32_e32 v7, v67
	v_add_u32_e32 v66, s44, v66
	v_lshl_add_u64 v[12:13], v[6:7], 1, s[18:19]
	v_lshl_add_u64 v[14:15], v[66:67], 1, s[18:19]
	global_load_ushort v8, v[10:11], off
	global_load_ushort v7, v[12:13], off
	;; [unrolled: 1-line block ×3, first 2 shown]
.LBB85_34:                              ;   in Loop: Header=BB85_7 Depth=1
	v_cmp_ne_u32_e32 vcc, 0, v70
	s_and_b64 exec, exec, vcc
	s_cbranch_execz .LBB85_36
; %bb.35:                               ;   in Loop: Header=BB85_7 Depth=1
	v_cvt_f32_i32_e32 v5, v5
	s_waitcnt vmcnt(2)
	v_cvt_f32_f16_e32 v8, v8
	v_cvt_f32_i32_e32 v3, v3
	v_cvt_f32_i32_e32 v4, v4
	v_add_f32_e32 v0, v0, v5
	v_add_f32_e32 v0, v0, v8
	;; [unrolled: 1-line block ×3, first 2 shown]
	v_cvt_f16_f32_e32 v3, v0
	v_mov_b32_e32 v65, v67
	v_add_f32_e32 v4, v1, v4
	s_waitcnt vmcnt(1)
	v_cvt_f32_f16_e32 v5, v7
	s_waitcnt lgkmcnt(0)
	v_lshl_add_u64 v[0:1], v[64:65], 1, s[10:11]
	global_store_short v[0:1], v3, off
	s_waitcnt vmcnt(1)
	v_cvt_f32_f16_e32 v3, v6
	v_add_f32_e32 v0, v4, v5
	v_cvt_f16_f32_e32 v4, v0
	v_add_u32_e32 v66, s23, v64
	v_add_f32_e32 v2, v2, v3
	v_cvt_f16_f32_e32 v2, v2
	v_lshl_add_u64 v[0:1], v[66:67], 1, s[10:11]
	v_add_u32_e32 v66, s23, v66
	global_store_short v[0:1], v4, off
	v_lshl_add_u64 v[0:1], v[66:67], 1, s[10:11]
	global_store_short v[0:1], v2, off
.LBB85_36:                              ;   in Loop: Header=BB85_7 Depth=1
	s_or_b64 exec, exec, s[6:7]
	v_add_u32_e32 v0, s42, v64
	v_add_u32_e32 v1, 1, v0
	v_cmp_gt_u32_e32 vcc, s23, v0
	v_cmp_le_u32_e64 s[6:7], s23, v1
	s_and_b64 s[28:29], vcc, s[6:7]
	s_and_saveexec_b64 s[6:7], s[28:29]
	s_cbranch_execz .LBB85_5
; %bb.37:                               ;   in Loop: Header=BB85_7 Depth=1
	v_add_u32_e32 v0, s13, v64
	v_cmp_eq_u32_e32 vcc, 1, v0
	v_mov_b32_e32 v0, s41
	s_nop 0
	v_cndmask_b32_e32 v70, 0, v70, vcc
	s_branch .LBB85_5
.LBB85_38:
	s_endpgm
	.section	.rodata,"a",@progbits
	.p2align	6, 0x0
	.amdhsa_kernel _Z16wvSplitK_hf_big_I6__halfLi64ELi1ELi16ELi8ELi4ELi3EEviiiiiiPKT_S3_S3_PS1_ii
		.amdhsa_group_segment_fixed_size 65536
		.amdhsa_private_segment_fixed_size 0
		.amdhsa_kernarg_size 64
		.amdhsa_user_sgpr_count 2
		.amdhsa_user_sgpr_dispatch_ptr 0
		.amdhsa_user_sgpr_queue_ptr 0
		.amdhsa_user_sgpr_kernarg_segment_ptr 1
		.amdhsa_user_sgpr_dispatch_id 0
		.amdhsa_user_sgpr_kernarg_preload_length 0
		.amdhsa_user_sgpr_kernarg_preload_offset 0
		.amdhsa_user_sgpr_private_segment_size 0
		.amdhsa_uses_dynamic_stack 0
		.amdhsa_enable_private_segment 0
		.amdhsa_system_sgpr_workgroup_id_x 1
		.amdhsa_system_sgpr_workgroup_id_y 0
		.amdhsa_system_sgpr_workgroup_id_z 0
		.amdhsa_system_sgpr_workgroup_info 0
		.amdhsa_system_vgpr_workitem_id 1
		.amdhsa_next_free_vgpr 84
		.amdhsa_next_free_sgpr 50
		.amdhsa_accum_offset 84
		.amdhsa_reserve_vcc 1
		.amdhsa_float_round_mode_32 0
		.amdhsa_float_round_mode_16_64 0
		.amdhsa_float_denorm_mode_32 3
		.amdhsa_float_denorm_mode_16_64 3
		.amdhsa_dx10_clamp 1
		.amdhsa_ieee_mode 1
		.amdhsa_fp16_overflow 0
		.amdhsa_tg_split 0
		.amdhsa_exception_fp_ieee_invalid_op 0
		.amdhsa_exception_fp_denorm_src 0
		.amdhsa_exception_fp_ieee_div_zero 0
		.amdhsa_exception_fp_ieee_overflow 0
		.amdhsa_exception_fp_ieee_underflow 0
		.amdhsa_exception_fp_ieee_inexact 0
		.amdhsa_exception_int_div_zero 0
	.end_amdhsa_kernel
	.section	.text._Z16wvSplitK_hf_big_I6__halfLi64ELi1ELi16ELi8ELi4ELi3EEviiiiiiPKT_S3_S3_PS1_ii,"axG",@progbits,_Z16wvSplitK_hf_big_I6__halfLi64ELi1ELi16ELi8ELi4ELi3EEviiiiiiPKT_S3_S3_PS1_ii,comdat
.Lfunc_end85:
	.size	_Z16wvSplitK_hf_big_I6__halfLi64ELi1ELi16ELi8ELi4ELi3EEviiiiiiPKT_S3_S3_PS1_ii, .Lfunc_end85-_Z16wvSplitK_hf_big_I6__halfLi64ELi1ELi16ELi8ELi4ELi3EEviiiiiiPKT_S3_S3_PS1_ii
                                        ; -- End function
	.section	.AMDGPU.csdata,"",@progbits
; Kernel info:
; codeLenInByte = 2884
; NumSgprs: 56
; NumVgprs: 84
; NumAgprs: 0
; TotalNumVgprs: 84
; ScratchSize: 0
; MemoryBound: 0
; FloatMode: 240
; IeeeMode: 1
; LDSByteSize: 65536 bytes/workgroup (compile time only)
; SGPRBlocks: 6
; VGPRBlocks: 10
; NumSGPRsForWavesPerEU: 56
; NumVGPRsForWavesPerEU: 84
; AccumOffset: 84
; Occupancy: 4
; WaveLimiterHint : 0
; COMPUTE_PGM_RSRC2:SCRATCH_EN: 0
; COMPUTE_PGM_RSRC2:USER_SGPR: 2
; COMPUTE_PGM_RSRC2:TRAP_HANDLER: 0
; COMPUTE_PGM_RSRC2:TGID_X_EN: 1
; COMPUTE_PGM_RSRC2:TGID_Y_EN: 0
; COMPUTE_PGM_RSRC2:TGID_Z_EN: 0
; COMPUTE_PGM_RSRC2:TIDIG_COMP_CNT: 1
; COMPUTE_PGM_RSRC3_GFX90A:ACCUM_OFFSET: 20
; COMPUTE_PGM_RSRC3_GFX90A:TG_SPLIT: 0
	.section	.text._Z16wvSplitK_hf_sml_I6__halfLi64ELi2ELi16ELi8ELi2ELi3EEviiiiiiPKT_S3_S3_PS1_ii,"axG",@progbits,_Z16wvSplitK_hf_sml_I6__halfLi64ELi2ELi16ELi8ELi2ELi3EEviiiiiiPKT_S3_S3_PS1_ii,comdat
	.protected	_Z16wvSplitK_hf_sml_I6__halfLi64ELi2ELi16ELi8ELi2ELi3EEviiiiiiPKT_S3_S3_PS1_ii ; -- Begin function _Z16wvSplitK_hf_sml_I6__halfLi64ELi2ELi16ELi8ELi2ELi3EEviiiiiiPKT_S3_S3_PS1_ii
	.globl	_Z16wvSplitK_hf_sml_I6__halfLi64ELi2ELi16ELi8ELi2ELi3EEviiiiiiPKT_S3_S3_PS1_ii
	.p2align	8
	.type	_Z16wvSplitK_hf_sml_I6__halfLi64ELi2ELi16ELi8ELi2ELi3EEviiiiiiPKT_S3_S3_PS1_ii,@function
_Z16wvSplitK_hf_sml_I6__halfLi64ELi2ELi16ELi8ELi2ELi3EEviiiiiiPKT_S3_S3_PS1_ii: ; @_Z16wvSplitK_hf_sml_I6__halfLi64ELi2ELi16ELi8ELi2ELi3EEviiiiiiPKT_S3_S3_PS1_ii
; %bb.0:
	s_load_dwordx4 s[4:7], s[0:1], 0x0
	s_load_dwordx2 s[8:9], s[0:1], 0x10
	s_load_dwordx2 s[10:11], s[0:1], 0x28
	v_and_b32_e32 v2, 0x3ff, v0
	v_bfe_u32 v3, v0, 10, 10
	v_lshlrev_b32_e32 v48, 3, v2
	s_waitcnt lgkmcnt(0)
	s_mul_i32 s3, s6, 3
	v_lshl_add_u32 v4, v3, 9, v48
	s_min_u32 s3, s3, 0x8000
	v_cmp_gt_u32_e32 vcc, s3, v4
	s_and_saveexec_b64 s[12:13], vcc
	s_cbranch_execz .LBB86_3
; %bb.1:
	s_load_dwordx2 s[14:15], s[0:1], 0x20
	v_mov_b32_e32 v7, 0
	v_lshlrev_b32_e32 v6, 10, v3
	v_lshlrev_b32_e32 v8, 4, v2
	v_mov_b32_e32 v9, v7
	v_lshl_add_u64 v[0:1], v[6:7], 0, v[8:9]
	s_waitcnt lgkmcnt(0)
	v_lshl_add_u64 v[0:1], s[14:15], 0, v[0:1]
	v_add_u32_e32 v5, v6, v8
	s_mov_b64 s[14:15], 0
	s_mov_b64 s[16:17], 0x4000
.LBB86_2:                               ; =>This Inner Loop Header: Depth=1
	global_load_dwordx4 v[6:9], v[0:1], off
	v_add_u32_e32 v4, 0x2000, v4
	v_cmp_le_u32_e32 vcc, s3, v4
	v_lshl_add_u64 v[0:1], v[0:1], 0, s[16:17]
	s_or_b64 s[14:15], vcc, s[14:15]
	s_waitcnt vmcnt(0)
	ds_write_b128 v5, v[6:9]
	v_add_u32_e32 v5, 0x4000, v5
	s_andn2_b64 exec, exec, s[14:15]
	s_cbranch_execnz .LBB86_2
.LBB86_3:
	s_or_b64 exec, exec, s[12:13]
	s_load_dwordx2 s[16:17], s[0:1], 0x38
	s_waitcnt lgkmcnt(0)
	s_barrier
	v_cmp_gt_u32_e32 vcc, s16, v3
	s_and_saveexec_b64 s[12:13], vcc
	s_cbranch_execz .LBB86_20
; %bb.4:
	s_mul_i32 s2, s2, s16
	v_add_lshl_u32 v32, s2, v3, 1
	v_cmp_gt_u32_e32 vcc, s7, v32
	s_and_b64 exec, exec, vcc
	s_cbranch_execz .LBB86_20
; %bb.5:
	s_cmp_lg_u32 s4, 0
	s_cselect_b64 s[2:3], -1, 0
	s_add_i32 s24, s4, -8
	s_add_i32 s25, s7, -1
	s_cmp_lg_u64 s[10:11], 0
	s_cselect_b64 s[18:19], -1, 0
	s_abs_i32 s21, s9
	v_cvt_f32_u32_e32 v0, s8
	v_cvt_f32_u32_e32 v1, s21
	s_mul_i32 s20, s16, s17
	s_lshl_b32 s9, s20, 1
	v_rcp_iflag_f32_e32 v0, v0
	v_rcp_iflag_f32_e32 v1, v1
	s_sub_i32 s20, 0, s8
	s_load_dwordx2 s[12:13], s[0:1], 0x18
	s_load_dwordx2 s[14:15], s[0:1], 0x30
	v_mul_f32_e32 v0, 0x4f7ffffe, v0
	v_mul_f32_e32 v1, 0x4f7ffffe, v1
	v_cvt_u32_f32_e32 v0, v0
	v_cvt_u32_f32_e32 v1, v1
	v_cmp_eq_u32_e64 s[0:1], 63, v2
	s_mov_b64 s[16:17], 0
	v_mul_lo_u32 v3, s20, v0
	s_sub_i32 s20, 0, s21
	v_readfirstlane_b32 s22, v1
	s_mul_i32 s20, s20, s22
	s_mul_hi_u32 s20, s22, s20
	s_add_i32 s22, s22, s20
	s_sub_i32 s20, 1, s21
	s_cmp_lt_u32 s21, 2
	s_cselect_b32 s20, s20, 1
	s_sub_i32 s23, s20, s21
	s_cmp_ge_u32 s20, s21
	s_cselect_b32 s26, s23, s20
	s_lshr_b32 s20, s22, 31
	s_mul_i32 s20, s20, s21
	s_sub_i32 s20, 2, s20
	s_sub_i32 s22, s20, s21
	s_cmp_ge_u32 s20, s21
	s_cselect_b32 s20, s22, s20
	s_sub_i32 s22, s20, s21
	v_mul_hi_u32 v3, v0, v3
	s_cmp_ge_u32 s20, s21
	v_add_u32_e32 v49, v0, v3
	s_cselect_b32 s27, s22, s20
	v_cndmask_b32_e64 v0, 0, 1, s[2:3]
	v_mov_b32_e32 v35, 0
	s_mul_i32 s26, s26, s8
	s_mul_i32 s27, s27, s8
	s_lshl_b32 s28, s6, 2
	v_lshlrev_b32_e32 v50, 4, v2
	s_lshl_b32 s6, s6, 1
	v_cmp_ne_u32_e64 s[2:3], 1, v0
	s_branch .LBB86_8
.LBB86_6:                               ;   in Loop: Header=BB86_8 Depth=1
	v_cvt_f32_i32_e32 v2, v2
	v_cvt_f32_i32_e32 v3, v3
	;; [unrolled: 1-line block ×4, first 2 shown]
	v_add_f32_e32 v1, v1, v2
	v_cvt_f32_i32_e32 v2, v9
	v_add_f32_e32 v0, v0, v3
	v_add_f32_e32 v3, v5, v11
	;; [unrolled: 1-line block ×3, first 2 shown]
	s_waitcnt vmcnt(5)
	v_cvt_f32_f16_e32 v7, v17
	v_add_f32_e32 v2, v6, v2
	s_waitcnt vmcnt(4)
	v_cvt_f32_f16_e32 v6, v16
	v_cvt_f32_i32_e32 v8, v8
	v_add_f32_e32 v0, v0, v7
	v_cvt_f16_f32_e32 v7, v0
	v_add_f32_e32 v0, v1, v6
	v_cvt_f16_f32_e32 v6, v0
	v_add_f32_e32 v4, v4, v8
	s_waitcnt vmcnt(3)
	v_cvt_f32_f16_e32 v8, v15
	s_waitcnt lgkmcnt(0)
	v_lshl_add_u64 v[0:1], v[32:33], 1, s[14:15]
	v_pack_b32_f16 v6, v7, v6
	global_store_dword v[0:1], v6, off
	v_add_f32_e32 v0, v3, v8
	v_cvt_f16_f32_e32 v3, v0
	s_waitcnt vmcnt(3)
	v_cvt_f32_f16_e32 v6, v14
	v_add_u32_e32 v34, s7, v32
	v_lshl_add_u64 v[0:1], v[34:35], 1, s[14:15]
	global_store_short v[0:1], v3, off
	v_add_f32_e32 v0, v5, v6
	s_waitcnt vmcnt(3)
	v_cvt_f32_f16_e32 v5, v13
	s_waitcnt vmcnt(2)
	v_cvt_f32_f16_e32 v6, v12
	v_cvt_f16_f32_e32 v3, v0
	v_add_u32_e32 v0, 1, v34
	v_add_f32_e32 v2, v2, v5
	v_add_f32_e32 v4, v4, v6
	v_cvt_f16_f32_e32 v2, v2
	v_cvt_f16_f32_e32 v4, v4
	v_mov_b32_e32 v1, v35
	v_lshl_add_u64 v[0:1], v[0:1], 1, s[14:15]
	v_add_u32_e32 v34, s7, v34
	global_store_short v[0:1], v3, off
	v_lshl_add_u64 v[0:1], v[34:35], 1, s[14:15]
	v_pack_b32_f16 v2, v2, v4
	global_store_dword v[0:1], v2, off
.LBB86_7:                               ;   in Loop: Header=BB86_8 Depth=1
	s_or_b64 exec, exec, s[20:21]
	v_add_u32_e32 v32, s9, v32
	v_cmp_le_u32_e32 vcc, s7, v32
	s_or_b64 s[16:17], vcc, s[16:17]
	s_andn2_b64 exec, exec, s[16:17]
	s_cbranch_execz .LBB86_20
.LBB86_8:                               ; =>This Loop Header: Depth=1
                                        ;     Child Loop BB86_12 Depth 2
	s_mov_b32 s29, 0
	s_and_b64 vcc, exec, s[2:3]
	v_mov_b32_e32 v55, v35
	v_mov_b32_e32 v54, v35
	;; [unrolled: 1-line block ×6, first 2 shown]
	s_cbranch_vccnz .LBB86_15
; %bb.9:                                ;   in Loop: Header=BB86_8 Depth=1
	v_min_u32_e32 v0, s25, v32
	v_mul_lo_u32 v34, v0, s5
	v_or_b32_e32 v0, 1, v32
	v_min_u32_e32 v0, s25, v0
	v_mul_lo_u32 v0, v0, s5
	v_mov_b32_e32 v1, v35
	v_mov_b32_e32 v33, 0
	v_lshlrev_b64 v[36:37], 1, v[34:35]
	v_lshlrev_b64 v[38:39], 1, v[0:1]
	v_mov_b32_e32 v56, v50
	v_mov_b32_e32 v51, 0
	;; [unrolled: 1-line block ×6, first 2 shown]
	s_branch .LBB86_12
.LBB86_10:                              ;   in Loop: Header=BB86_12 Depth=2
	s_or_b64 exec, exec, s[22:23]
.LBB86_11:                              ;   in Loop: Header=BB86_12 Depth=2
	s_or_b64 exec, exec, s[20:21]
	s_waitcnt vmcnt(3) lgkmcnt(1)
	;;#ASMSTART
	v_dot2c_f32_f16 v55, v28, v16
	;;#ASMEND
	s_waitcnt vmcnt(2)
	;;#ASMSTART
	v_dot2c_f32_f16 v54, v28, v8
	;;#ASMEND
	;;#ASMSTART
	v_dot2c_f32_f16 v53, v24, v16
	;;#ASMEND
	;; [unrolled: 3-line block ×6, first 2 shown]
	s_nop 0
	;;#ASMSTART
	v_dot2c_f32_f16 v54, v29, v9
	;;#ASMEND
	;;#ASMSTART
	v_dot2c_f32_f16 v53, v25, v17
	;;#ASMEND
	;;#ASMSTART
	v_dot2c_f32_f16 v52, v25, v9
	;;#ASMEND
	;;#ASMSTART
	v_dot2c_f32_f16 v33, v45, v17
	;;#ASMEND
	;;#ASMSTART
	v_dot2c_f32_f16 v51, v45, v9
	;;#ASMEND
	;;#ASMSTART
	v_dot2c_f32_f16 v55, v30, v18
	;;#ASMEND
	s_nop 0
	;;#ASMSTART
	v_dot2c_f32_f16 v54, v30, v10
	;;#ASMEND
	;;#ASMSTART
	v_dot2c_f32_f16 v53, v26, v18
	;;#ASMEND
	;; [unrolled: 3-line block ×3, first 2 shown]
	s_waitcnt lgkmcnt(0)
	;;#ASMSTART
	v_dot2c_f32_f16 v33, v46, v18
	;;#ASMEND
	;;#ASMSTART
	v_dot2c_f32_f16 v51, v46, v10
	;;#ASMEND
	;; [unrolled: 3-line block ×6, first 2 shown]
	s_nop 0
	;;#ASMSTART
	v_dot2c_f32_f16 v33, v47, v19
	;;#ASMEND
	;;#ASMSTART
	v_dot2c_f32_f16 v51, v47, v11
	;;#ASMEND
	s_waitcnt vmcnt(1)
	;;#ASMSTART
	v_dot2c_f32_f16 v55, v20, v4
	;;#ASMEND
	s_waitcnt vmcnt(0)
	;;#ASMSTART
	v_dot2c_f32_f16 v54, v20, v0
	;;#ASMEND
	;;#ASMSTART
	v_dot2c_f32_f16 v53, v12, v4
	;;#ASMEND
	;; [unrolled: 3-line block ×6, first 2 shown]
	s_nop 0
	;;#ASMSTART
	v_dot2c_f32_f16 v54, v21, v1
	;;#ASMEND
	;;#ASMSTART
	v_dot2c_f32_f16 v53, v13, v5
	;;#ASMEND
	;; [unrolled: 3-line block ×5, first 2 shown]
	s_addk_i32 s29, 0x400
	;;#ASMSTART
	v_dot2c_f32_f16 v55, v22, v6
	;;#ASMEND
	;;#ASMSTART
	v_dot2c_f32_f16 v54, v22, v2
	;;#ASMEND
	;; [unrolled: 3-line block ×6, first 2 shown]
	s_cmp_ge_u32 s29, s4
	v_add_u32_e32 v56, 0x800, v56
	;;#ASMSTART
	v_dot2c_f32_f16 v55, v23, v7
	;;#ASMEND
	;;#ASMSTART
	v_dot2c_f32_f16 v54, v23, v3
	;;#ASMEND
	;; [unrolled: 3-line block ×6, first 2 shown]
	s_cbranch_scc1 .LBB86_15
.LBB86_12:                              ;   Parent Loop BB86_8 Depth=1
                                        ; =>  This Inner Loop Header: Depth=2
	v_add_u32_e32 v20, s29, v48
	v_min_u32_e32 v34, s24, v20
	s_waitcnt lgkmcnt(0)
	v_lshl_add_u64 v[0:1], v[34:35], 1, s[12:13]
	v_add_u32_e32 v57, 0x200, v20
	v_lshl_add_u64 v[2:3], v[0:1], 0, v[36:37]
	v_lshl_add_u64 v[0:1], v[0:1], 0, v[38:39]
	v_min_u32_e32 v34, s24, v57
	global_load_dwordx4 v[16:19], v[2:3], off nt
	global_load_dwordx4 v[8:11], v[0:1], off nt
	v_lshl_add_u64 v[0:1], v[34:35], 1, s[12:13]
	v_lshl_add_u64 v[12:13], v[0:1], 0, v[36:37]
	;; [unrolled: 1-line block ×3, first 2 shown]
	global_load_dwordx4 v[4:7], v[12:13], off nt
	global_load_dwordx4 v[0:3], v[14:15], off nt
	v_cmp_gt_u32_e32 vcc, s4, v20
	v_mov_b32_e32 v28, 0
	v_mov_b32_e32 v29, 0
	;; [unrolled: 1-line block ×24, first 2 shown]
	s_and_saveexec_b64 s[20:21], vcc
	s_cbranch_execz .LBB86_11
; %bb.13:                               ;   in Loop: Header=BB86_12 Depth=2
	v_add_u32_e32 v34, s6, v56
	v_add_u32_e32 v58, s28, v56
	ds_read_b128 v[24:27], v34
	ds_read2_b32 v[44:45], v58 offset1:1
	ds_read_b128 v[28:31], v56
	ds_read2_b32 v[46:47], v58 offset0:2 offset1:3
	v_cmp_gt_u32_e32 vcc, s4, v57
	v_mov_b32_e32 v41, 0
	v_mov_b32_e32 v40, 0
	v_mov_b32_e32 v43, 0
	v_mov_b32_e32 v42, 0
	v_mov_b32_e32 v15, 0
	v_mov_b32_e32 v14, 0
	v_mov_b32_e32 v13, 0
	v_mov_b32_e32 v12, 0
	v_mov_b32_e32 v23, 0
	v_mov_b32_e32 v22, 0
	v_mov_b32_e32 v21, 0
	v_mov_b32_e32 v20, 0
	s_and_saveexec_b64 s[22:23], vcc
	s_cbranch_execz .LBB86_10
; %bb.14:                               ;   in Loop: Header=BB86_12 Depth=2
	v_add_u32_e32 v20, 0x400, v58
	ds_read_b128 v[12:15], v34 offset:1024
	ds_read2_b32 v[42:43], v20 offset1:1
	v_add_u32_e32 v34, 0x408, v58
	ds_read_b128 v[20:23], v56 offset:1024
	ds_read2_b32 v[40:41], v34 offset1:1
	s_branch .LBB86_10
.LBB86_15:                              ;   in Loop: Header=BB86_8 Depth=1
	; sched_barrier mask(0x00000000)
	v_cvt_i32_f32_e32 v0, v55
	v_cvt_i32_f32_e32 v1, v54
	;; [unrolled: 1-line block ×4, first 2 shown]
	v_cvt_f32_i32_dpp v0, v0 row_shr:8 row_mask:0xf bank_mask:0xf bound_ctrl:1
	v_cvt_f32_i32_dpp v1, v1 row_shr:8 row_mask:0xf bank_mask:0xf bound_ctrl:1
	;; [unrolled: 1-line block ×4, first 2 shown]
	v_add_f32_e32 v0, v55, v0
	v_add_f32_e32 v1, v54, v1
	v_cvt_i32_f32_e32 v2, v0
	v_cvt_i32_f32_e32 v3, v1
	v_add_f32_e32 v4, v53, v4
	v_cvt_i32_f32_e32 v6, v4
	v_cvt_f32_i32_dpp v2, v2 row_shr:4 row_mask:0xf bank_mask:0xf bound_ctrl:1
	v_cvt_f32_i32_dpp v3, v3 row_shr:4 row_mask:0xf bank_mask:0xf bound_ctrl:1
	v_add_f32_e32 v5, v52, v5
	v_cvt_f32_i32_dpp v6, v6 row_shr:4 row_mask:0xf bank_mask:0xf bound_ctrl:1
	v_add_f32_e32 v0, v0, v2
	v_add_f32_e32 v1, v1, v3
	v_cvt_i32_f32_e32 v2, v0
	v_cvt_i32_f32_e32 v3, v1
	v_add_f32_e32 v4, v4, v6
	v_cvt_i32_f32_e32 v6, v4
	v_cvt_f32_i32_dpp v2, v2 row_shr:2 row_mask:0xf bank_mask:0xf bound_ctrl:1
	v_cvt_f32_i32_dpp v3, v3 row_shr:2 row_mask:0xf bank_mask:0xf bound_ctrl:1
	v_cvt_i32_f32_e32 v7, v5
	v_cvt_f32_i32_dpp v6, v6 row_shr:2 row_mask:0xf bank_mask:0xf bound_ctrl:1
	v_add_f32_e32 v0, v0, v2
	v_add_f32_e32 v1, v1, v3
	v_cvt_i32_f32_e32 v2, v0
	v_cvt_i32_f32_e32 v3, v1
	v_add_f32_e32 v4, v4, v6
	v_cvt_i32_f32_e32 v6, v4
	v_cvt_f32_i32_dpp v2, v2 row_shr:1 row_mask:0xf bank_mask:0xf bound_ctrl:1
	v_cvt_f32_i32_dpp v3, v3 row_shr:1 row_mask:0xf bank_mask:0xf bound_ctrl:1
	;; [unrolled: 1-line block ×4, first 2 shown]
	v_add_f32_e32 v0, v0, v2
	v_add_f32_e32 v1, v1, v3
	v_cvt_i32_f32_e32 v2, v0
	v_cvt_i32_f32_e32 v3, v1
	v_add_f32_e32 v5, v5, v7
	v_cvt_i32_f32_e32 v7, v51
	v_cvt_f32_i32_dpp v2, v2 row_bcast:15 row_mask:0xf bank_mask:0xf bound_ctrl:1
	v_cvt_f32_i32_dpp v3, v3 row_bcast:15 row_mask:0xf bank_mask:0xf bound_ctrl:1
	v_add_f32_e32 v4, v4, v6
	v_cvt_f32_i32_dpp v6, v7 row_shr:8 row_mask:0xf bank_mask:0xf bound_ctrl:1
	v_add_f32_e32 v0, v0, v2
	v_add_f32_e32 v1, v1, v3
	v_cvt_i32_f32_e32 v2, v0
	v_cvt_i32_f32_e32 v8, v1
	;; [unrolled: 1-line block ×3, first 2 shown]
	v_add_f32_e32 v6, v51, v6
	v_mov_b32_dpp v3, v2 row_bcast:31 row_mask:0xf bank_mask:0xf bound_ctrl:1
	v_mov_b32_dpp v2, v8 row_bcast:31 row_mask:0xf bank_mask:0xf bound_ctrl:1
	v_cvt_i32_f32_e32 v8, v33
	v_cvt_f32_i32_dpp v7, v9 row_shr:2 row_mask:0xf bank_mask:0xf bound_ctrl:1
	v_cvt_i32_f32_e32 v10, v6
	v_cvt_i32_f32_e32 v11, v4
	v_cvt_f32_i32_dpp v8, v8 row_shr:8 row_mask:0xf bank_mask:0xf bound_ctrl:1
	v_add_f32_e32 v5, v5, v7
	v_cvt_f32_i32_dpp v7, v10 row_shr:4 row_mask:0xf bank_mask:0xf bound_ctrl:1
	v_cvt_i32_f32_e32 v10, v5
	v_add_f32_e32 v8, v33, v8
	v_cvt_i32_f32_e32 v9, v8
	v_add_f32_e32 v6, v6, v7
	v_cvt_i32_f32_e32 v7, v6
	v_cvt_f32_i32_dpp v10, v10 row_shr:1 row_mask:0xf bank_mask:0xf bound_ctrl:1
	v_cvt_f32_i32_dpp v9, v9 row_shr:4 row_mask:0xf bank_mask:0xf bound_ctrl:1
	v_cvt_f32_i32_dpp v11, v11 row_bcast:15 row_mask:0xf bank_mask:0xf bound_ctrl:1
	v_cvt_f32_i32_dpp v7, v7 row_shr:2 row_mask:0xf bank_mask:0xf bound_ctrl:1
	v_add_f32_e32 v10, v5, v10
	v_add_f32_e32 v8, v8, v9
	v_cvt_i32_f32_e32 v9, v8
	v_add_f32_e32 v6, v6, v7
	v_cvt_i32_f32_e32 v7, v6
	v_cvt_f32_i32_dpp v9, v9 row_shr:2 row_mask:0xf bank_mask:0xf bound_ctrl:1
	v_add_f32_e32 v8, v8, v9
	v_cvt_i32_f32_e32 v5, v8
	v_cvt_i32_f32_e32 v9, v10
	s_nop 0
	v_cvt_f32_i32_dpp v12, v5 row_shr:1 row_mask:0xf bank_mask:0xf bound_ctrl:1
	v_add_f32_e32 v5, v4, v11
	v_cvt_f32_i32_dpp v4, v7 row_shr:1 row_mask:0xf bank_mask:0xf bound_ctrl:1
	v_cvt_f32_i32_dpp v7, v9 row_bcast:15 row_mask:0xf bank_mask:0xf bound_ctrl:1
	v_add_f32_e32 v8, v8, v12
	v_cvt_i32_f32_e32 v9, v8
	v_add_f32_e32 v4, v6, v4
	v_cvt_i32_f32_e32 v6, v4
	v_add_f32_e32 v7, v10, v7
	v_cvt_f32_i32_dpp v9, v9 row_bcast:15 row_mask:0xf bank_mask:0xf bound_ctrl:1
	v_cvt_i32_f32_e32 v11, v5
	v_cvt_f32_i32_dpp v10, v6 row_bcast:15 row_mask:0xf bank_mask:0xf bound_ctrl:1
	v_cvt_i32_f32_e32 v12, v7
	v_add_f32_e32 v6, v8, v9
	v_cvt_i32_f32_e32 v8, v6
	v_add_f32_e32 v4, v4, v10
	v_cvt_i32_f32_e32 v13, v4
	v_mov_b32_dpp v11, v11 row_bcast:31 row_mask:0xf bank_mask:0xf bound_ctrl:1
	v_mov_b32_dpp v10, v12 row_bcast:31 row_mask:0xf bank_mask:0xf bound_ctrl:1
	;; [unrolled: 1-line block ×4, first 2 shown]
	s_and_saveexec_b64 s[20:21], s[0:1]
	s_cbranch_execz .LBB86_7
; %bb.16:                               ;   in Loop: Header=BB86_8 Depth=1
	s_and_b64 vcc, exec, s[18:19]
	s_cbranch_vccz .LBB86_18
; %bb.17:                               ;   in Loop: Header=BB86_8 Depth=1
	v_mul_hi_u32 v12, v32, v49
	v_mul_lo_u32 v12, v12, s8
	v_sub_u32_e32 v12, v32, v12
	v_subrev_u32_e32 v13, s8, v12
	v_cmp_le_u32_e32 vcc, s8, v12
	v_mov_b32_e32 v15, v35
	v_mov_b32_e32 v33, v35
	v_cndmask_b32_e32 v12, v12, v13, vcc
	v_subrev_u32_e32 v13, s8, v12
	v_cmp_le_u32_e32 vcc, s8, v12
	s_nop 1
	v_cndmask_b32_e32 v34, v12, v13, vcc
	v_or_b32_e32 v12, 1, v32
	v_mul_hi_u32 v13, v12, v49
	v_mul_lo_u32 v13, v13, s8
	v_sub_u32_e32 v12, v12, v13
	v_subrev_u32_e32 v13, s8, v12
	v_cmp_le_u32_e32 vcc, s8, v12
	v_lshl_add_u64 v[18:19], v[34:35], 1, s[10:11]
	v_add_u32_e32 v14, s26, v34
	v_cndmask_b32_e32 v12, v12, v13, vcc
	v_subrev_u32_e32 v13, s8, v12
	v_cmp_le_u32_e32 vcc, s8, v12
	v_add_u32_e32 v34, s27, v34
	v_lshl_add_u64 v[22:23], v[14:15], 1, s[10:11]
	v_cndmask_b32_e32 v12, v12, v13, vcc
	v_mov_b32_e32 v13, v35
	v_add_u32_e32 v14, s26, v12
	v_lshl_add_u64 v[26:27], v[34:35], 1, s[10:11]
	v_add_u32_e32 v34, s27, v12
	v_lshl_add_u64 v[20:21], v[12:13], 1, s[10:11]
	v_lshl_add_u64 v[24:25], v[14:15], 1, s[10:11]
	;; [unrolled: 1-line block ×3, first 2 shown]
	global_load_ushort v17, v[18:19], off
	global_load_ushort v16, v[20:21], off
	;; [unrolled: 1-line block ×6, first 2 shown]
	s_cbranch_execnz .LBB86_6
	s_branch .LBB86_19
.LBB86_18:                              ;   in Loop: Header=BB86_8 Depth=1
                                        ; implicit-def: $vgpr12
                                        ; implicit-def: $vgpr13
                                        ; implicit-def: $vgpr14
                                        ; implicit-def: $vgpr15
                                        ; implicit-def: $vgpr16
                                        ; implicit-def: $vgpr17
.LBB86_19:                              ;   in Loop: Header=BB86_8 Depth=1
	v_mov_b32_e32 v33, v35
	s_waitcnt vmcnt(5)
	v_mov_b32_e32 v17, 0
	s_waitcnt vmcnt(4)
	;; [unrolled: 2-line block ×6, first 2 shown]
	v_mov_b32_e32 v12, 0
	s_branch .LBB86_6
.LBB86_20:
	s_endpgm
	.section	.rodata,"a",@progbits
	.p2align	6, 0x0
	.amdhsa_kernel _Z16wvSplitK_hf_sml_I6__halfLi64ELi2ELi16ELi8ELi2ELi3EEviiiiiiPKT_S3_S3_PS1_ii
		.amdhsa_group_segment_fixed_size 65536
		.amdhsa_private_segment_fixed_size 0
		.amdhsa_kernarg_size 64
		.amdhsa_user_sgpr_count 2
		.amdhsa_user_sgpr_dispatch_ptr 0
		.amdhsa_user_sgpr_queue_ptr 0
		.amdhsa_user_sgpr_kernarg_segment_ptr 1
		.amdhsa_user_sgpr_dispatch_id 0
		.amdhsa_user_sgpr_kernarg_preload_length 0
		.amdhsa_user_sgpr_kernarg_preload_offset 0
		.amdhsa_user_sgpr_private_segment_size 0
		.amdhsa_uses_dynamic_stack 0
		.amdhsa_enable_private_segment 0
		.amdhsa_system_sgpr_workgroup_id_x 1
		.amdhsa_system_sgpr_workgroup_id_y 0
		.amdhsa_system_sgpr_workgroup_id_z 0
		.amdhsa_system_sgpr_workgroup_info 0
		.amdhsa_system_vgpr_workitem_id 1
		.amdhsa_next_free_vgpr 59
		.amdhsa_next_free_sgpr 30
		.amdhsa_accum_offset 60
		.amdhsa_reserve_vcc 1
		.amdhsa_float_round_mode_32 0
		.amdhsa_float_round_mode_16_64 0
		.amdhsa_float_denorm_mode_32 3
		.amdhsa_float_denorm_mode_16_64 3
		.amdhsa_dx10_clamp 1
		.amdhsa_ieee_mode 1
		.amdhsa_fp16_overflow 0
		.amdhsa_tg_split 0
		.amdhsa_exception_fp_ieee_invalid_op 0
		.amdhsa_exception_fp_denorm_src 0
		.amdhsa_exception_fp_ieee_div_zero 0
		.amdhsa_exception_fp_ieee_overflow 0
		.amdhsa_exception_fp_ieee_underflow 0
		.amdhsa_exception_fp_ieee_inexact 0
		.amdhsa_exception_int_div_zero 0
	.end_amdhsa_kernel
	.section	.text._Z16wvSplitK_hf_sml_I6__halfLi64ELi2ELi16ELi8ELi2ELi3EEviiiiiiPKT_S3_S3_PS1_ii,"axG",@progbits,_Z16wvSplitK_hf_sml_I6__halfLi64ELi2ELi16ELi8ELi2ELi3EEviiiiiiPKT_S3_S3_PS1_ii,comdat
.Lfunc_end86:
	.size	_Z16wvSplitK_hf_sml_I6__halfLi64ELi2ELi16ELi8ELi2ELi3EEviiiiiiPKT_S3_S3_PS1_ii, .Lfunc_end86-_Z16wvSplitK_hf_sml_I6__halfLi64ELi2ELi16ELi8ELi2ELi3EEviiiiiiPKT_S3_S3_PS1_ii
                                        ; -- End function
	.section	.AMDGPU.csdata,"",@progbits
; Kernel info:
; codeLenInByte = 2564
; NumSgprs: 36
; NumVgprs: 59
; NumAgprs: 0
; TotalNumVgprs: 59
; ScratchSize: 0
; MemoryBound: 0
; FloatMode: 240
; IeeeMode: 1
; LDSByteSize: 65536 bytes/workgroup (compile time only)
; SGPRBlocks: 4
; VGPRBlocks: 7
; NumSGPRsForWavesPerEU: 36
; NumVGPRsForWavesPerEU: 59
; AccumOffset: 60
; Occupancy: 4
; WaveLimiterHint : 0
; COMPUTE_PGM_RSRC2:SCRATCH_EN: 0
; COMPUTE_PGM_RSRC2:USER_SGPR: 2
; COMPUTE_PGM_RSRC2:TRAP_HANDLER: 0
; COMPUTE_PGM_RSRC2:TGID_X_EN: 1
; COMPUTE_PGM_RSRC2:TGID_Y_EN: 0
; COMPUTE_PGM_RSRC2:TGID_Z_EN: 0
; COMPUTE_PGM_RSRC2:TIDIG_COMP_CNT: 1
; COMPUTE_PGM_RSRC3_GFX90A:ACCUM_OFFSET: 14
; COMPUTE_PGM_RSRC3_GFX90A:TG_SPLIT: 0
	.section	.text._Z12wvSplitK_hf_I6__halfLi64ELi2ELi16ELi8ELi2ELi3EEviiiiiiPKT_S3_S3_PS1_ii,"axG",@progbits,_Z12wvSplitK_hf_I6__halfLi64ELi2ELi16ELi8ELi2ELi3EEviiiiiiPKT_S3_S3_PS1_ii,comdat
	.protected	_Z12wvSplitK_hf_I6__halfLi64ELi2ELi16ELi8ELi2ELi3EEviiiiiiPKT_S3_S3_PS1_ii ; -- Begin function _Z12wvSplitK_hf_I6__halfLi64ELi2ELi16ELi8ELi2ELi3EEviiiiiiPKT_S3_S3_PS1_ii
	.globl	_Z12wvSplitK_hf_I6__halfLi64ELi2ELi16ELi8ELi2ELi3EEviiiiiiPKT_S3_S3_PS1_ii
	.p2align	8
	.type	_Z12wvSplitK_hf_I6__halfLi64ELi2ELi16ELi8ELi2ELi3EEviiiiiiPKT_S3_S3_PS1_ii,@function
_Z12wvSplitK_hf_I6__halfLi64ELi2ELi16ELi8ELi2ELi3EEviiiiiiPKT_S3_S3_PS1_ii: ; @_Z12wvSplitK_hf_I6__halfLi64ELi2ELi16ELi8ELi2ELi3EEviiiiiiPKT_S3_S3_PS1_ii
; %bb.0:
	s_load_dwordx2 s[4:5], s[0:1], 0x38
	s_load_dwordx4 s[8:11], s[0:1], 0x0
	s_load_dwordx2 s[6:7], s[0:1], 0x10
	v_bfe_u32 v3, v0, 10, 10
	s_mov_b32 s12, 1
	s_waitcnt lgkmcnt(0)
	s_mul_i32 s2, s2, s4
	v_add_lshl_u32 v42, s2, v3, 1
	v_add_u32_e32 v1, 2, v42
	v_cmp_gt_u32_e32 vcc, s11, v42
	v_cmp_le_u32_e64 s[2:3], s11, v1
	s_mov_b32 s13, s12
	s_and_b64 s[14:15], vcc, s[2:3]
	v_mov_b64_e32 v[40:41], s[12:13]
	s_and_saveexec_b64 s[2:3], s[14:15]
	s_cbranch_execz .LBB87_6
; %bb.1:
	s_add_i32 s20, s11, -2
	v_cmp_ne_u32_e32 vcc, s20, v42
	v_mov_b64_e32 v[40:41], s[12:13]
	s_and_saveexec_b64 s[12:13], vcc
	s_cbranch_execz .LBB87_5
; %bb.2:
	v_subrev_u32_e32 v1, s20, v42
	s_mov_b32 s14, 1
	v_cmp_lt_u32_e32 vcc, 1, v1
	s_mov_b64 s[16:17], 0
	s_mov_b64 s[18:19], 0
	v_cndmask_b32_e32 v2, 1, v1, vcc
	s_mov_b32 s15, s14
.LBB87_3:                               ; =>This Inner Loop Header: Depth=1
	s_cmp_lg_u32 s18, 1
	s_cselect_b32 s15, s15, 0
	s_cmp_lg_u32 s18, 0
	s_cselect_b32 s14, s14, 0
	s_add_u32 s18, s18, 1
	s_addc_u32 s19, s19, 0
	v_cmp_eq_u32_e32 vcc, s18, v2
	s_or_b64 s[16:17], vcc, s[16:17]
	v_mov_b64_e32 v[40:41], s[14:15]
	s_andn2_b64 exec, exec, s[16:17]
	s_cbranch_execnz .LBB87_3
; %bb.4:
	s_or_b64 exec, exec, s[16:17]
	v_mov_b32_e32 v42, s20
.LBB87_5:
	s_or_b64 exec, exec, s[12:13]
.LBB87_6:
	s_or_b64 exec, exec, s[2:3]
	s_load_dwordx4 s[12:15], s[0:1], 0x20
	v_and_b32_e32 v2, 0x3ff, v0
	v_lshlrev_b32_e32 v56, 3, v2
	s_mul_i32 s2, s10, 3
	v_lshl_add_u32 v4, v3, 9, v56
	s_min_u32 s20, s2, 0x8000
	v_cmp_gt_u32_e32 vcc, s20, v4
	s_and_saveexec_b64 s[2:3], vcc
	s_cbranch_execz .LBB87_9
; %bb.7:
	v_mov_b32_e32 v7, 0
	v_lshlrev_b32_e32 v6, 10, v3
	v_lshlrev_b32_e32 v8, 4, v2
	v_mov_b32_e32 v9, v7
	v_lshl_add_u64 v[0:1], v[6:7], 0, v[8:9]
	s_waitcnt lgkmcnt(0)
	v_lshl_add_u64 v[0:1], s[12:13], 0, v[0:1]
	v_add_u32_e32 v5, v6, v8
	s_mov_b64 s[16:17], 0
	s_mov_b64 s[18:19], 0x4000
.LBB87_8:                               ; =>This Inner Loop Header: Depth=1
	global_load_dwordx4 v[6:9], v[0:1], off
	v_add_u32_e32 v4, 0x2000, v4
	v_cmp_le_u32_e32 vcc, s20, v4
	v_lshl_add_u64 v[0:1], v[0:1], 0, s[18:19]
	s_or_b64 s[16:17], vcc, s[16:17]
	s_waitcnt vmcnt(0)
	ds_write_b128 v5, v[6:9]
	v_add_u32_e32 v5, 0x4000, v5
	s_andn2_b64 exec, exec, s[16:17]
	s_cbranch_execnz .LBB87_8
.LBB87_9:
	s_or_b64 exec, exec, s[2:3]
	v_cmp_gt_u32_e32 vcc, s4, v3
	v_cmp_gt_u32_e64 s[2:3], s11, v42
	s_and_b64 s[2:3], vcc, s[2:3]
	s_waitcnt lgkmcnt(0)
	s_barrier
	s_and_saveexec_b64 s[16:17], s[2:3]
	s_cbranch_execz .LBB87_64
; %bb.10:
	s_cmp_lg_u32 s8, 0
	s_cselect_b64 s[2:3], -1, 0
	s_add_i32 s33, s8, -8
	s_add_i32 s36, s11, -1
	s_mul_i32 s4, s4, s5
	s_cmp_lg_u64 s[14:15], 0
	s_cselect_b64 s[22:23], -1, 0
	s_lshl_b32 s37, s4, 1
	s_abs_i32 s4, s7
	v_cvt_f32_u32_e32 v0, s6
	v_cvt_f32_u32_e32 v1, s4
	s_sub_i32 s5, 0, s6
	s_add_i32 s7, s11, -2
	v_rcp_iflag_f32_e32 v0, v0
	v_rcp_iflag_f32_e32 v1, v1
	s_load_dwordx2 s[16:17], s[0:1], 0x18
	s_load_dwordx2 s[18:19], s[0:1], 0x30
	v_cmp_eq_u32_e64 s[0:1], 63, v2
	v_mul_f32_e32 v0, 0x4f7ffffe, v0
	v_mul_f32_e32 v1, 0x4f7ffffe, v1
	v_cvt_u32_f32_e32 v0, v0
	v_cvt_u32_f32_e32 v1, v1
	s_mov_b64 s[20:21], 0
	v_mov_b32_e32 v45, 0
	v_mul_lo_u32 v3, s5, v0
	s_sub_i32 s5, 0, s4
	v_readfirstlane_b32 s24, v1
	s_mul_i32 s5, s5, s24
	s_mul_hi_u32 s5, s24, s5
	s_add_i32 s24, s24, s5
	s_sub_i32 s5, 1, s4
	s_cmp_lt_u32 s4, 2
	s_cselect_b32 s5, s5, 1
	s_sub_i32 s25, s5, s4
	s_cmp_ge_u32 s5, s4
	s_cselect_b32 s38, s25, s5
	s_lshr_b32 s5, s24, 31
	s_mul_i32 s5, s5, s4
	s_sub_i32 s5, 2, s5
	s_sub_i32 s24, s5, s4
	s_cmp_ge_u32 s5, s4
	s_cselect_b32 s5, s24, s5
	s_sub_i32 s24, s5, s4
	v_mul_hi_u32 v3, v0, v3
	s_cmp_ge_u32 s5, s4
	v_add_u32_e32 v57, v0, v3
	s_cselect_b32 s39, s24, s5
	s_lshl_b32 s40, s10, 1
	v_cndmask_b32_e64 v0, 0, 1, s[2:3]
	s_mul_i32 s38, s38, s6
	s_mul_i32 s39, s39, s6
	v_lshlrev_b32_e32 v58, 4, v2
	s_lshl_b32 s41, s10, 2
	v_add_u32_e32 v59, s40, v56
	v_add_u32_e32 v60, s10, v56
	v_cmp_ne_u32_e64 s[2:3], 1, v0
	s_movk_i32 s10, 0x7fff
	s_mov_b32 s24, 0
	s_branch .LBB87_13
.LBB87_11:                              ;   in Loop: Header=BB87_13 Depth=1
	s_or_b64 exec, exec, s[28:29]
	v_mov_b32_e32 v42, s7
.LBB87_12:                              ;   in Loop: Header=BB87_13 Depth=1
	s_or_b64 exec, exec, s[26:27]
	v_cmp_le_u32_e32 vcc, s11, v42
	s_or_b64 s[20:21], vcc, s[20:21]
	s_andn2_b64 exec, exec, s[20:21]
	s_cbranch_execz .LBB87_64
.LBB87_13:                              ; =>This Loop Header: Depth=1
                                        ;     Child Loop BB87_18 Depth 2
                                        ;     Child Loop BB87_57 Depth 2
	s_and_b64 vcc, exec, s[2:3]
	v_add_u32_e32 v46, 1, v42
	v_mov_b32_e32 v64, v45
	v_mov_b32_e32 v63, v45
	;; [unrolled: 1-line block ×6, first 2 shown]
	s_cbranch_vccnz .LBB87_44
; %bb.14:                               ;   in Loop: Header=BB87_13 Depth=1
	v_min_u32_e32 v0, s36, v42
	v_mul_lo_u32 v44, v0, s9
	v_min_u32_e32 v0, s36, v46
	v_mul_lo_u32 v0, v0, s9
	v_mov_b32_e32 v1, v45
	v_mov_b32_e32 v43, 0
	v_lshlrev_b64 v[48:49], 1, v[44:45]
	v_lshlrev_b64 v[50:51], 1, v[0:1]
	v_mov_b32_e32 v65, v58
	v_mov_b32_e32 v47, 0
	;; [unrolled: 1-line block ×6, first 2 shown]
	s_mov_b32 s30, s24
	s_branch .LBB87_18
.LBB87_15:                              ;   in Loop: Header=BB87_18 Depth=2
	s_or_b64 exec, exec, s[28:29]
.LBB87_16:                              ;   in Loop: Header=BB87_18 Depth=2
	s_or_b64 exec, exec, s[26:27]
.LBB87_17:                              ;   in Loop: Header=BB87_18 Depth=2
	s_or_b64 exec, exec, s[4:5]
	s_waitcnt vmcnt(0) lgkmcnt(0)
	;;#ASMSTART
	v_dot2c_f32_f16 v64, v24, v12
	;;#ASMEND
	;;#ASMSTART
	v_dot2c_f32_f16 v63, v24, v8
	;;#ASMEND
	;;#ASMSTART
	v_dot2c_f32_f16 v62, v20, v12
	;;#ASMEND
	;;#ASMSTART
	v_dot2c_f32_f16 v61, v20, v8
	;;#ASMEND
	;;#ASMSTART
	v_dot2c_f32_f16 v43, v16, v12
	;;#ASMEND
	;;#ASMSTART
	v_dot2c_f32_f16 v47, v16, v8
	;;#ASMEND
	s_nop 0
	;;#ASMSTART
	v_dot2c_f32_f16 v64, v25, v13
	;;#ASMEND
	;;#ASMSTART
	v_dot2c_f32_f16 v63, v25, v9
	;;#ASMEND
	;;#ASMSTART
	v_dot2c_f32_f16 v62, v21, v13
	;;#ASMEND
	;;#ASMSTART
	v_dot2c_f32_f16 v61, v21, v9
	;;#ASMEND
	;;#ASMSTART
	v_dot2c_f32_f16 v43, v17, v13
	;;#ASMEND
	;;#ASMSTART
	v_dot2c_f32_f16 v47, v17, v9
	;;#ASMEND
	s_nop 0
	;; [unrolled: 19-line block ×5, first 2 shown]
	;;#ASMSTART
	v_dot2c_f32_f16 v64, v37, v5
	;;#ASMEND
	;;#ASMSTART
	v_dot2c_f32_f16 v63, v37, v1
	;;#ASMEND
	;;#ASMSTART
	v_dot2c_f32_f16 v62, v29, v5
	;;#ASMEND
	;;#ASMSTART
	v_dot2c_f32_f16 v61, v29, v1
	;;#ASMEND
	;;#ASMSTART
	v_dot2c_f32_f16 v43, v33, v5
	;;#ASMEND
	;;#ASMSTART
	v_dot2c_f32_f16 v47, v33, v1
	;;#ASMEND
	s_addk_i32 s30, 0x400
	;;#ASMSTART
	v_dot2c_f32_f16 v64, v38, v6
	;;#ASMEND
	;;#ASMSTART
	v_dot2c_f32_f16 v63, v38, v2
	;;#ASMEND
	;; [unrolled: 3-line block ×6, first 2 shown]
	s_cmp_ge_u32 s30, s8
	v_add_u32_e32 v65, 0x800, v65
	;;#ASMSTART
	v_dot2c_f32_f16 v64, v39, v7
	;;#ASMEND
	;;#ASMSTART
	v_dot2c_f32_f16 v63, v39, v3
	;;#ASMEND
	;; [unrolled: 3-line block ×6, first 2 shown]
	s_cbranch_scc1 .LBB87_44
.LBB87_18:                              ;   Parent Loop BB87_13 Depth=1
                                        ; =>  This Inner Loop Header: Depth=2
	v_add_u32_e32 v54, s30, v56
	v_min_u32_e32 v44, s33, v54
	s_waitcnt lgkmcnt(0)
	v_lshl_add_u64 v[0:1], v[44:45], 1, s[16:17]
	v_add_u32_e32 v52, 0x200, v54
	v_lshl_add_u64 v[2:3], v[0:1], 0, v[48:49]
	v_lshl_add_u64 v[0:1], v[0:1], 0, v[50:51]
	v_min_u32_e32 v44, s33, v52
	global_load_dwordx4 v[12:15], v[2:3], off nt
	global_load_dwordx4 v[8:11], v[0:1], off nt
	v_lshl_add_u64 v[0:1], v[44:45], 1, s[16:17]
	s_waitcnt vmcnt(6)
	v_lshl_add_u64 v[16:17], v[0:1], 0, v[48:49]
	v_lshl_add_u64 v[18:19], v[0:1], 0, v[50:51]
	global_load_dwordx4 v[4:7], v[16:17], off nt
	global_load_dwordx4 v[0:3], v[18:19], off nt
	s_mov_b32 s25, s24
	v_cmp_gt_u32_e32 vcc, s8, v54
	v_mov_b64_e32 v[30:31], s[24:25]
	v_mov_b32_e32 v35, 0
	v_mov_b32_e32 v34, 0
	;; [unrolled: 1-line block ×4, first 2 shown]
	v_mov_b64_e32 v[28:29], s[24:25]
	v_mov_b64_e32 v[38:39], s[24:25]
	;; [unrolled: 1-line block ×9, first 2 shown]
	s_and_saveexec_b64 s[4:5], vcc
	s_cbranch_execz .LBB87_17
; %bb.19:                               ;   in Loop: Header=BB87_18 Depth=2
	v_cmp_lt_u32_e32 vcc, s10, v54
                                        ; implicit-def: $vgpr26_vgpr27
	s_and_saveexec_b64 s[26:27], vcc
	s_xor_b64 s[26:27], exec, s[26:27]
	s_cbranch_execz .LBB87_21
; %bb.20:                               ;   in Loop: Header=BB87_18 Depth=2
	v_mov_b32_e32 v55, v45
	v_lshl_add_u64 v[16:17], v[54:55], 1, s[12:13]
	global_load_dwordx4 v[24:27], v[16:17], off
.LBB87_21:                              ;   in Loop: Header=BB87_18 Depth=2
	s_andn2_saveexec_b64 s[26:27], s[26:27]
	s_cbranch_execz .LBB87_23
; %bb.22:                               ;   in Loop: Header=BB87_18 Depth=2
	s_waitcnt vmcnt(0)
	ds_read_b128 v[24:27], v65
.LBB87_23:                              ;   in Loop: Header=BB87_18 Depth=2
	s_or_b64 exec, exec, s[26:27]
	v_add_u32_e32 v44, s30, v60
	v_cmp_lt_u32_e32 vcc, s10, v44
                                        ; implicit-def: $vgpr22_vgpr23
	s_and_saveexec_b64 s[26:27], vcc
	s_xor_b64 s[26:27], exec, s[26:27]
	s_cbranch_execz .LBB87_25
; %bb.24:                               ;   in Loop: Header=BB87_18 Depth=2
	v_lshl_add_u64 v[16:17], v[44:45], 1, s[12:13]
	global_load_dwordx4 v[20:23], v[16:17], off
.LBB87_25:                              ;   in Loop: Header=BB87_18 Depth=2
	s_andn2_saveexec_b64 s[26:27], s[26:27]
	s_cbranch_execz .LBB87_27
; %bb.26:                               ;   in Loop: Header=BB87_18 Depth=2
	v_add_u32_e32 v16, s40, v65
	s_waitcnt vmcnt(0)
	ds_read_b128 v[20:23], v16
.LBB87_27:                              ;   in Loop: Header=BB87_18 Depth=2
	s_or_b64 exec, exec, s[26:27]
	v_add_u32_e32 v54, s30, v59
	v_cmp_lt_u32_e32 vcc, s10, v54
                                        ; implicit-def: $vgpr18_vgpr19
	s_and_saveexec_b64 s[26:27], vcc
	s_xor_b64 s[26:27], exec, s[26:27]
	s_cbranch_execz .LBB87_29
; %bb.28:                               ;   in Loop: Header=BB87_18 Depth=2
	v_mov_b32_e32 v55, v45
	v_lshl_add_u64 v[16:17], v[54:55], 1, s[12:13]
	global_load_dwordx4 v[16:19], v[16:17], off
.LBB87_29:                              ;   in Loop: Header=BB87_18 Depth=2
	s_andn2_saveexec_b64 s[26:27], s[26:27]
	s_cbranch_execz .LBB87_31
; %bb.30:                               ;   in Loop: Header=BB87_18 Depth=2
	s_waitcnt vmcnt(0)
	v_add_u32_e32 v18, s41, v65
	ds_read2_b32 v[16:17], v18 offset1:1
	ds_read2_b32 v[18:19], v18 offset0:2 offset1:3
.LBB87_31:                              ;   in Loop: Header=BB87_18 Depth=2
	s_or_b64 exec, exec, s[26:27]
	s_mov_b32 s25, s24
	v_cmp_gt_u32_e32 vcc, s8, v52
	v_mov_b32_e32 v35, 0
	v_mov_b64_e32 v[30:31], s[24:25]
	v_mov_b32_e32 v34, 0
	v_mov_b32_e32 v33, 0
	;; [unrolled: 1-line block ×3, first 2 shown]
	v_mov_b64_e32 v[28:29], s[24:25]
	v_mov_b64_e32 v[38:39], s[24:25]
	;; [unrolled: 1-line block ×3, first 2 shown]
	s_and_saveexec_b64 s[26:27], vcc
	s_cbranch_execz .LBB87_16
; %bb.32:                               ;   in Loop: Header=BB87_18 Depth=2
	v_cmp_lt_u32_e32 vcc, s10, v52
                                        ; implicit-def: $vgpr38_vgpr39
	s_and_saveexec_b64 s[28:29], vcc
	s_xor_b64 s[28:29], exec, s[28:29]
	s_cbranch_execz .LBB87_34
; %bb.33:                               ;   in Loop: Header=BB87_18 Depth=2
	v_mov_b32_e32 v53, v45
	v_lshl_add_u64 v[28:29], v[52:53], 1, s[12:13]
	global_load_dwordx4 v[36:39], v[28:29], off
.LBB87_34:                              ;   in Loop: Header=BB87_18 Depth=2
	s_andn2_saveexec_b64 s[28:29], s[28:29]
	s_cbranch_execz .LBB87_36
; %bb.35:                               ;   in Loop: Header=BB87_18 Depth=2
	s_waitcnt vmcnt(0)
	ds_read_b128 v[36:39], v65 offset:1024
.LBB87_36:                              ;   in Loop: Header=BB87_18 Depth=2
	s_or_b64 exec, exec, s[28:29]
	v_add_u32_e32 v44, 0x200, v44
	v_cmp_lt_u32_e32 vcc, s10, v44
                                        ; implicit-def: $vgpr30_vgpr31
	s_and_saveexec_b64 s[28:29], vcc
	s_xor_b64 s[28:29], exec, s[28:29]
	s_cbranch_execz .LBB87_38
; %bb.37:                               ;   in Loop: Header=BB87_18 Depth=2
	v_lshl_add_u64 v[28:29], v[44:45], 1, s[12:13]
	global_load_dwordx4 v[28:31], v[28:29], off
.LBB87_38:                              ;   in Loop: Header=BB87_18 Depth=2
	s_andn2_saveexec_b64 s[28:29], s[28:29]
	s_cbranch_execz .LBB87_40
; %bb.39:                               ;   in Loop: Header=BB87_18 Depth=2
	s_waitcnt vmcnt(0)
	v_add_u32_e32 v28, s40, v65
	ds_read_b128 v[28:31], v28 offset:1024
.LBB87_40:                              ;   in Loop: Header=BB87_18 Depth=2
	s_or_b64 exec, exec, s[28:29]
	v_add_u32_e32 v44, 0x200, v54
	v_cmp_lt_u32_e32 vcc, s10, v44
                                        ; implicit-def: $vgpr35
	s_and_saveexec_b64 s[28:29], vcc
	s_xor_b64 s[28:29], exec, s[28:29]
	s_cbranch_execz .LBB87_42
; %bb.41:                               ;   in Loop: Header=BB87_18 Depth=2
	v_lshl_add_u64 v[32:33], v[44:45], 1, s[12:13]
	global_load_dwordx4 v[32:35], v[32:33], off
.LBB87_42:                              ;   in Loop: Header=BB87_18 Depth=2
	s_andn2_saveexec_b64 s[28:29], s[28:29]
	s_cbranch_execz .LBB87_15
; %bb.43:                               ;   in Loop: Header=BB87_18 Depth=2
	s_waitcnt vmcnt(0)
	v_add_u32_e32 v32, s41, v65
	v_add_u32_e32 v33, 0x400, v32
	;; [unrolled: 1-line block ×3, first 2 shown]
	ds_read2_b32 v[32:33], v33 offset1:1
	ds_read2_b32 v[34:35], v34 offset1:1
	s_branch .LBB87_15
.LBB87_44:                              ;   in Loop: Header=BB87_13 Depth=1
	v_cvt_i32_f32_e32 v0, v64
	v_cvt_i32_f32_e32 v1, v63
	;; [unrolled: 1-line block ×4, first 2 shown]
	v_cvt_f32_i32_dpp v0, v0 row_shr:8 row_mask:0xf bank_mask:0xf bound_ctrl:1
	v_cvt_f32_i32_dpp v1, v1 row_shr:8 row_mask:0xf bank_mask:0xf bound_ctrl:1
	;; [unrolled: 1-line block ×4, first 2 shown]
	v_add_f32_e32 v0, v64, v0
	v_add_f32_e32 v1, v63, v1
	v_cvt_i32_f32_e32 v2, v0
	v_cvt_i32_f32_e32 v3, v1
	v_add_f32_e32 v4, v62, v4
	v_cvt_i32_f32_e32 v6, v4
	v_cvt_f32_i32_dpp v2, v2 row_shr:4 row_mask:0xf bank_mask:0xf bound_ctrl:1
	v_cvt_f32_i32_dpp v3, v3 row_shr:4 row_mask:0xf bank_mask:0xf bound_ctrl:1
	v_add_f32_e32 v5, v61, v5
	v_cvt_f32_i32_dpp v6, v6 row_shr:4 row_mask:0xf bank_mask:0xf bound_ctrl:1
	v_add_f32_e32 v0, v0, v2
	v_add_f32_e32 v1, v1, v3
	v_cvt_i32_f32_e32 v2, v0
	v_cvt_i32_f32_e32 v3, v1
	v_add_f32_e32 v4, v4, v6
	v_cvt_i32_f32_e32 v6, v4
	v_cvt_f32_i32_dpp v2, v2 row_shr:2 row_mask:0xf bank_mask:0xf bound_ctrl:1
	v_cvt_f32_i32_dpp v3, v3 row_shr:2 row_mask:0xf bank_mask:0xf bound_ctrl:1
	v_cvt_i32_f32_e32 v7, v5
	v_cvt_f32_i32_dpp v6, v6 row_shr:2 row_mask:0xf bank_mask:0xf bound_ctrl:1
	v_add_f32_e32 v0, v0, v2
	v_add_f32_e32 v1, v1, v3
	v_cvt_i32_f32_e32 v2, v0
	v_cvt_i32_f32_e32 v3, v1
	v_add_f32_e32 v8, v4, v6
	v_cvt_i32_f32_e32 v6, v8
	v_cvt_f32_i32_dpp v2, v2 row_shr:1 row_mask:0xf bank_mask:0xf bound_ctrl:1
	v_cvt_f32_i32_dpp v3, v3 row_shr:1 row_mask:0xf bank_mask:0xf bound_ctrl:1
	v_add_f32_e32 v0, v0, v2
	v_add_f32_e32 v1, v1, v3
	v_cvt_i32_f32_e32 v2, v0
	v_cvt_i32_f32_e32 v3, v1
	s_nop 0
	v_cvt_f32_i32_dpp v2, v2 row_bcast:15 row_mask:0xf bank_mask:0xf bound_ctrl:1
	v_cvt_f32_i32_dpp v3, v3 row_bcast:15 row_mask:0xf bank_mask:0xf bound_ctrl:1
	v_add_f32_e32 v4, v0, v2
	v_add_f32_e32 v0, v1, v3
	v_cvt_i32_f32_e32 v1, v4
	v_cvt_f32_i32_dpp v3, v7 row_shr:4 row_mask:0xf bank_mask:0xf bound_ctrl:1
	v_cvt_f32_i32_dpp v7, v6 row_shr:1 row_mask:0xf bank_mask:0xf bound_ctrl:1
	v_cvt_i32_f32_e32 v2, v0
	v_mov_b32_dpp v6, v1 row_bcast:31 row_mask:0xf bank_mask:0xf bound_ctrl:1
	v_cvt_i32_f32_e32 v1, v43
	v_add_f32_e32 v3, v5, v3
	v_cvt_i32_f32_e32 v5, v47
	v_cvt_i32_f32_e32 v9, v3
	v_cvt_f32_i32_dpp v1, v1 row_shr:8 row_mask:0xf bank_mask:0xf bound_ctrl:1
	v_add_f32_e32 v7, v8, v7
	v_cvt_f32_i32_dpp v5, v5 row_shr:8 row_mask:0xf bank_mask:0xf bound_ctrl:1
	v_cvt_f32_i32_dpp v8, v9 row_shr:2 row_mask:0xf bank_mask:0xf bound_ctrl:1
	v_add_f32_e32 v1, v43, v1
	v_cvt_i32_f32_e32 v9, v1
	v_add_f32_e32 v5, v47, v5
	v_cvt_i32_f32_e32 v10, v5
	v_add_f32_e32 v3, v3, v8
	v_cvt_f32_i32_dpp v9, v9 row_shr:4 row_mask:0xf bank_mask:0xf bound_ctrl:1
	v_cvt_i32_f32_e32 v11, v7
	v_cvt_f32_i32_dpp v8, v10 row_shr:4 row_mask:0xf bank_mask:0xf bound_ctrl:1
	v_cvt_i32_f32_e32 v10, v3
	v_add_f32_e32 v1, v1, v9
	v_cvt_i32_f32_e32 v9, v1
	v_add_f32_e32 v5, v5, v8
	v_cvt_i32_f32_e32 v8, v5
	v_cvt_f32_i32_dpp v10, v10 row_shr:1 row_mask:0xf bank_mask:0xf bound_ctrl:1
	v_cvt_f32_i32_dpp v9, v9 row_shr:2 row_mask:0xf bank_mask:0xf bound_ctrl:1
	v_cvt_f32_i32_dpp v11, v11 row_bcast:15 row_mask:0xf bank_mask:0xf bound_ctrl:1
	v_cvt_f32_i32_dpp v8, v8 row_shr:2 row_mask:0xf bank_mask:0xf bound_ctrl:1
	v_add_f32_e32 v3, v3, v10
	v_add_f32_e32 v1, v1, v9
	v_cvt_i32_f32_e32 v9, v1
	v_add_f32_e32 v5, v5, v8
	v_cvt_i32_f32_e32 v8, v5
	v_cvt_i32_f32_e32 v10, v3
	s_waitcnt vmcnt(0)
	v_cvt_f32_i32_dpp v12, v9 row_shr:1 row_mask:0xf bank_mask:0xf bound_ctrl:1
	v_add_f32_e32 v9, v7, v11
	v_cvt_f32_i32_dpp v7, v8 row_shr:1 row_mask:0xf bank_mask:0xf bound_ctrl:1
	v_cvt_f32_i32_dpp v8, v10 row_bcast:15 row_mask:0xf bank_mask:0xf bound_ctrl:1
	v_add_f32_e32 v1, v1, v12
	v_cvt_i32_f32_e32 v10, v1
	v_add_f32_e32 v7, v5, v7
	v_cvt_i32_f32_e32 v5, v7
	v_add_f32_e32 v8, v3, v8
	v_cvt_f32_i32_dpp v10, v10 row_bcast:15 row_mask:0xf bank_mask:0xf bound_ctrl:1
	v_cvt_i32_f32_e32 v11, v9
	v_cvt_f32_i32_dpp v3, v5 row_bcast:15 row_mask:0xf bank_mask:0xf bound_ctrl:1
	v_cvt_i32_f32_e32 v12, v8
	v_add_f32_e32 v5, v1, v10
	v_cvt_i32_f32_e32 v13, v5
	v_add_f32_e32 v1, v7, v3
	v_cvt_i32_f32_e32 v3, v1
	v_mov_b32_dpp v2, v2 row_bcast:31 row_mask:0xf bank_mask:0xf bound_ctrl:1
	v_mov_b32_dpp v11, v11 row_bcast:31 row_mask:0xf bank_mask:0xf bound_ctrl:1
	v_mov_b32_dpp v10, v12 row_bcast:31 row_mask:0xf bank_mask:0xf bound_ctrl:1
	v_mov_b32_dpp v7, v13 row_bcast:31 row_mask:0xf bank_mask:0xf bound_ctrl:1
	v_mov_b32_dpp v3, v3 row_bcast:31 row_mask:0xf bank_mask:0xf bound_ctrl:1
	s_and_saveexec_b64 s[26:27], s[0:1]
	s_cbranch_execz .LBB87_54
; %bb.45:                               ;   in Loop: Header=BB87_13 Depth=1
	s_andn2_b64 vcc, exec, s[22:23]
	v_mov_b32_e32 v17, 0
	v_mov_b32_e32 v16, 0
	;; [unrolled: 1-line block ×6, first 2 shown]
	s_cbranch_vccnz .LBB87_47
; %bb.46:                               ;   in Loop: Header=BB87_13 Depth=1
	v_mul_hi_u32 v12, v42, v57
	v_mul_lo_u32 v12, v12, s6
	v_sub_u32_e32 v12, v42, v12
	v_subrev_u32_e32 v13, s6, v12
	v_cmp_le_u32_e32 vcc, s6, v12
	v_mov_b32_e32 v15, v45
	s_nop 0
	v_cndmask_b32_e32 v12, v12, v13, vcc
	v_subrev_u32_e32 v13, s6, v12
	v_cmp_le_u32_e32 vcc, s6, v12
	s_nop 1
	v_cndmask_b32_e32 v44, v12, v13, vcc
	v_mul_hi_u32 v12, v46, v57
	v_mul_lo_u32 v12, v12, s6
	v_sub_u32_e32 v12, v46, v12
	v_subrev_u32_e32 v13, s6, v12
	v_cmp_le_u32_e32 vcc, s6, v12
	v_lshl_add_u64 v[18:19], v[44:45], 1, s[14:15]
	v_add_u32_e32 v14, s38, v44
	v_cndmask_b32_e32 v12, v12, v13, vcc
	v_subrev_u32_e32 v13, s6, v12
	v_cmp_le_u32_e32 vcc, s6, v12
	v_add_u32_e32 v44, s39, v44
	v_lshl_add_u64 v[22:23], v[14:15], 1, s[14:15]
	v_cndmask_b32_e32 v12, v12, v13, vcc
	v_mov_b32_e32 v13, v45
	v_add_u32_e32 v14, s38, v12
	v_lshl_add_u64 v[26:27], v[44:45], 1, s[14:15]
	v_add_u32_e32 v44, s39, v12
	v_lshl_add_u64 v[20:21], v[12:13], 1, s[14:15]
	v_lshl_add_u64 v[24:25], v[14:15], 1, s[14:15]
	;; [unrolled: 1-line block ×3, first 2 shown]
	global_load_ushort v17, v[18:19], off
	global_load_ushort v16, v[20:21], off
	;; [unrolled: 1-line block ×6, first 2 shown]
.LBB87_47:                              ;   in Loop: Header=BB87_13 Depth=1
	v_cmp_ne_u32_e32 vcc, 0, v40
	s_and_saveexec_b64 s[4:5], vcc
	s_cbranch_execnz .LBB87_59
; %bb.48:                               ;   in Loop: Header=BB87_13 Depth=1
	s_or_b64 exec, exec, s[4:5]
	v_cmp_ne_u32_e64 s[4:5], 0, v41
	s_and_saveexec_b64 s[28:29], s[4:5]
	s_cbranch_execnz .LBB87_60
.LBB87_49:                              ;   in Loop: Header=BB87_13 Depth=1
	s_or_b64 exec, exec, s[28:29]
	v_add_u32_e32 v44, s11, v42
	s_and_saveexec_b64 s[28:29], vcc
	s_cbranch_execnz .LBB87_61
.LBB87_50:                              ;   in Loop: Header=BB87_13 Depth=1
	s_or_b64 exec, exec, s[28:29]
	s_and_saveexec_b64 s[28:29], s[4:5]
	s_cbranch_execnz .LBB87_62
.LBB87_51:                              ;   in Loop: Header=BB87_13 Depth=1
	s_or_b64 exec, exec, s[28:29]
	v_add_u32_e32 v44, s11, v44
	s_and_saveexec_b64 s[28:29], vcc
	s_cbranch_execnz .LBB87_63
.LBB87_52:                              ;   in Loop: Header=BB87_13 Depth=1
	s_or_b64 exec, exec, s[28:29]
	s_and_b64 exec, exec, s[4:5]
	s_cbranch_execz .LBB87_54
.LBB87_53:                              ;   in Loop: Header=BB87_13 Depth=1
	v_cvt_f32_i32_e32 v0, v3
	s_waitcnt vmcnt(0)
	v_cvt_f32_f16_e32 v2, v12
	v_add_u32_e32 v44, 1, v44
	v_add_f32_e32 v0, v1, v0
	v_add_f32_e32 v0, v0, v2
	v_cvt_f16_f32_e32 v2, v0
	s_waitcnt lgkmcnt(0)
	v_lshl_add_u64 v[0:1], v[44:45], 1, s[18:19]
	global_store_short v[0:1], v2, off
.LBB87_54:                              ;   in Loop: Header=BB87_13 Depth=1
	s_or_b64 exec, exec, s[26:27]
	v_add_u32_e32 v42, s37, v42
	v_add_u32_e32 v0, 2, v42
	v_cmp_gt_u32_e32 vcc, s11, v42
	v_cmp_le_u32_e64 s[4:5], s11, v0
	s_and_b64 s[4:5], vcc, s[4:5]
	s_and_saveexec_b64 s[26:27], s[4:5]
	s_cbranch_execz .LBB87_12
; %bb.55:                               ;   in Loop: Header=BB87_13 Depth=1
	v_cmp_ne_u32_e32 vcc, s7, v42
	s_and_saveexec_b64 s[28:29], vcc
	s_cbranch_execz .LBB87_11
; %bb.56:                               ;   in Loop: Header=BB87_13 Depth=1
	v_subrev_u32_e32 v0, s7, v42
	v_cmp_lt_u32_e32 vcc, 1, v0
	s_mov_b64 s[30:31], 0
	s_mov_b64 s[34:35], 0
	v_cndmask_b32_e32 v0, 1, v0, vcc
.LBB87_57:                              ;   Parent Loop BB87_13 Depth=1
                                        ; =>  This Inner Loop Header: Depth=2
	s_cmp_lg_u32 s34, 1
	s_cselect_b64 vcc, -1, 0
	s_cmp_lg_u32 s34, 0
	v_cndmask_b32_e32 v41, 0, v41, vcc
	s_cselect_b64 vcc, -1, 0
	s_add_u32 s34, s34, 1
	s_addc_u32 s35, s35, 0
	v_cmp_eq_u32_e64 s[4:5], s34, v0
	s_or_b64 s[30:31], s[4:5], s[30:31]
	v_cndmask_b32_e32 v40, 0, v40, vcc
	s_andn2_b64 exec, exec, s[30:31]
	s_cbranch_execnz .LBB87_57
; %bb.58:                               ;   in Loop: Header=BB87_13 Depth=1
	s_or_b64 exec, exec, s[30:31]
	s_branch .LBB87_11
.LBB87_59:                              ;   in Loop: Header=BB87_13 Depth=1
	v_cvt_f32_i32_e32 v6, v6
	s_waitcnt vmcnt(5)
	v_cvt_f32_f16_e32 v17, v17
	v_mov_b32_e32 v43, v45
	s_waitcnt lgkmcnt(0)
	v_lshl_add_u64 v[18:19], v[42:43], 1, s[18:19]
	v_add_f32_e32 v4, v4, v6
	v_add_f32_e32 v4, v4, v17
	v_cvt_f16_f32_e32 v4, v4
	global_store_short v[18:19], v4, off
	s_or_b64 exec, exec, s[4:5]
	v_cmp_ne_u32_e64 s[4:5], 0, v41
	s_and_saveexec_b64 s[28:29], s[4:5]
	s_cbranch_execz .LBB87_49
.LBB87_60:                              ;   in Loop: Header=BB87_13 Depth=1
	v_cvt_f32_i32_e32 v2, v2
	s_waitcnt vmcnt(4)
	v_cvt_f32_f16_e32 v4, v16
	v_mov_b32_e32 v47, v45
	s_waitcnt lgkmcnt(0)
	v_lshl_add_u64 v[16:17], v[46:47], 1, s[18:19]
	v_add_f32_e32 v0, v0, v2
	v_add_f32_e32 v0, v0, v4
	v_cvt_f16_f32_e32 v0, v0
	global_store_short v[16:17], v0, off
	s_or_b64 exec, exec, s[28:29]
	v_add_u32_e32 v44, s11, v42
	s_and_saveexec_b64 s[28:29], vcc
	s_cbranch_execz .LBB87_50
.LBB87_61:                              ;   in Loop: Header=BB87_13 Depth=1
	v_cvt_f32_i32_e32 v0, v11
	s_waitcnt vmcnt(3)
	v_cvt_f32_f16_e32 v2, v15
	s_waitcnt lgkmcnt(0)
	v_lshl_add_u64 v[16:17], v[44:45], 1, s[18:19]
	v_add_f32_e32 v0, v9, v0
	v_add_f32_e32 v0, v0, v2
	v_cvt_f16_f32_e32 v0, v0
	global_store_short v[16:17], v0, off
	s_or_b64 exec, exec, s[28:29]
	s_and_saveexec_b64 s[28:29], s[4:5]
	s_cbranch_execz .LBB87_51
.LBB87_62:                              ;   in Loop: Header=BB87_13 Depth=1
	v_cvt_f32_i32_e32 v0, v10
	s_waitcnt vmcnt(2)
	v_cvt_f32_f16_e32 v2, v14
	v_mov_b32_e32 v9, v45
	v_add_f32_e32 v0, v8, v0
	v_add_f32_e32 v0, v0, v2
	v_cvt_f16_f32_e32 v0, v0
	v_add_u32_e32 v8, 1, v44
	s_waitcnt lgkmcnt(0)
	v_lshl_add_u64 v[8:9], v[8:9], 1, s[18:19]
	global_store_short v[8:9], v0, off
	s_or_b64 exec, exec, s[28:29]
	v_add_u32_e32 v44, s11, v44
	s_and_saveexec_b64 s[28:29], vcc
	s_cbranch_execz .LBB87_52
.LBB87_63:                              ;   in Loop: Header=BB87_13 Depth=1
	v_cvt_f32_i32_e32 v0, v7
	s_waitcnt vmcnt(1)
	v_cvt_f32_f16_e32 v2, v13
	v_add_f32_e32 v0, v5, v0
	v_add_f32_e32 v0, v0, v2
	v_cvt_f16_f32_e32 v0, v0
	s_waitcnt lgkmcnt(0)
	v_lshl_add_u64 v[4:5], v[44:45], 1, s[18:19]
	global_store_short v[4:5], v0, off
	s_or_b64 exec, exec, s[28:29]
	s_and_b64 exec, exec, s[4:5]
	s_cbranch_execnz .LBB87_53
	s_branch .LBB87_54
.LBB87_64:
	s_endpgm
	.section	.rodata,"a",@progbits
	.p2align	6, 0x0
	.amdhsa_kernel _Z12wvSplitK_hf_I6__halfLi64ELi2ELi16ELi8ELi2ELi3EEviiiiiiPKT_S3_S3_PS1_ii
		.amdhsa_group_segment_fixed_size 65536
		.amdhsa_private_segment_fixed_size 0
		.amdhsa_kernarg_size 64
		.amdhsa_user_sgpr_count 2
		.amdhsa_user_sgpr_dispatch_ptr 0
		.amdhsa_user_sgpr_queue_ptr 0
		.amdhsa_user_sgpr_kernarg_segment_ptr 1
		.amdhsa_user_sgpr_dispatch_id 0
		.amdhsa_user_sgpr_kernarg_preload_length 0
		.amdhsa_user_sgpr_kernarg_preload_offset 0
		.amdhsa_user_sgpr_private_segment_size 0
		.amdhsa_uses_dynamic_stack 0
		.amdhsa_enable_private_segment 0
		.amdhsa_system_sgpr_workgroup_id_x 1
		.amdhsa_system_sgpr_workgroup_id_y 0
		.amdhsa_system_sgpr_workgroup_id_z 0
		.amdhsa_system_sgpr_workgroup_info 0
		.amdhsa_system_vgpr_workitem_id 1
		.amdhsa_next_free_vgpr 66
		.amdhsa_next_free_sgpr 42
		.amdhsa_accum_offset 68
		.amdhsa_reserve_vcc 1
		.amdhsa_float_round_mode_32 0
		.amdhsa_float_round_mode_16_64 0
		.amdhsa_float_denorm_mode_32 3
		.amdhsa_float_denorm_mode_16_64 3
		.amdhsa_dx10_clamp 1
		.amdhsa_ieee_mode 1
		.amdhsa_fp16_overflow 0
		.amdhsa_tg_split 0
		.amdhsa_exception_fp_ieee_invalid_op 0
		.amdhsa_exception_fp_denorm_src 0
		.amdhsa_exception_fp_ieee_div_zero 0
		.amdhsa_exception_fp_ieee_overflow 0
		.amdhsa_exception_fp_ieee_underflow 0
		.amdhsa_exception_fp_ieee_inexact 0
		.amdhsa_exception_int_div_zero 0
	.end_amdhsa_kernel
	.section	.text._Z12wvSplitK_hf_I6__halfLi64ELi2ELi16ELi8ELi2ELi3EEviiiiiiPKT_S3_S3_PS1_ii,"axG",@progbits,_Z12wvSplitK_hf_I6__halfLi64ELi2ELi16ELi8ELi2ELi3EEviiiiiiPKT_S3_S3_PS1_ii,comdat
.Lfunc_end87:
	.size	_Z12wvSplitK_hf_I6__halfLi64ELi2ELi16ELi8ELi2ELi3EEviiiiiiPKT_S3_S3_PS1_ii, .Lfunc_end87-_Z12wvSplitK_hf_I6__halfLi64ELi2ELi16ELi8ELi2ELi3EEviiiiiiPKT_S3_S3_PS1_ii
                                        ; -- End function
	.section	.AMDGPU.csdata,"",@progbits
; Kernel info:
; codeLenInByte = 3300
; NumSgprs: 48
; NumVgprs: 66
; NumAgprs: 0
; TotalNumVgprs: 66
; ScratchSize: 0
; MemoryBound: 1
; FloatMode: 240
; IeeeMode: 1
; LDSByteSize: 65536 bytes/workgroup (compile time only)
; SGPRBlocks: 5
; VGPRBlocks: 8
; NumSGPRsForWavesPerEU: 48
; NumVGPRsForWavesPerEU: 66
; AccumOffset: 68
; Occupancy: 4
; WaveLimiterHint : 0
; COMPUTE_PGM_RSRC2:SCRATCH_EN: 0
; COMPUTE_PGM_RSRC2:USER_SGPR: 2
; COMPUTE_PGM_RSRC2:TRAP_HANDLER: 0
; COMPUTE_PGM_RSRC2:TGID_X_EN: 1
; COMPUTE_PGM_RSRC2:TGID_Y_EN: 0
; COMPUTE_PGM_RSRC2:TGID_Z_EN: 0
; COMPUTE_PGM_RSRC2:TIDIG_COMP_CNT: 1
; COMPUTE_PGM_RSRC3_GFX90A:ACCUM_OFFSET: 16
; COMPUTE_PGM_RSRC3_GFX90A:TG_SPLIT: 0
	.section	.text._Z16wvSplitK_hf_big_I6__halfLi64ELi2ELi16ELi8ELi2ELi3EEviiiiiiPKT_S3_S3_PS1_ii,"axG",@progbits,_Z16wvSplitK_hf_big_I6__halfLi64ELi2ELi16ELi8ELi2ELi3EEviiiiiiPKT_S3_S3_PS1_ii,comdat
	.protected	_Z16wvSplitK_hf_big_I6__halfLi64ELi2ELi16ELi8ELi2ELi3EEviiiiiiPKT_S3_S3_PS1_ii ; -- Begin function _Z16wvSplitK_hf_big_I6__halfLi64ELi2ELi16ELi8ELi2ELi3EEviiiiiiPKT_S3_S3_PS1_ii
	.globl	_Z16wvSplitK_hf_big_I6__halfLi64ELi2ELi16ELi8ELi2ELi3EEviiiiiiPKT_S3_S3_PS1_ii
	.p2align	8
	.type	_Z16wvSplitK_hf_big_I6__halfLi64ELi2ELi16ELi8ELi2ELi3EEviiiiiiPKT_S3_S3_PS1_ii,@function
_Z16wvSplitK_hf_big_I6__halfLi64ELi2ELi16ELi8ELi2ELi3EEviiiiiiPKT_S3_S3_PS1_ii: ; @_Z16wvSplitK_hf_big_I6__halfLi64ELi2ELi16ELi8ELi2ELi3EEviiiiiiPKT_S3_S3_PS1_ii
; %bb.0:
	s_load_dwordx2 s[4:5], s[0:1], 0x38
	v_bfe_u32 v1, v0, 10, 10
	s_waitcnt lgkmcnt(0)
	v_cmp_gt_u32_e32 vcc, s4, v1
	s_and_saveexec_b64 s[6:7], vcc
	s_cbranch_execz .LBB88_52
; %bb.1:
	s_load_dwordx4 s[20:23], s[0:1], 0x0
	s_mul_i32 s2, s2, s4
	v_add_lshl_u32 v42, s2, v1, 1
	s_mov_b32 s6, 1
	v_add_u32_e32 v2, 2, v42
	s_waitcnt lgkmcnt(0)
	v_cmp_gt_u32_e32 vcc, s23, v42
	v_cmp_le_u32_e64 s[2:3], s23, v2
	s_mov_b32 s7, s6
	s_and_b64 s[8:9], vcc, s[2:3]
	v_mov_b64_e32 v[40:41], s[6:7]
	s_and_saveexec_b64 s[2:3], s[8:9]
	s_cbranch_execz .LBB88_7
; %bb.2:
	s_add_i32 s14, s23, -2
	v_cmp_ne_u32_e32 vcc, s14, v42
	v_mov_b64_e32 v[40:41], s[6:7]
	s_and_saveexec_b64 s[6:7], vcc
	s_cbranch_execz .LBB88_6
; %bb.3:
	v_subrev_u32_e32 v2, s14, v42
	s_mov_b32 s8, 1
	v_cmp_lt_u32_e32 vcc, 1, v2
	s_mov_b64 s[10:11], 0
	s_mov_b64 s[12:13], 0
	v_cndmask_b32_e32 v2, 1, v2, vcc
	s_mov_b32 s9, s8
.LBB88_4:                               ; =>This Inner Loop Header: Depth=1
	s_cmp_lg_u32 s12, 1
	s_cselect_b32 s9, s9, 0
	s_cmp_lg_u32 s12, 0
	s_cselect_b32 s8, s8, 0
	s_add_u32 s12, s12, 1
	s_addc_u32 s13, s13, 0
	v_cmp_eq_u32_e32 vcc, s12, v2
	s_or_b64 s[10:11], vcc, s[10:11]
	v_mov_b64_e32 v[40:41], s[8:9]
	s_andn2_b64 exec, exec, s[10:11]
	s_cbranch_execnz .LBB88_4
; %bb.5:
	s_or_b64 exec, exec, s[10:11]
	v_mov_b32_e32 v42, s14
.LBB88_6:
	s_or_b64 exec, exec, s[6:7]
.LBB88_7:
	s_or_b64 exec, exec, s[2:3]
	s_lshl_b32 s2, s4, 1
	s_abs_i32 s3, s2
	v_cvt_f32_u32_e32 v2, s3
	s_sub_i32 s8, 0, s3
	s_abs_i32 s7, s23
	s_ashr_i32 s6, s23, 31
	v_rcp_iflag_f32_e32 v2, v2
	s_nop 0
	v_mul_f32_e32 v2, 0x4f7ffffe, v2
	v_cvt_u32_f32_e32 v2, v2
	s_nop 0
	v_readfirstlane_b32 s9, v2
	s_mul_i32 s8, s8, s9
	s_mul_hi_u32 s8, s9, s8
	s_add_i32 s9, s9, s8
	s_mul_hi_u32 s8, s7, s9
	s_mul_i32 s8, s8, s3
	s_sub_i32 s7, s7, s8
	s_sub_i32 s8, s7, s3
	s_cmp_ge_u32 s7, s3
	s_cselect_b32 s7, s8, s7
	s_sub_i32 s8, s7, s3
	s_cmp_ge_u32 s7, s3
	s_cselect_b32 s3, s8, s7
	s_xor_b32 s3, s3, s6
	s_sub_i32 s3, s3, s6
	s_add_i32 s2, s2, s23
	s_sub_i32 s2, s2, s3
	s_cmp_eq_u32 s3, 0
	s_cselect_b32 s33, s23, s2
	v_cmp_gt_u32_e32 vcc, s33, v42
	s_and_b64 exec, exec, vcc
	s_cbranch_execz .LBB88_52
; %bb.8:
	s_load_dwordx8 s[12:19], s[0:1], 0x10
	s_min_u32 s40, s22, 0x2800
	s_cmp_lg_u32 s20, 0
	s_load_dwordx2 s[10:11], s[0:1], 0x30
	s_cselect_b64 s[2:3], -1, 0
	s_cmp_lg_u32 s22, 0
	s_mul_i32 s0, s5, s4
	s_cselect_b64 s[6:7], -1, 0
	s_lshl_b32 s41, s4, 9
	s_add_i32 s42, s20, -8
	s_add_i32 s43, s23, -1
	s_lshl_b32 s44, s0, 1
	s_waitcnt lgkmcnt(0)
	s_cmp_lg_u64 s[18:19], 0
	s_cselect_b64 s[26:27], -1, 0
	s_abs_i32 s5, s13
	v_cvt_f32_u32_e32 v2, s12
	v_cvt_f32_u32_e32 v3, s5
	s_sub_i32 s8, 0, s12
	s_add_i32 s13, s23, -2
	v_rcp_iflag_f32_e32 v2, v2
	v_rcp_iflag_f32_e32 v3, v3
	v_and_b32_e32 v0, 0x3ff, v0
	v_lshlrev_b32_e32 v50, 3, v0
	v_mul_f32_e32 v2, 0x4f7ffffe, v2
	v_mul_f32_e32 v3, 0x4f7ffffe, v3
	v_cvt_u32_f32_e32 v2, v2
	v_cvt_u32_f32_e32 v3, v3
	v_cmp_eq_u32_e64 s[0:1], 63, v0
	v_lshlrev_b32_e32 v0, 4, v0
	v_mul_lo_u32 v4, s8, v2
	s_sub_i32 s8, 0, s5
	v_readfirstlane_b32 s9, v3
	s_mul_i32 s8, s8, s9
	s_mul_hi_u32 s8, s9, s8
	s_add_i32 s9, s9, s8
	s_sub_i32 s8, 1, s5
	s_cmp_lt_u32 s5, 2
	s_cselect_b32 s8, s8, 1
	s_sub_i32 s28, s8, s5
	s_cmp_ge_u32 s8, s5
	s_cselect_b32 s45, s28, s8
	s_lshr_b32 s8, s9, 31
	s_mul_i32 s8, s8, s5
	s_sub_i32 s8, 2, s8
	s_sub_i32 s9, s8, s5
	s_cmp_ge_u32 s8, s5
	s_cselect_b32 s8, s9, s8
	s_sub_i32 s9, s8, s5
	s_cmp_ge_u32 s8, s5
	v_lshl_add_u32 v52, v1, 10, v0
	v_cndmask_b32_e64 v0, 0, 1, s[2:3]
	v_mul_hi_u32 v4, v2, v4
	s_cselect_b32 s46, s9, s8
	s_add_u32 s28, s10, 2
	v_lshl_add_u32 v53, v1, 9, v50
	v_cmp_ne_u32_e64 s[2:3], 1, v0
	v_cndmask_b32_e64 v0, 0, 1, s[6:7]
	s_mov_b64 s[24:25], 0
	v_add_u32_e32 v51, v2, v4
	v_mov_b32_e32 v45, 0
	s_mul_i32 s45, s45, s12
	s_mul_i32 s46, s46, s12
	s_addc_u32 s29, s11, 0
	s_lshl_b32 s47, s40, 2
	s_lshl_b32 s48, s4, 10
	;; [unrolled: 1-line block ×3, first 2 shown]
	v_lshl_add_u32 v54, s22, 1, v53
	v_add_u32_e32 v55, s22, v53
	v_cmp_ne_u32_e64 s[4:5], 1, v0
	s_branch .LBB88_12
.LBB88_9:                               ;   in Loop: Header=BB88_12 Depth=1
	s_or_b64 exec, exec, s[34:35]
	v_mov_b32_e32 v42, s13
.LBB88_10:                              ;   in Loop: Header=BB88_12 Depth=1
	s_or_b64 exec, exec, s[30:31]
.LBB88_11:                              ;   in Loop: Header=BB88_12 Depth=1
	s_or_b64 exec, exec, s[8:9]
	v_cmp_le_u32_e32 vcc, s33, v42
	s_or_b64 s[24:25], vcc, s[24:25]
	s_andn2_b64 exec, exec, s[24:25]
	s_cbranch_execz .LBB88_52
.LBB88_12:                              ; =>This Loop Header: Depth=1
                                        ;     Child Loop BB88_17 Depth 2
                                        ;       Child Loop BB88_22 Depth 3
                                        ;     Child Loop BB88_45 Depth 2
	s_mov_b32 s36, 0
	s_and_b64 vcc, exec, s[2:3]
	v_mov_b32_e32 v60, v45
	v_mov_b32_e32 v59, v45
	;; [unrolled: 1-line block ×6, first 2 shown]
	s_cbranch_vccnz .LBB88_29
; %bb.13:                               ;   in Loop: Header=BB88_12 Depth=1
	v_min_u32_e32 v0, s43, v42
	v_mul_lo_u32 v44, v0, s21
	v_add_u32_e32 v0, 1, v42
	v_min_u32_e32 v0, s43, v0
	v_mul_lo_u32 v0, v0, s21
	v_mov_b32_e32 v1, v45
	v_cmp_gt_u32_e64 s[6:7], s23, v42
	v_mov_b32_e32 v43, 0
	v_lshlrev_b64 v[46:47], 1, v[44:45]
	v_lshlrev_b64 v[48:49], 1, v[0:1]
	v_mov_b32_e32 v56, 0
	v_mov_b32_e32 v57, 0
	;; [unrolled: 1-line block ×5, first 2 shown]
	s_mov_b32 s37, 0
	s_branch .LBB88_17
.LBB88_14:                              ;   in Loop: Header=BB88_17 Depth=2
	s_or_b64 exec, exec, s[34:35]
.LBB88_15:                              ;   in Loop: Header=BB88_17 Depth=2
	s_or_b64 exec, exec, s[30:31]
	s_waitcnt vmcnt(3) lgkmcnt(2)
	;;#ASMSTART
	v_dot2c_f32_f16 v60, v36, v20
	;;#ASMEND
	s_waitcnt vmcnt(2)
	;;#ASMSTART
	v_dot2c_f32_f16 v59, v36, v16
	;;#ASMEND
	s_waitcnt lgkmcnt(1)
	;;#ASMSTART
	v_dot2c_f32_f16 v58, v32, v20
	;;#ASMEND
	;;#ASMSTART
	v_dot2c_f32_f16 v57, v32, v16
	;;#ASMEND
	s_waitcnt lgkmcnt(0)
	;;#ASMSTART
	v_dot2c_f32_f16 v43, v28, v20
	;;#ASMEND
	;;#ASMSTART
	v_dot2c_f32_f16 v56, v28, v16
	;;#ASMEND
	;;#ASMSTART
	v_dot2c_f32_f16 v60, v37, v21
	;;#ASMEND
	;;#ASMSTART
	v_dot2c_f32_f16 v59, v37, v17
	;;#ASMEND
	;;#ASMSTART
	v_dot2c_f32_f16 v58, v33, v21
	;;#ASMEND
	;;#ASMSTART
	v_dot2c_f32_f16 v57, v33, v17
	;;#ASMEND
	s_nop 0
	;;#ASMSTART
	v_dot2c_f32_f16 v43, v29, v21
	;;#ASMEND
	;;#ASMSTART
	v_dot2c_f32_f16 v56, v29, v17
	;;#ASMEND
	;;#ASMSTART
	v_dot2c_f32_f16 v60, v38, v22
	;;#ASMEND
	;;#ASMSTART
	v_dot2c_f32_f16 v59, v38, v18
	;;#ASMEND
	;;#ASMSTART
	v_dot2c_f32_f16 v58, v34, v22
	;;#ASMEND
	;;#ASMSTART
	v_dot2c_f32_f16 v57, v34, v18
	;;#ASMEND
	s_nop 0
	;; [unrolled: 19-line block ×3, first 2 shown]
	;;#ASMSTART
	v_dot2c_f32_f16 v43, v31, v23
	;;#ASMEND
	;;#ASMSTART
	v_dot2c_f32_f16 v56, v31, v19
	;;#ASMEND
	s_waitcnt vmcnt(1)
	;;#ASMSTART
	v_dot2c_f32_f16 v60, v24, v4
	;;#ASMEND
	s_waitcnt vmcnt(0)
	;;#ASMSTART
	v_dot2c_f32_f16 v59, v24, v0
	;;#ASMEND
	;;#ASMSTART
	v_dot2c_f32_f16 v58, v12, v4
	;;#ASMEND
	;;#ASMSTART
	v_dot2c_f32_f16 v57, v12, v0
	;;#ASMEND
	;;#ASMSTART
	v_dot2c_f32_f16 v43, v8, v4
	;;#ASMEND
	;;#ASMSTART
	v_dot2c_f32_f16 v56, v8, v0
	;;#ASMEND
	;;#ASMSTART
	v_dot2c_f32_f16 v60, v25, v5
	;;#ASMEND
	s_nop 0
	;;#ASMSTART
	v_dot2c_f32_f16 v59, v25, v1
	;;#ASMEND
	;;#ASMSTART
	v_dot2c_f32_f16 v58, v13, v5
	;;#ASMEND
	;;#ASMSTART
	v_dot2c_f32_f16 v57, v13, v1
	;;#ASMEND
	;;#ASMSTART
	v_dot2c_f32_f16 v43, v9, v5
	;;#ASMEND
	;;#ASMSTART
	v_dot2c_f32_f16 v56, v9, v1
	;;#ASMEND
	;;#ASMSTART
	v_dot2c_f32_f16 v60, v26, v6
	;;#ASMEND
	s_nop 0
	;; [unrolled: 19-line block ×3, first 2 shown]
	;;#ASMSTART
	v_dot2c_f32_f16 v59, v27, v3
	;;#ASMEND
	;;#ASMSTART
	v_dot2c_f32_f16 v58, v15, v7
	;;#ASMEND
	;; [unrolled: 3-line block ×5, first 2 shown]
.LBB88_16:                              ;   in Loop: Header=BB88_17 Depth=2
	s_or_b64 exec, exec, s[8:9]
	s_addk_i32 s37, 0x400
	s_cmp_ge_u32 s37, s20
	s_cbranch_scc1 .LBB88_29
.LBB88_17:                              ;   Parent Loop BB88_12 Depth=1
                                        ; =>  This Loop Header: Depth=2
                                        ;       Child Loop BB88_22 Depth 3
	s_cmp_eq_u32 s37, 0
	s_cselect_b64 s[8:9], -1, 0
	s_add_i32 s30, s36, s40
	s_cmp_eq_u32 s37, s30
	s_cselect_b64 s[34:35], -1, 0
	s_or_b64 s[34:35], s[8:9], s[34:35]
	s_andn2_b64 vcc, exec, s[34:35]
	s_cbranch_vccz .LBB88_19
; %bb.18:                               ;   in Loop: Header=BB88_17 Depth=2
	s_and_saveexec_b64 s[8:9], s[6:7]
	s_cbranch_execz .LBB88_16
	s_branch .LBB88_26
.LBB88_19:                              ;   in Loop: Header=BB88_17 Depth=2
	s_and_b64 s[8:9], s[8:9], exec
	s_cselect_b32 s36, s36, s30
	s_and_b64 vcc, exec, s[4:5]
	s_barrier
	s_cbranch_vccnz .LBB88_25
; %bb.20:                               ;   in Loop: Header=BB88_17 Depth=2
	v_add_u32_e32 v0, s36, v54
	v_add_u32_e32 v1, s36, v55
	;; [unrolled: 1-line block ×3, first 2 shown]
	s_mov_b32 s38, 0
	s_mov_b64 s[30:31], 0
	v_mov_b32_e32 v3, v52
                                        ; implicit-def: $sgpr34_sgpr35
	s_branch .LBB88_22
.LBB88_21:                              ;   in Loop: Header=BB88_22 Depth=3
	s_or_b64 exec, exec, s[8:9]
	s_and_b64 s[8:9], exec, s[34:35]
	s_or_b64 s[30:31], s[8:9], s[30:31]
	s_andn2_b64 exec, exec, s[30:31]
	s_cbranch_execz .LBB88_24
.LBB88_22:                              ;   Parent Loop BB88_12 Depth=1
                                        ;     Parent Loop BB88_17 Depth=2
                                        ; =>    This Inner Loop Header: Depth=3
	v_add_u32_e32 v4, s38, v53
	v_add_u32_e32 v44, s38, v2
	v_cmp_gt_u32_e32 vcc, s22, v44
	v_cmp_gt_u32_e64 s[8:9], s40, v4
	s_and_b64 s[50:51], s[8:9], vcc
	s_or_b64 s[34:35], s[34:35], exec
	s_and_saveexec_b64 s[8:9], s[50:51]
	s_cbranch_execz .LBB88_21
; %bb.23:                               ;   in Loop: Header=BB88_22 Depth=3
	s_waitcnt vmcnt(0)
	v_lshl_add_u64 v[12:13], v[44:45], 1, s[16:17]
	v_add_u32_e32 v44, s38, v1
	v_lshl_add_u64 v[14:15], v[44:45], 1, s[16:17]
	v_add_u32_e32 v44, s38, v0
	global_load_dwordx4 v[4:7], v[12:13], off
	global_load_dwordx4 v[8:11], v[14:15], off
	v_lshl_add_u64 v[12:13], v[44:45], 1, s[16:17]
	global_load_dwordx4 v[12:15], v[12:13], off
	s_add_i32 s38, s38, s41
	s_cmp_ge_u32 s38, s40
	s_cselect_b64 s[50:51], -1, 0
	s_andn2_b64 s[34:35], s[34:35], exec
	s_and_b64 s[50:51], s[50:51], exec
	v_add_u32_e32 v16, s49, v3
	v_add_u32_e32 v17, s47, v3
	s_or_b64 s[34:35], s[34:35], s[50:51]
	s_waitcnt vmcnt(2)
	ds_write_b128 v3, v[4:7]
	v_add_u32_e32 v3, s48, v3
	s_waitcnt vmcnt(1)
	ds_write2_b64 v16, v[8:9], v[10:11] offset1:1
	s_waitcnt vmcnt(0)
	ds_write2_b32 v17, v12, v13 offset1:1
	ds_write2_b32 v17, v14, v15 offset0:2 offset1:3
	s_branch .LBB88_21
.LBB88_24:                              ;   in Loop: Header=BB88_17 Depth=2
	s_or_b64 exec, exec, s[30:31]
.LBB88_25:                              ;   in Loop: Header=BB88_17 Depth=2
	s_waitcnt lgkmcnt(0)
	s_barrier
	s_and_saveexec_b64 s[8:9], s[6:7]
	s_cbranch_execz .LBB88_16
.LBB88_26:                              ;   in Loop: Header=BB88_17 Depth=2
	v_add_u32_e32 v61, s37, v50
	v_min_u32_e32 v44, s42, v61
	v_lshl_add_u64 v[0:1], v[44:45], 1, s[14:15]
	v_add_u32_e32 v62, 0x200, v61
	v_lshl_add_u64 v[2:3], v[0:1], 0, v[46:47]
	v_lshl_add_u64 v[0:1], v[0:1], 0, v[48:49]
	v_min_u32_e32 v44, s42, v62
	global_load_dwordx4 v[20:23], v[2:3], off nt
	global_load_dwordx4 v[16:19], v[0:1], off nt
	v_lshl_add_u64 v[0:1], v[44:45], 1, s[14:15]
	v_lshl_add_u64 v[8:9], v[0:1], 0, v[46:47]
	;; [unrolled: 1-line block ×3, first 2 shown]
	global_load_dwordx4 v[4:7], v[8:9], off nt
	global_load_dwordx4 v[0:3], v[10:11], off nt
	v_cmp_gt_u32_e32 vcc, s20, v61
	v_mov_b32_e32 v36, 0
	v_mov_b32_e32 v37, 0
	;; [unrolled: 1-line block ×16, first 2 shown]
	s_waitcnt vmcnt(4)
	v_mov_b32_e32 v12, 0
	v_mov_b32_e32 v13, 0
	;; [unrolled: 1-line block ×8, first 2 shown]
	s_and_saveexec_b64 s[30:31], vcc
	s_cbranch_execz .LBB88_15
; %bb.27:                               ;   in Loop: Header=BB88_17 Depth=2
	v_subrev_u32_e32 v8, s36, v61
	v_lshlrev_b32_e32 v63, 1, v8
	v_add_u32_e32 v61, s49, v63
	v_add_u32_e32 v44, s49, v61
	ds_read_b128 v[36:39], v63
	ds_read_b128 v[32:35], v61
	;; [unrolled: 1-line block ×3, first 2 shown]
	v_cmp_gt_u32_e32 vcc, s20, v62
	v_mov_b32_e32 v11, 0
	v_mov_b32_e32 v10, 0
	;; [unrolled: 1-line block ×12, first 2 shown]
	s_and_saveexec_b64 s[34:35], vcc
	s_cbranch_execz .LBB88_14
; %bb.28:                               ;   in Loop: Header=BB88_17 Depth=2
	ds_read_b128 v[24:27], v63 offset:1024
	ds_read_b128 v[12:15], v61 offset:1024
	ds_read_b128 v[8:11], v44 offset:1024
	s_branch .LBB88_14
.LBB88_29:                              ;   in Loop: Header=BB88_12 Depth=1
	v_cmp_le_u32_e32 vcc, s23, v42
	s_and_saveexec_b64 s[6:7], vcc
	s_xor_b64 s[6:7], exec, s[6:7]
; %bb.30:                               ;   in Loop: Header=BB88_12 Depth=1
	v_add_u32_e32 v42, s44, v42
                                        ; implicit-def: $vgpr60
                                        ; implicit-def: $vgpr59
                                        ; implicit-def: $vgpr58
                                        ; implicit-def: $vgpr57
                                        ; implicit-def: $vgpr43
                                        ; implicit-def: $vgpr56
; %bb.31:                               ;   in Loop: Header=BB88_12 Depth=1
	s_andn2_saveexec_b64 s[8:9], s[6:7]
	s_cbranch_execz .LBB88_11
; %bb.32:                               ;   in Loop: Header=BB88_12 Depth=1
	v_cvt_i32_f32_e32 v0, v60
	v_cvt_i32_f32_e32 v1, v59
	;; [unrolled: 1-line block ×4, first 2 shown]
	v_cvt_f32_i32_dpp v0, v0 row_shr:8 row_mask:0xf bank_mask:0xf bound_ctrl:1
	v_cvt_f32_i32_dpp v1, v1 row_shr:8 row_mask:0xf bank_mask:0xf bound_ctrl:1
	v_cvt_f32_i32_dpp v4, v4 row_shr:8 row_mask:0xf bank_mask:0xf bound_ctrl:1
	v_cvt_f32_i32_dpp v5, v5 row_shr:8 row_mask:0xf bank_mask:0xf bound_ctrl:1
	v_add_f32_e32 v0, v60, v0
	v_add_f32_e32 v1, v59, v1
	v_cvt_i32_f32_e32 v2, v0
	v_cvt_i32_f32_e32 v3, v1
	v_add_f32_e32 v4, v58, v4
	v_cvt_i32_f32_e32 v6, v4
	v_cvt_f32_i32_dpp v2, v2 row_shr:4 row_mask:0xf bank_mask:0xf bound_ctrl:1
	v_cvt_f32_i32_dpp v3, v3 row_shr:4 row_mask:0xf bank_mask:0xf bound_ctrl:1
	v_add_f32_e32 v5, v57, v5
	v_cvt_f32_i32_dpp v6, v6 row_shr:4 row_mask:0xf bank_mask:0xf bound_ctrl:1
	v_add_f32_e32 v0, v0, v2
	v_add_f32_e32 v1, v1, v3
	v_cvt_i32_f32_e32 v2, v0
	v_cvt_i32_f32_e32 v3, v1
	v_add_f32_e32 v4, v4, v6
	v_cvt_i32_f32_e32 v6, v4
	v_cvt_f32_i32_dpp v2, v2 row_shr:2 row_mask:0xf bank_mask:0xf bound_ctrl:1
	v_cvt_f32_i32_dpp v3, v3 row_shr:2 row_mask:0xf bank_mask:0xf bound_ctrl:1
	v_cvt_i32_f32_e32 v7, v5
	v_cvt_f32_i32_dpp v6, v6 row_shr:2 row_mask:0xf bank_mask:0xf bound_ctrl:1
	v_add_f32_e32 v0, v0, v2
	v_add_f32_e32 v1, v1, v3
	v_cvt_i32_f32_e32 v2, v0
	v_cvt_i32_f32_e32 v3, v1
	v_add_f32_e32 v8, v4, v6
	v_cvt_i32_f32_e32 v6, v8
	v_cvt_f32_i32_dpp v2, v2 row_shr:1 row_mask:0xf bank_mask:0xf bound_ctrl:1
	v_cvt_f32_i32_dpp v3, v3 row_shr:1 row_mask:0xf bank_mask:0xf bound_ctrl:1
	v_add_f32_e32 v0, v0, v2
	v_add_f32_e32 v1, v1, v3
	v_cvt_i32_f32_e32 v2, v0
	v_cvt_i32_f32_e32 v3, v1
	s_nop 0
	v_cvt_f32_i32_dpp v2, v2 row_bcast:15 row_mask:0xf bank_mask:0xf bound_ctrl:1
	v_cvt_f32_i32_dpp v3, v3 row_bcast:15 row_mask:0xf bank_mask:0xf bound_ctrl:1
	v_add_f32_e32 v4, v0, v2
	v_add_f32_e32 v0, v1, v3
	v_cvt_i32_f32_e32 v1, v4
	v_cvt_f32_i32_dpp v3, v7 row_shr:4 row_mask:0xf bank_mask:0xf bound_ctrl:1
	v_cvt_f32_i32_dpp v7, v6 row_shr:1 row_mask:0xf bank_mask:0xf bound_ctrl:1
	v_cvt_i32_f32_e32 v2, v0
	v_mov_b32_dpp v6, v1 row_bcast:31 row_mask:0xf bank_mask:0xf bound_ctrl:1
	v_cvt_i32_f32_e32 v1, v43
	v_add_f32_e32 v3, v5, v3
	v_cvt_i32_f32_e32 v5, v56
	v_cvt_i32_f32_e32 v9, v3
	v_cvt_f32_i32_dpp v1, v1 row_shr:8 row_mask:0xf bank_mask:0xf bound_ctrl:1
	v_add_f32_e32 v7, v8, v7
	v_cvt_f32_i32_dpp v5, v5 row_shr:8 row_mask:0xf bank_mask:0xf bound_ctrl:1
	v_cvt_f32_i32_dpp v8, v9 row_shr:2 row_mask:0xf bank_mask:0xf bound_ctrl:1
	v_add_f32_e32 v1, v43, v1
	v_cvt_i32_f32_e32 v9, v1
	v_add_f32_e32 v5, v56, v5
	v_cvt_i32_f32_e32 v10, v5
	v_add_f32_e32 v3, v3, v8
	v_cvt_f32_i32_dpp v9, v9 row_shr:4 row_mask:0xf bank_mask:0xf bound_ctrl:1
	v_cvt_i32_f32_e32 v11, v7
	v_cvt_f32_i32_dpp v8, v10 row_shr:4 row_mask:0xf bank_mask:0xf bound_ctrl:1
	v_cvt_i32_f32_e32 v10, v3
	v_add_f32_e32 v1, v1, v9
	v_cvt_i32_f32_e32 v9, v1
	v_add_f32_e32 v5, v5, v8
	v_cvt_i32_f32_e32 v8, v5
	v_cvt_f32_i32_dpp v10, v10 row_shr:1 row_mask:0xf bank_mask:0xf bound_ctrl:1
	v_cvt_f32_i32_dpp v9, v9 row_shr:2 row_mask:0xf bank_mask:0xf bound_ctrl:1
	v_cvt_f32_i32_dpp v11, v11 row_bcast:15 row_mask:0xf bank_mask:0xf bound_ctrl:1
	v_cvt_f32_i32_dpp v8, v8 row_shr:2 row_mask:0xf bank_mask:0xf bound_ctrl:1
	v_add_f32_e32 v3, v3, v10
	v_add_f32_e32 v1, v1, v9
	v_cvt_i32_f32_e32 v9, v1
	v_add_f32_e32 v5, v5, v8
	v_cvt_i32_f32_e32 v8, v5
	v_cvt_i32_f32_e32 v10, v3
	s_waitcnt vmcnt(0)
	v_cvt_f32_i32_dpp v12, v9 row_shr:1 row_mask:0xf bank_mask:0xf bound_ctrl:1
	v_add_f32_e32 v9, v7, v11
	v_cvt_f32_i32_dpp v7, v8 row_shr:1 row_mask:0xf bank_mask:0xf bound_ctrl:1
	v_cvt_f32_i32_dpp v8, v10 row_bcast:15 row_mask:0xf bank_mask:0xf bound_ctrl:1
	v_add_f32_e32 v1, v1, v12
	v_cvt_i32_f32_e32 v10, v1
	v_add_f32_e32 v7, v5, v7
	v_cvt_i32_f32_e32 v5, v7
	v_add_f32_e32 v8, v3, v8
	v_cvt_f32_i32_dpp v10, v10 row_bcast:15 row_mask:0xf bank_mask:0xf bound_ctrl:1
	v_cvt_i32_f32_e32 v11, v9
	v_cvt_f32_i32_dpp v3, v5 row_bcast:15 row_mask:0xf bank_mask:0xf bound_ctrl:1
	v_cvt_i32_f32_e32 v12, v8
	v_add_f32_e32 v5, v1, v10
	v_cvt_i32_f32_e32 v13, v5
	v_add_f32_e32 v1, v7, v3
	v_cvt_i32_f32_e32 v3, v1
	v_mov_b32_dpp v2, v2 row_bcast:31 row_mask:0xf bank_mask:0xf bound_ctrl:1
	v_mov_b32_dpp v11, v11 row_bcast:31 row_mask:0xf bank_mask:0xf bound_ctrl:1
	;; [unrolled: 1-line block ×5, first 2 shown]
	s_and_saveexec_b64 s[30:31], s[0:1]
	s_cbranch_execz .LBB88_42
; %bb.33:                               ;   in Loop: Header=BB88_12 Depth=1
	s_andn2_b64 vcc, exec, s[26:27]
	v_mov_b32_e32 v17, 0
	v_mov_b32_e32 v16, 0
	v_mov_b32_e32 v15, 0
	v_mov_b32_e32 v14, 0
	v_mov_b32_e32 v13, 0
	v_mov_b32_e32 v12, 0
	s_cbranch_vccnz .LBB88_35
; %bb.34:                               ;   in Loop: Header=BB88_12 Depth=1
	v_mul_hi_u32 v12, v42, v51
	v_mul_lo_u32 v12, v12, s12
	v_sub_u32_e32 v12, v42, v12
	v_subrev_u32_e32 v13, s12, v12
	v_cmp_le_u32_e32 vcc, s12, v12
	v_mov_b32_e32 v15, v45
	s_nop 0
	v_cndmask_b32_e32 v12, v12, v13, vcc
	v_subrev_u32_e32 v13, s12, v12
	v_cmp_le_u32_e32 vcc, s12, v12
	s_nop 1
	v_cndmask_b32_e32 v44, v12, v13, vcc
	v_add_u32_e32 v12, 1, v42
	v_mul_hi_u32 v13, v12, v51
	v_mul_lo_u32 v13, v13, s12
	v_sub_u32_e32 v12, v12, v13
	v_subrev_u32_e32 v13, s12, v12
	v_cmp_le_u32_e32 vcc, s12, v12
	v_lshl_add_u64 v[18:19], v[44:45], 1, s[18:19]
	v_add_u32_e32 v14, s45, v44
	v_cndmask_b32_e32 v12, v12, v13, vcc
	v_subrev_u32_e32 v13, s12, v12
	v_cmp_le_u32_e32 vcc, s12, v12
	v_add_u32_e32 v44, s46, v44
	v_lshl_add_u64 v[22:23], v[14:15], 1, s[18:19]
	v_cndmask_b32_e32 v12, v12, v13, vcc
	v_mov_b32_e32 v13, v45
	v_add_u32_e32 v14, s45, v12
	v_lshl_add_u64 v[26:27], v[44:45], 1, s[18:19]
	v_add_u32_e32 v44, s46, v12
	v_lshl_add_u64 v[20:21], v[12:13], 1, s[18:19]
	v_lshl_add_u64 v[24:25], v[14:15], 1, s[18:19]
	;; [unrolled: 1-line block ×3, first 2 shown]
	global_load_ushort v17, v[18:19], off
	global_load_ushort v16, v[20:21], off
	;; [unrolled: 1-line block ×6, first 2 shown]
.LBB88_35:                              ;   in Loop: Header=BB88_12 Depth=1
	v_cmp_ne_u32_e32 vcc, 0, v40
	s_and_saveexec_b64 s[6:7], vcc
	s_cbranch_execnz .LBB88_47
; %bb.36:                               ;   in Loop: Header=BB88_12 Depth=1
	s_or_b64 exec, exec, s[6:7]
	v_cmp_ne_u32_e64 s[6:7], 0, v41
	s_and_saveexec_b64 s[34:35], s[6:7]
	s_cbranch_execnz .LBB88_48
.LBB88_37:                              ;   in Loop: Header=BB88_12 Depth=1
	s_or_b64 exec, exec, s[34:35]
	v_add_u32_e32 v44, s23, v42
	s_and_saveexec_b64 s[34:35], vcc
	s_cbranch_execnz .LBB88_49
.LBB88_38:                              ;   in Loop: Header=BB88_12 Depth=1
	s_or_b64 exec, exec, s[34:35]
	s_and_saveexec_b64 s[34:35], s[6:7]
	s_cbranch_execnz .LBB88_50
.LBB88_39:                              ;   in Loop: Header=BB88_12 Depth=1
	s_or_b64 exec, exec, s[34:35]
	v_add_u32_e32 v44, s23, v44
	s_and_saveexec_b64 s[34:35], vcc
	s_cbranch_execnz .LBB88_51
.LBB88_40:                              ;   in Loop: Header=BB88_12 Depth=1
	s_or_b64 exec, exec, s[34:35]
	s_and_b64 exec, exec, s[6:7]
	s_cbranch_execz .LBB88_42
.LBB88_41:                              ;   in Loop: Header=BB88_12 Depth=1
	v_cvt_f32_i32_e32 v0, v3
	s_waitcnt vmcnt(0)
	v_cvt_f32_f16_e32 v2, v12
	v_add_u32_e32 v44, 1, v44
	v_add_f32_e32 v0, v1, v0
	v_add_f32_e32 v0, v0, v2
	v_cvt_f16_f32_e32 v2, v0
	v_lshl_add_u64 v[0:1], v[44:45], 1, s[10:11]
	global_store_short v[0:1], v2, off
.LBB88_42:                              ;   in Loop: Header=BB88_12 Depth=1
	s_or_b64 exec, exec, s[30:31]
	v_add_u32_e32 v42, s44, v42
	v_add_u32_e32 v0, 2, v42
	v_cmp_gt_u32_e32 vcc, s23, v42
	v_cmp_le_u32_e64 s[6:7], s23, v0
	s_and_b64 s[6:7], vcc, s[6:7]
	s_and_saveexec_b64 s[30:31], s[6:7]
	s_cbranch_execz .LBB88_10
; %bb.43:                               ;   in Loop: Header=BB88_12 Depth=1
	v_cmp_ne_u32_e32 vcc, s13, v42
	s_and_saveexec_b64 s[34:35], vcc
	s_cbranch_execz .LBB88_9
; %bb.44:                               ;   in Loop: Header=BB88_12 Depth=1
	v_subrev_u32_e32 v0, s13, v42
	v_cmp_lt_u32_e32 vcc, 1, v0
	s_mov_b64 s[36:37], 0
	s_mov_b64 s[38:39], 0
	v_cndmask_b32_e32 v0, 1, v0, vcc
.LBB88_45:                              ;   Parent Loop BB88_12 Depth=1
                                        ; =>  This Inner Loop Header: Depth=2
	s_cmp_lg_u32 s38, 1
	s_cselect_b64 vcc, -1, 0
	s_cmp_lg_u32 s38, 0
	v_cndmask_b32_e32 v41, 0, v41, vcc
	s_cselect_b64 vcc, -1, 0
	s_add_u32 s38, s38, 1
	s_addc_u32 s39, s39, 0
	v_cmp_eq_u32_e64 s[6:7], s38, v0
	s_or_b64 s[36:37], s[6:7], s[36:37]
	v_cndmask_b32_e32 v40, 0, v40, vcc
	s_andn2_b64 exec, exec, s[36:37]
	s_cbranch_execnz .LBB88_45
; %bb.46:                               ;   in Loop: Header=BB88_12 Depth=1
	s_or_b64 exec, exec, s[36:37]
	s_branch .LBB88_9
.LBB88_47:                              ;   in Loop: Header=BB88_12 Depth=1
	v_cvt_f32_i32_e32 v6, v6
	s_waitcnt vmcnt(5)
	v_cvt_f32_f16_e32 v17, v17
	v_mov_b32_e32 v43, v45
	v_lshl_add_u64 v[18:19], v[42:43], 1, s[10:11]
	v_add_f32_e32 v4, v4, v6
	v_add_f32_e32 v4, v4, v17
	v_cvt_f16_f32_e32 v4, v4
	global_store_short v[18:19], v4, off
	s_or_b64 exec, exec, s[6:7]
	v_cmp_ne_u32_e64 s[6:7], 0, v41
	s_and_saveexec_b64 s[34:35], s[6:7]
	s_cbranch_execz .LBB88_37
.LBB88_48:                              ;   in Loop: Header=BB88_12 Depth=1
	v_cvt_f32_i32_e32 v2, v2
	s_waitcnt vmcnt(4)
	v_cvt_f32_f16_e32 v4, v16
	v_mov_b32_e32 v43, v45
	v_lshl_add_u64 v[16:17], v[42:43], 1, s[28:29]
	v_add_f32_e32 v0, v0, v2
	v_add_f32_e32 v0, v0, v4
	v_cvt_f16_f32_e32 v0, v0
	global_store_short v[16:17], v0, off
	s_or_b64 exec, exec, s[34:35]
	v_add_u32_e32 v44, s23, v42
	s_and_saveexec_b64 s[34:35], vcc
	s_cbranch_execz .LBB88_38
.LBB88_49:                              ;   in Loop: Header=BB88_12 Depth=1
	v_cvt_f32_i32_e32 v0, v11
	s_waitcnt vmcnt(3)
	v_cvt_f32_f16_e32 v2, v15
	v_lshl_add_u64 v[16:17], v[44:45], 1, s[10:11]
	v_add_f32_e32 v0, v9, v0
	v_add_f32_e32 v0, v0, v2
	v_cvt_f16_f32_e32 v0, v0
	global_store_short v[16:17], v0, off
	s_or_b64 exec, exec, s[34:35]
	s_and_saveexec_b64 s[34:35], s[6:7]
	s_cbranch_execz .LBB88_39
.LBB88_50:                              ;   in Loop: Header=BB88_12 Depth=1
	v_cvt_f32_i32_e32 v0, v10
	s_waitcnt vmcnt(2)
	v_cvt_f32_f16_e32 v2, v14
	v_mov_b32_e32 v9, v45
	v_add_f32_e32 v0, v8, v0
	v_add_f32_e32 v0, v0, v2
	v_cvt_f16_f32_e32 v0, v0
	v_add_u32_e32 v8, 1, v44
	v_lshl_add_u64 v[8:9], v[8:9], 1, s[10:11]
	global_store_short v[8:9], v0, off
	s_or_b64 exec, exec, s[34:35]
	v_add_u32_e32 v44, s23, v44
	s_and_saveexec_b64 s[34:35], vcc
	s_cbranch_execz .LBB88_40
.LBB88_51:                              ;   in Loop: Header=BB88_12 Depth=1
	v_cvt_f32_i32_e32 v0, v7
	s_waitcnt vmcnt(1)
	v_cvt_f32_f16_e32 v2, v13
	v_add_f32_e32 v0, v5, v0
	v_add_f32_e32 v0, v0, v2
	v_cvt_f16_f32_e32 v0, v0
	v_lshl_add_u64 v[4:5], v[44:45], 1, s[10:11]
	global_store_short v[4:5], v0, off
	s_or_b64 exec, exec, s[34:35]
	s_and_b64 exec, exec, s[6:7]
	s_cbranch_execnz .LBB88_41
	s_branch .LBB88_42
.LBB88_52:
	s_endpgm
	.section	.rodata,"a",@progbits
	.p2align	6, 0x0
	.amdhsa_kernel _Z16wvSplitK_hf_big_I6__halfLi64ELi2ELi16ELi8ELi2ELi3EEviiiiiiPKT_S3_S3_PS1_ii
		.amdhsa_group_segment_fixed_size 65536
		.amdhsa_private_segment_fixed_size 0
		.amdhsa_kernarg_size 64
		.amdhsa_user_sgpr_count 2
		.amdhsa_user_sgpr_dispatch_ptr 0
		.amdhsa_user_sgpr_queue_ptr 0
		.amdhsa_user_sgpr_kernarg_segment_ptr 1
		.amdhsa_user_sgpr_dispatch_id 0
		.amdhsa_user_sgpr_kernarg_preload_length 0
		.amdhsa_user_sgpr_kernarg_preload_offset 0
		.amdhsa_user_sgpr_private_segment_size 0
		.amdhsa_uses_dynamic_stack 0
		.amdhsa_enable_private_segment 0
		.amdhsa_system_sgpr_workgroup_id_x 1
		.amdhsa_system_sgpr_workgroup_id_y 0
		.amdhsa_system_sgpr_workgroup_id_z 0
		.amdhsa_system_sgpr_workgroup_info 0
		.amdhsa_system_vgpr_workitem_id 1
		.amdhsa_next_free_vgpr 64
		.amdhsa_next_free_sgpr 52
		.amdhsa_accum_offset 64
		.amdhsa_reserve_vcc 1
		.amdhsa_float_round_mode_32 0
		.amdhsa_float_round_mode_16_64 0
		.amdhsa_float_denorm_mode_32 3
		.amdhsa_float_denorm_mode_16_64 3
		.amdhsa_dx10_clamp 1
		.amdhsa_ieee_mode 1
		.amdhsa_fp16_overflow 0
		.amdhsa_tg_split 0
		.amdhsa_exception_fp_ieee_invalid_op 0
		.amdhsa_exception_fp_denorm_src 0
		.amdhsa_exception_fp_ieee_div_zero 0
		.amdhsa_exception_fp_ieee_overflow 0
		.amdhsa_exception_fp_ieee_underflow 0
		.amdhsa_exception_fp_ieee_inexact 0
		.amdhsa_exception_int_div_zero 0
	.end_amdhsa_kernel
	.section	.text._Z16wvSplitK_hf_big_I6__halfLi64ELi2ELi16ELi8ELi2ELi3EEviiiiiiPKT_S3_S3_PS1_ii,"axG",@progbits,_Z16wvSplitK_hf_big_I6__halfLi64ELi2ELi16ELi8ELi2ELi3EEviiiiiiPKT_S3_S3_PS1_ii,comdat
.Lfunc_end88:
	.size	_Z16wvSplitK_hf_big_I6__halfLi64ELi2ELi16ELi8ELi2ELi3EEviiiiiiPKT_S3_S3_PS1_ii, .Lfunc_end88-_Z16wvSplitK_hf_big_I6__halfLi64ELi2ELi16ELi8ELi2ELi3EEviiiiiiPKT_S3_S3_PS1_ii
                                        ; -- End function
	.section	.AMDGPU.csdata,"",@progbits
; Kernel info:
; codeLenInByte = 3356
; NumSgprs: 58
; NumVgprs: 64
; NumAgprs: 0
; TotalNumVgprs: 64
; ScratchSize: 0
; MemoryBound: 0
; FloatMode: 240
; IeeeMode: 1
; LDSByteSize: 65536 bytes/workgroup (compile time only)
; SGPRBlocks: 7
; VGPRBlocks: 7
; NumSGPRsForWavesPerEU: 58
; NumVGPRsForWavesPerEU: 64
; AccumOffset: 64
; Occupancy: 4
; WaveLimiterHint : 0
; COMPUTE_PGM_RSRC2:SCRATCH_EN: 0
; COMPUTE_PGM_RSRC2:USER_SGPR: 2
; COMPUTE_PGM_RSRC2:TRAP_HANDLER: 0
; COMPUTE_PGM_RSRC2:TGID_X_EN: 1
; COMPUTE_PGM_RSRC2:TGID_Y_EN: 0
; COMPUTE_PGM_RSRC2:TGID_Z_EN: 0
; COMPUTE_PGM_RSRC2:TIDIG_COMP_CNT: 1
; COMPUTE_PGM_RSRC3_GFX90A:ACCUM_OFFSET: 15
; COMPUTE_PGM_RSRC3_GFX90A:TG_SPLIT: 0
	.section	.text._Z16wvSplitK_hf_sml_I6__halfLi64ELi3ELi16ELi8ELi2ELi3EEviiiiiiPKT_S3_S3_PS1_ii,"axG",@progbits,_Z16wvSplitK_hf_sml_I6__halfLi64ELi3ELi16ELi8ELi2ELi3EEviiiiiiPKT_S3_S3_PS1_ii,comdat
	.protected	_Z16wvSplitK_hf_sml_I6__halfLi64ELi3ELi16ELi8ELi2ELi3EEviiiiiiPKT_S3_S3_PS1_ii ; -- Begin function _Z16wvSplitK_hf_sml_I6__halfLi64ELi3ELi16ELi8ELi2ELi3EEviiiiiiPKT_S3_S3_PS1_ii
	.globl	_Z16wvSplitK_hf_sml_I6__halfLi64ELi3ELi16ELi8ELi2ELi3EEviiiiiiPKT_S3_S3_PS1_ii
	.p2align	8
	.type	_Z16wvSplitK_hf_sml_I6__halfLi64ELi3ELi16ELi8ELi2ELi3EEviiiiiiPKT_S3_S3_PS1_ii,@function
_Z16wvSplitK_hf_sml_I6__halfLi64ELi3ELi16ELi8ELi2ELi3EEviiiiiiPKT_S3_S3_PS1_ii: ; @_Z16wvSplitK_hf_sml_I6__halfLi64ELi3ELi16ELi8ELi2ELi3EEviiiiiiPKT_S3_S3_PS1_ii
; %bb.0:
	s_load_dwordx4 s[4:7], s[0:1], 0x0
	s_load_dwordx2 s[8:9], s[0:1], 0x10
	s_load_dwordx2 s[10:11], s[0:1], 0x28
	v_and_b32_e32 v2, 0x3ff, v0
	v_bfe_u32 v3, v0, 10, 10
	v_lshlrev_b32_e32 v62, 3, v2
	s_waitcnt lgkmcnt(0)
	s_mul_i32 s3, s6, 3
	v_lshl_add_u32 v4, v3, 9, v62
	s_min_u32 s3, s3, 0x8000
	v_cmp_gt_u32_e32 vcc, s3, v4
	s_and_saveexec_b64 s[12:13], vcc
	s_cbranch_execz .LBB89_3
; %bb.1:
	s_load_dwordx2 s[14:15], s[0:1], 0x20
	v_mov_b32_e32 v7, 0
	v_lshlrev_b32_e32 v6, 10, v3
	v_lshlrev_b32_e32 v8, 4, v2
	v_mov_b32_e32 v9, v7
	v_lshl_add_u64 v[0:1], v[6:7], 0, v[8:9]
	s_waitcnt lgkmcnt(0)
	v_lshl_add_u64 v[0:1], s[14:15], 0, v[0:1]
	v_add_u32_e32 v5, v6, v8
	s_mov_b64 s[14:15], 0
	s_mov_b64 s[16:17], 0x4000
.LBB89_2:                               ; =>This Inner Loop Header: Depth=1
	global_load_dwordx4 v[6:9], v[0:1], off
	v_add_u32_e32 v4, 0x2000, v4
	v_cmp_le_u32_e32 vcc, s3, v4
	v_lshl_add_u64 v[0:1], v[0:1], 0, s[16:17]
	s_or_b64 s[14:15], vcc, s[14:15]
	s_waitcnt vmcnt(0)
	ds_write_b128 v5, v[6:9]
	v_add_u32_e32 v5, 0x4000, v5
	s_andn2_b64 exec, exec, s[14:15]
	s_cbranch_execnz .LBB89_2
.LBB89_3:
	s_or_b64 exec, exec, s[12:13]
	s_load_dwordx2 s[16:17], s[0:1], 0x38
	s_waitcnt lgkmcnt(0)
	s_barrier
	v_cmp_gt_u32_e32 vcc, s16, v3
	s_and_saveexec_b64 s[12:13], vcc
	s_cbranch_execz .LBB89_20
; %bb.4:
	s_mul_i32 s2, s2, s16
	v_add_u32_e32 v0, s2, v3
	v_lshl_add_u32 v40, v0, 1, v0
	v_cmp_gt_u32_e32 vcc, s7, v40
	s_and_b64 exec, exec, vcc
	s_cbranch_execz .LBB89_20
; %bb.5:
	s_cmp_lg_u32 s4, 0
	s_cselect_b64 s[2:3], -1, 0
	s_add_i32 s24, s4, -8
	s_add_i32 s25, s7, -1
	s_cmp_lg_u64 s[10:11], 0
	s_mul_i32 s20, s16, s17
	s_cselect_b64 s[16:17], -1, 0
	s_abs_i32 s21, s9
	v_cvt_f32_u32_e32 v0, s8
	v_cvt_f32_u32_e32 v1, s21
	s_mul_i32 s9, s20, 3
	s_sub_i32 s20, 0, s8
	v_rcp_iflag_f32_e32 v0, v0
	v_rcp_iflag_f32_e32 v1, v1
	s_load_dwordx2 s[12:13], s[0:1], 0x18
	s_load_dwordx2 s[14:15], s[0:1], 0x30
	v_cmp_eq_u32_e64 s[0:1], 63, v2
	v_mul_f32_e32 v0, 0x4f7ffffe, v0
	v_mul_f32_e32 v1, 0x4f7ffffe, v1
	v_cvt_u32_f32_e32 v0, v0
	v_cvt_u32_f32_e32 v1, v1
	s_mov_b64 s[18:19], 0
	v_lshlrev_b32_e32 v64, 4, v2
	v_mul_lo_u32 v3, s20, v0
	s_sub_i32 s20, 0, s21
	v_readfirstlane_b32 s22, v1
	s_mul_i32 s20, s20, s22
	s_mul_hi_u32 s20, s22, s20
	s_add_i32 s22, s22, s20
	s_sub_i32 s20, 1, s21
	s_cmp_lt_u32 s21, 2
	s_cselect_b32 s20, s20, 1
	s_sub_i32 s23, s20, s21
	s_cmp_ge_u32 s20, s21
	s_cselect_b32 s26, s23, s20
	s_lshr_b32 s20, s22, 31
	s_mul_i32 s20, s20, s21
	s_sub_i32 s20, 2, s20
	s_sub_i32 s22, s20, s21
	s_cmp_ge_u32 s20, s21
	s_cselect_b32 s20, s22, s20
	s_sub_i32 s22, s20, s21
	v_mul_hi_u32 v3, v0, v3
	s_cmp_ge_u32 s20, s21
	v_add_u32_e32 v63, v0, v3
	s_cselect_b32 s27, s22, s20
	v_cndmask_b32_e64 v0, 0, 1, s[2:3]
	s_mul_i32 s26, s26, s8
	s_mul_i32 s27, s27, s8
	s_lshl_b32 s28, s6, 2
	s_lshl_b32 s6, s6, 1
	v_cmp_ne_u32_e64 s[2:3], 1, v0
	v_mov_b32_e32 v43, 0
	s_branch .LBB89_8
.LBB89_6:                               ;   in Loop: Header=BB89_8 Depth=1
	v_cvt_f32_i32_e32 v2, v2
	v_cvt_f32_i32_e32 v4, v4
	;; [unrolled: 1-line block ×3, first 2 shown]
	v_add_u32_e32 v42, s7, v40
	v_add_f32_e32 v0, v0, v2
	v_add_f32_e32 v2, v1, v4
	v_cvt_f32_i32_e32 v1, v8
	s_waitcnt vmcnt(8)
	v_cvt_f32_f16_e32 v8, v26
	v_cvt_f32_i32_e32 v4, v9
	v_add_f32_e32 v3, v3, v6
	v_add_f32_e32 v5, v5, v1
	v_cvt_f32_i32_e32 v1, v16
	v_cvt_f32_i32_e32 v6, v17
	v_add_f32_e32 v0, v0, v8
	v_cvt_f16_f32_e32 v8, v0
	v_add_f32_e32 v9, v11, v1
	v_cvt_f32_i32_e32 v1, v14
	v_add_f32_e32 v6, v10, v6
	s_waitcnt vmcnt(7)
	v_cvt_f32_f16_e32 v11, v25
	v_add_f32_e32 v4, v7, v4
	v_add_f32_e32 v10, v12, v1
	s_waitcnt lgkmcnt(0)
	v_lshl_add_u64 v[0:1], v[40:41], 1, s[14:15]
	global_store_short v[0:1], v8, off
	s_waitcnt vmcnt(7)
	v_cvt_f32_f16_e32 v8, v24
	v_add_f32_e32 v0, v2, v11
	v_cvt_f16_f32_e32 v2, v0
	v_lshl_add_u64 v[0:1], v[46:47], 1, s[14:15]
	v_add_f32_e32 v3, v3, v8
	v_cvt_f16_f32_e32 v3, v3
	s_waitcnt vmcnt(6)
	v_cvt_f32_f16_e32 v8, v23
	global_store_short v[0:1], v2, off
	v_lshl_add_u64 v[0:1], v[44:45], 1, s[14:15]
	global_store_short v[0:1], v3, off
	v_add_f32_e32 v0, v5, v8
	v_cvt_f16_f32_e32 v2, v0
	s_waitcnt vmcnt(7)
	v_cvt_f32_f16_e32 v3, v22
	v_lshl_add_u64 v[0:1], v[42:43], 1, s[14:15]
	v_cvt_f32_i32_e32 v7, v15
	global_store_short v[0:1], v2, off
	v_add_f32_e32 v0, v4, v3
	v_cvt_f16_f32_e32 v2, v0
	s_waitcnt vmcnt(7)
	v_cvt_f32_f16_e32 v3, v21
	v_add_u32_e32 v0, 1, v42
	v_mov_b32_e32 v1, v43
	v_lshl_add_u64 v[0:1], v[0:1], 1, s[14:15]
	global_store_short v[0:1], v2, off
	v_add_f32_e32 v0, v6, v3
	v_cvt_f16_f32_e32 v2, v0
	s_waitcnt vmcnt(7)
	v_cvt_f32_f16_e32 v3, v20
	v_add_u32_e32 v0, 2, v42
	v_mov_b32_e32 v1, v43
	v_lshl_add_u64 v[0:1], v[0:1], 1, s[14:15]
	global_store_short v[0:1], v2, off
	v_add_f32_e32 v0, v9, v3
	v_cvt_f16_f32_e32 v2, v0
	s_waitcnt vmcnt(7)
	v_cvt_f32_f16_e32 v3, v18
	v_add_u32_e32 v42, s7, v42
	v_add_f32_e32 v7, v13, v7
	v_lshl_add_u64 v[0:1], v[42:43], 1, s[14:15]
	global_store_short v[0:1], v2, off
	v_add_f32_e32 v0, v7, v3
	s_waitcnt vmcnt(7)
	v_cvt_f32_f16_e32 v3, v19
	v_cvt_f16_f32_e32 v2, v0
	v_add_u32_e32 v0, 1, v42
	v_mov_b32_e32 v1, v43
	v_add_f32_e32 v3, v10, v3
	v_cvt_f16_f32_e32 v3, v3
	v_lshl_add_u64 v[0:1], v[0:1], 1, s[14:15]
	v_add_u32_e32 v42, 2, v42
	global_store_short v[0:1], v2, off
	v_lshl_add_u64 v[0:1], v[42:43], 1, s[14:15]
	global_store_short v[0:1], v3, off
.LBB89_7:                               ;   in Loop: Header=BB89_8 Depth=1
	s_or_b64 exec, exec, s[20:21]
	v_add_u32_e32 v40, s9, v40
	v_cmp_le_u32_e32 vcc, s7, v40
	s_or_b64 s[18:19], vcc, s[18:19]
	s_andn2_b64 exec, exec, s[18:19]
	s_cbranch_execz .LBB89_20
.LBB89_8:                               ; =>This Loop Header: Depth=1
                                        ;     Child Loop BB89_12 Depth 2
	s_mov_b32 s29, 0
	s_and_b64 vcc, exec, s[2:3]
	v_add_u32_e32 v46, 1, v40
	v_add_u32_e32 v44, 2, v40
	v_mov_b32_e32 v70, v43
	v_mov_b32_e32 v69, v43
	;; [unrolled: 1-line block ×9, first 2 shown]
	s_cbranch_vccnz .LBB89_15
; %bb.9:                                ;   in Loop: Header=BB89_8 Depth=1
	v_min_u32_e32 v0, s25, v40
	v_mul_lo_u32 v42, v0, s5
	v_min_u32_e32 v0, s25, v46
	v_min_u32_e32 v2, s25, v44
	v_mul_lo_u32 v0, v0, s5
	v_mov_b32_e32 v1, v43
	v_mul_lo_u32 v2, v2, s5
	v_mov_b32_e32 v3, v43
	v_mov_b32_e32 v47, 0
	v_lshlrev_b64 v[48:49], 1, v[42:43]
	v_lshlrev_b64 v[50:51], 1, v[0:1]
	;; [unrolled: 1-line block ×3, first 2 shown]
	v_mov_b32_e32 v71, v64
	v_mov_b32_e32 v45, 0
	;; [unrolled: 1-line block ×9, first 2 shown]
	s_branch .LBB89_12
.LBB89_10:                              ;   in Loop: Header=BB89_12 Depth=2
	s_or_b64 exec, exec, s[22:23]
.LBB89_11:                              ;   in Loop: Header=BB89_12 Depth=2
	s_or_b64 exec, exec, s[20:21]
	s_waitcnt vmcnt(5) lgkmcnt(1)
	;;#ASMSTART
	v_dot2c_f32_f16 v70, v36, v24
	;;#ASMEND
	s_waitcnt vmcnt(4)
	;;#ASMSTART
	v_dot2c_f32_f16 v69, v36, v16
	;;#ASMEND
	s_waitcnt vmcnt(3)
	;;#ASMSTART
	v_dot2c_f32_f16 v68, v36, v20
	;;#ASMEND
	;;#ASMSTART
	v_dot2c_f32_f16 v67, v32, v24
	;;#ASMEND
	;; [unrolled: 3-line block ×9, first 2 shown]
	s_nop 0
	;;#ASMSTART
	v_dot2c_f32_f16 v68, v37, v21
	;;#ASMEND
	;;#ASMSTART
	v_dot2c_f32_f16 v67, v33, v25
	;;#ASMEND
	;; [unrolled: 3-line block ×9, first 2 shown]
	s_nop 0
	;;#ASMSTART
	v_dot2c_f32_f16 v68, v38, v22
	;;#ASMEND
	;;#ASMSTART
	v_dot2c_f32_f16 v67, v34, v26
	;;#ASMEND
	;; [unrolled: 3-line block ×4, first 2 shown]
	s_waitcnt lgkmcnt(0)
	;;#ASMSTART
	v_dot2c_f32_f16 v47, v60, v26
	;;#ASMEND
	;;#ASMSTART
	v_dot2c_f32_f16 v45, v60, v18
	;;#ASMEND
	;; [unrolled: 3-line block ×9, first 2 shown]
	s_nop 0
	;;#ASMSTART
	v_dot2c_f32_f16 v47, v61, v27
	;;#ASMEND
	;;#ASMSTART
	v_dot2c_f32_f16 v45, v61, v19
	;;#ASMEND
	;; [unrolled: 3-line block ×3, first 2 shown]
	s_waitcnt vmcnt(2)
	;;#ASMSTART
	v_dot2c_f32_f16 v70, v28, v8
	;;#ASMEND
	s_waitcnt vmcnt(1)
	;;#ASMSTART
	v_dot2c_f32_f16 v69, v28, v4
	;;#ASMEND
	;; [unrolled: 4-line block ×3, first 2 shown]
	;;#ASMSTART
	v_dot2c_f32_f16 v67, v12, v8
	;;#ASMEND
	;;#ASMSTART
	v_dot2c_f32_f16 v66, v12, v4
	;;#ASMEND
	;; [unrolled: 3-line block ×8, first 2 shown]
	s_nop 0
	;;#ASMSTART
	v_dot2c_f32_f16 v68, v29, v1
	;;#ASMEND
	;;#ASMSTART
	v_dot2c_f32_f16 v67, v13, v9
	;;#ASMEND
	;; [unrolled: 3-line block ×7, first 2 shown]
	s_addk_i32 s29, 0x400
	;;#ASMSTART
	v_dot2c_f32_f16 v70, v30, v10
	;;#ASMEND
	;;#ASMSTART
	v_dot2c_f32_f16 v69, v30, v6
	;;#ASMEND
	;; [unrolled: 3-line block ×9, first 2 shown]
	s_cmp_ge_u32 s29, s4
	v_add_u32_e32 v71, 0x800, v71
	;;#ASMSTART
	v_dot2c_f32_f16 v70, v31, v11
	;;#ASMEND
	;;#ASMSTART
	v_dot2c_f32_f16 v69, v31, v7
	;;#ASMEND
	;;#ASMSTART
	v_dot2c_f32_f16 v68, v31, v3
	;;#ASMEND
	;;#ASMSTART
	v_dot2c_f32_f16 v67, v15, v11
	;;#ASMEND
	;;#ASMSTART
	v_dot2c_f32_f16 v66, v15, v7
	;;#ASMEND
	;;#ASMSTART
	v_dot2c_f32_f16 v65, v15, v3
	;;#ASMEND
	;;#ASMSTART
	v_dot2c_f32_f16 v47, v55, v11
	;;#ASMEND
	;;#ASMSTART
	v_dot2c_f32_f16 v45, v55, v7
	;;#ASMEND
	;;#ASMSTART
	v_dot2c_f32_f16 v41, v55, v3
	;;#ASMEND
	s_cbranch_scc1 .LBB89_15
.LBB89_12:                              ;   Parent Loop BB89_8 Depth=1
                                        ; =>  This Inner Loop Header: Depth=2
	v_add_u32_e32 v28, s29, v62
	v_min_u32_e32 v42, s24, v28
	s_waitcnt lgkmcnt(0)
	v_lshl_add_u64 v[0:1], v[42:43], 1, s[12:13]
	v_add_u32_e32 v72, 0x200, v28
	v_lshl_add_u64 v[2:3], v[0:1], 0, v[48:49]
	v_min_u32_e32 v42, s24, v72
	v_lshl_add_u64 v[4:5], v[0:1], 0, v[50:51]
	global_load_dwordx4 v[24:27], v[2:3], off nt
	global_load_dwordx4 v[16:19], v[4:5], off nt
	v_lshl_add_u64 v[2:3], v[42:43], 1, s[12:13]
	v_lshl_add_u64 v[0:1], v[0:1], 0, v[52:53]
	;; [unrolled: 1-line block ×4, first 2 shown]
	global_load_dwordx4 v[20:23], v[0:1], off nt
	global_load_dwordx4 v[8:11], v[4:5], off nt
	v_lshl_add_u64 v[14:15], v[2:3], 0, v[52:53]
	global_load_dwordx4 v[4:7], v[12:13], off nt
	global_load_dwordx4 v[0:3], v[14:15], off nt
	v_cmp_gt_u32_e32 vcc, s4, v28
	v_mov_b32_e32 v36, 0
	v_mov_b32_e32 v37, 0
	;; [unrolled: 1-line block ×24, first 2 shown]
	s_and_saveexec_b64 s[20:21], vcc
	s_cbranch_execz .LBB89_11
; %bb.13:                               ;   in Loop: Header=BB89_12 Depth=2
	v_add_u32_e32 v42, s6, v71
	v_add_u32_e32 v73, s28, v71
	ds_read_b128 v[32:35], v42
	ds_read2_b32 v[58:59], v73 offset1:1
	ds_read_b128 v[36:39], v71
	ds_read2_b32 v[60:61], v73 offset0:2 offset1:3
	v_cmp_gt_u32_e32 vcc, s4, v72
	v_mov_b32_e32 v55, 0
	v_mov_b32_e32 v54, 0
	;; [unrolled: 1-line block ×12, first 2 shown]
	s_and_saveexec_b64 s[22:23], vcc
	s_cbranch_execz .LBB89_10
; %bb.14:                               ;   in Loop: Header=BB89_12 Depth=2
	v_add_u32_e32 v28, 0x400, v73
	ds_read_b128 v[12:15], v42 offset:1024
	ds_read2_b32 v[56:57], v28 offset1:1
	v_add_u32_e32 v42, 0x408, v73
	ds_read_b128 v[28:31], v71 offset:1024
	ds_read2_b32 v[54:55], v42 offset1:1
	s_branch .LBB89_10
.LBB89_15:                              ;   in Loop: Header=BB89_8 Depth=1
	; sched_barrier mask(0x00000000)
	v_cvt_i32_f32_e32 v0, v70
	v_cvt_i32_f32_e32 v1, v69
	;; [unrolled: 1-line block ×4, first 2 shown]
	v_cvt_f32_i32_dpp v0, v0 row_shr:8 row_mask:0xf bank_mask:0xf bound_ctrl:1
	v_cvt_f32_i32_dpp v1, v1 row_shr:8 row_mask:0xf bank_mask:0xf bound_ctrl:1
	;; [unrolled: 1-line block ×4, first 2 shown]
	v_add_f32_e32 v0, v70, v0
	v_cvt_i32_f32_e32 v5, v0
	v_add_f32_e32 v1, v69, v1
	v_cvt_i32_f32_e32 v6, v1
	v_add_f32_e32 v2, v68, v2
	v_cvt_f32_i32_dpp v5, v5 row_shr:4 row_mask:0xf bank_mask:0xf bound_ctrl:1
	v_cvt_i32_f32_e32 v7, v2
	v_cvt_f32_i32_dpp v6, v6 row_shr:4 row_mask:0xf bank_mask:0xf bound_ctrl:1
	v_add_f32_e32 v3, v67, v3
	v_add_f32_e32 v0, v0, v5
	v_cvt_i32_f32_e32 v5, v0
	v_add_f32_e32 v1, v1, v6
	v_cvt_i32_f32_e32 v6, v1
	v_cvt_f32_i32_dpp v7, v7 row_shr:4 row_mask:0xf bank_mask:0xf bound_ctrl:1
	v_cvt_f32_i32_dpp v5, v5 row_shr:2 row_mask:0xf bank_mask:0xf bound_ctrl:1
	v_cvt_i32_f32_e32 v4, v66
	v_cvt_f32_i32_dpp v6, v6 row_shr:2 row_mask:0xf bank_mask:0xf bound_ctrl:1
	v_add_f32_e32 v2, v2, v7
	v_add_f32_e32 v0, v0, v5
	v_cvt_i32_f32_e32 v5, v0
	v_add_f32_e32 v1, v1, v6
	v_cvt_i32_f32_e32 v6, v1
	v_cvt_i32_f32_e32 v7, v2
	v_cvt_f32_i32_dpp v5, v5 row_shr:1 row_mask:0xf bank_mask:0xf bound_ctrl:1
	v_cvt_i32_f32_e32 v8, v3
	v_cvt_f32_i32_dpp v6, v6 row_shr:1 row_mask:0xf bank_mask:0xf bound_ctrl:1
	v_cvt_f32_i32_dpp v7, v7 row_shr:2 row_mask:0xf bank_mask:0xf bound_ctrl:1
	v_add_f32_e32 v0, v0, v5
	v_cvt_i32_f32_e32 v5, v0
	v_add_f32_e32 v1, v1, v6
	v_cvt_i32_f32_e32 v6, v1
	v_cvt_f32_i32_dpp v4, v4 row_shr:8 row_mask:0xf bank_mask:0xf bound_ctrl:1
	v_cvt_f32_i32_dpp v5, v5 row_bcast:15 row_mask:0xf bank_mask:0xf bound_ctrl:1
	v_add_f32_e32 v7, v2, v7
	v_cvt_f32_i32_dpp v8, v8 row_shr:4 row_mask:0xf bank_mask:0xf bound_ctrl:1
	v_cvt_i32_f32_e32 v2, v7
	v_add_f32_e32 v0, v0, v5
	v_cvt_f32_i32_dpp v6, v6 row_bcast:15 row_mask:0xf bank_mask:0xf bound_ctrl:1
	v_cvt_i32_f32_e32 v5, v0
	v_add_f32_e32 v3, v3, v8
	v_add_f32_e32 v4, v66, v4
	v_cvt_f32_i32_dpp v9, v2 row_shr:1 row_mask:0xf bank_mask:0xf bound_ctrl:1
	v_add_f32_e32 v1, v1, v6
	v_mov_b32_dpp v2, v5 row_bcast:31 row_mask:0xf bank_mask:0xf bound_ctrl:1
	v_cvt_i32_f32_e32 v5, v3
	v_cvt_i32_f32_e32 v6, v4
	v_add_f32_e32 v7, v7, v9
	v_cvt_i32_f32_e32 v9, v7
	v_cvt_f32_i32_dpp v5, v5 row_shr:2 row_mask:0xf bank_mask:0xf bound_ctrl:1
	v_cvt_f32_i32_dpp v6, v6 row_shr:4 row_mask:0xf bank_mask:0xf bound_ctrl:1
	v_cvt_i32_f32_e32 v8, v1
	v_cvt_f32_i32_dpp v9, v9 row_bcast:15 row_mask:0xf bank_mask:0xf bound_ctrl:1
	v_add_f32_e32 v5, v3, v5
	v_add_f32_e32 v6, v4, v6
	v_cvt_i32_f32_e32 v3, v5
	v_cvt_i32_f32_e32 v10, v6
	v_mov_b32_dpp v4, v8 row_bcast:31 row_mask:0xf bank_mask:0xf bound_ctrl:1
	v_cvt_f32_i32_dpp v11, v3 row_shr:1 row_mask:0xf bank_mask:0xf bound_ctrl:1
	v_cvt_f32_i32_dpp v8, v10 row_shr:2 row_mask:0xf bank_mask:0xf bound_ctrl:1
	v_add_f32_e32 v3, v7, v9
	v_cvt_i32_f32_e32 v7, v65
	v_add_f32_e32 v5, v5, v11
	v_add_f32_e32 v6, v6, v8
	v_cvt_i32_f32_e32 v8, v6
	v_cvt_f32_i32_dpp v7, v7 row_shr:8 row_mask:0xf bank_mask:0xf bound_ctrl:1
	v_cvt_i32_f32_e32 v10, v3
	v_cvt_i32_f32_e32 v9, v5
	v_cvt_f32_i32_dpp v8, v8 row_shr:1 row_mask:0xf bank_mask:0xf bound_ctrl:1
	v_add_f32_e32 v7, v65, v7
	v_cvt_i32_f32_e32 v11, v7
	v_cvt_f32_i32_dpp v9, v9 row_bcast:15 row_mask:0xf bank_mask:0xf bound_ctrl:1
	v_add_f32_e32 v8, v6, v8
	v_mov_b32_dpp v6, v10 row_bcast:31 row_mask:0xf bank_mask:0xf bound_ctrl:1
	v_cvt_f32_i32_dpp v10, v11 row_shr:4 row_mask:0xf bank_mask:0xf bound_ctrl:1
	v_cvt_i32_f32_e32 v12, v8
	v_cvt_i32_f32_e32 v11, v47
	v_add_f32_e32 v5, v5, v9
	v_add_f32_e32 v10, v7, v10
	v_cvt_f32_i32_dpp v9, v12 row_bcast:15 row_mask:0xf bank_mask:0xf bound_ctrl:1
	v_cvt_i32_f32_e32 v12, v10
	v_cvt_f32_i32_dpp v11, v11 row_shr:8 row_mask:0xf bank_mask:0xf bound_ctrl:1
	v_cvt_i32_f32_e32 v13, v5
	v_add_f32_e32 v7, v8, v9
	v_cvt_f32_i32_dpp v8, v12 row_shr:2 row_mask:0xf bank_mask:0xf bound_ctrl:1
	v_add_f32_e32 v11, v47, v11
	v_cvt_i32_f32_e32 v12, v11
	v_cvt_i32_f32_e32 v9, v7
	v_add_f32_e32 v10, v10, v8
	v_cvt_i32_f32_e32 v14, v10
	v_cvt_f32_i32_dpp v12, v12 row_shr:4 row_mask:0xf bank_mask:0xf bound_ctrl:1
	v_mov_b32_dpp v8, v13 row_bcast:31 row_mask:0xf bank_mask:0xf bound_ctrl:1
	v_mov_b32_dpp v9, v9 row_bcast:31 row_mask:0xf bank_mask:0xf bound_ctrl:1
	v_cvt_f32_i32_dpp v13, v14 row_shr:1 row_mask:0xf bank_mask:0xf bound_ctrl:1
	v_cvt_i32_f32_e32 v14, v45
	v_add_f32_e32 v11, v11, v12
	v_cvt_i32_f32_e32 v12, v41
	v_cvt_i32_f32_e32 v15, v11
	v_cvt_f32_i32_dpp v14, v14 row_shr:8 row_mask:0xf bank_mask:0xf bound_ctrl:1
	v_add_f32_e32 v10, v10, v13
	v_cvt_f32_i32_dpp v12, v12 row_shr:8 row_mask:0xf bank_mask:0xf bound_ctrl:1
	v_cvt_f32_i32_dpp v13, v15 row_shr:2 row_mask:0xf bank_mask:0xf bound_ctrl:1
	v_add_f32_e32 v14, v45, v14
	v_cvt_i32_f32_e32 v15, v14
	v_add_f32_e32 v12, v41, v12
	v_cvt_i32_f32_e32 v16, v12
	v_add_f32_e32 v11, v11, v13
	v_cvt_f32_i32_dpp v15, v15 row_shr:4 row_mask:0xf bank_mask:0xf bound_ctrl:1
	v_cvt_i32_f32_e32 v17, v10
	v_cvt_f32_i32_dpp v13, v16 row_shr:4 row_mask:0xf bank_mask:0xf bound_ctrl:1
	v_cvt_i32_f32_e32 v16, v11
	v_add_f32_e32 v14, v14, v15
	v_cvt_i32_f32_e32 v15, v14
	v_add_f32_e32 v12, v12, v13
	v_cvt_i32_f32_e32 v13, v12
	v_cvt_f32_i32_dpp v16, v16 row_shr:1 row_mask:0xf bank_mask:0xf bound_ctrl:1
	v_cvt_f32_i32_dpp v15, v15 row_shr:2 row_mask:0xf bank_mask:0xf bound_ctrl:1
	v_cvt_f32_i32_dpp v17, v17 row_bcast:15 row_mask:0xf bank_mask:0xf bound_ctrl:1
	v_cvt_f32_i32_dpp v13, v13 row_shr:2 row_mask:0xf bank_mask:0xf bound_ctrl:1
	v_add_f32_e32 v11, v11, v16
	v_add_f32_e32 v14, v14, v15
	v_cvt_i32_f32_e32 v15, v14
	v_add_f32_e32 v12, v12, v13
	v_cvt_i32_f32_e32 v13, v12
	v_cvt_i32_f32_e32 v16, v11
	v_cvt_f32_i32_dpp v15, v15 row_shr:1 row_mask:0xf bank_mask:0xf bound_ctrl:1
	v_add_f32_e32 v10, v10, v17
	v_cvt_f32_i32_dpp v13, v13 row_shr:1 row_mask:0xf bank_mask:0xf bound_ctrl:1
	v_cvt_f32_i32_dpp v16, v16 row_bcast:15 row_mask:0xf bank_mask:0xf bound_ctrl:1
	v_add_f32_e32 v14, v14, v15
	v_cvt_i32_f32_e32 v15, v14
	v_add_f32_e32 v12, v12, v13
	v_cvt_i32_f32_e32 v13, v12
	v_add_f32_e32 v11, v11, v16
	v_cvt_f32_i32_dpp v15, v15 row_bcast:15 row_mask:0xf bank_mask:0xf bound_ctrl:1
	v_cvt_i32_f32_e32 v17, v10
	v_cvt_f32_i32_dpp v16, v13 row_bcast:15 row_mask:0xf bank_mask:0xf bound_ctrl:1
	v_cvt_i32_f32_e32 v18, v11
	v_add_f32_e32 v13, v14, v15
	v_cvt_i32_f32_e32 v14, v13
	v_add_f32_e32 v12, v12, v16
	v_cvt_i32_f32_e32 v19, v12
	v_mov_b32_dpp v17, v17 row_bcast:31 row_mask:0xf bank_mask:0xf bound_ctrl:1
	v_mov_b32_dpp v16, v18 row_bcast:31 row_mask:0xf bank_mask:0xf bound_ctrl:1
	;; [unrolled: 1-line block ×4, first 2 shown]
	s_and_saveexec_b64 s[20:21], s[0:1]
	s_cbranch_execz .LBB89_7
; %bb.16:                               ;   in Loop: Header=BB89_8 Depth=1
	s_and_b64 vcc, exec, s[16:17]
	s_cbranch_vccz .LBB89_18
; %bb.17:                               ;   in Loop: Header=BB89_8 Depth=1
	v_mul_hi_u32 v18, v40, v63
	v_mul_lo_u32 v18, v18, s8
	v_sub_u32_e32 v18, v40, v18
	v_subrev_u32_e32 v19, s8, v18
	v_cmp_le_u32_e32 vcc, s8, v18
	v_mov_b32_e32 v21, v43
	v_mov_b32_e32 v33, v43
	v_cndmask_b32_e32 v18, v18, v19, vcc
	v_subrev_u32_e32 v19, s8, v18
	v_cmp_le_u32_e32 vcc, s8, v18
	v_mov_b32_e32 v41, v43
	v_mov_b32_e32 v47, v43
	v_cndmask_b32_e32 v42, v18, v19, vcc
	v_mul_hi_u32 v18, v46, v63
	v_mul_lo_u32 v18, v18, s8
	v_sub_u32_e32 v18, v46, v18
	v_subrev_u32_e32 v19, s8, v18
	v_cmp_le_u32_e32 vcc, s8, v18
	v_lshl_add_u64 v[28:29], v[42:43], 1, s[10:11]
	v_mov_b32_e32 v45, v43
	v_cndmask_b32_e32 v18, v18, v19, vcc
	v_subrev_u32_e32 v19, s8, v18
	v_cmp_le_u32_e32 vcc, s8, v18
	s_nop 1
	v_cndmask_b32_e32 v18, v18, v19, vcc
	v_mov_b32_e32 v19, v43
	v_lshl_add_u64 v[30:31], v[18:19], 1, s[10:11]
	v_mul_hi_u32 v19, v44, v63
	v_mul_lo_u32 v19, v19, s8
	v_sub_u32_e32 v19, v44, v19
	v_subrev_u32_e32 v20, s8, v19
	v_cmp_le_u32_e32 vcc, s8, v19
	s_nop 1
	v_cndmask_b32_e32 v19, v19, v20, vcc
	v_subrev_u32_e32 v20, s8, v19
	v_cmp_le_u32_e32 vcc, s8, v19
	s_nop 1
	v_cndmask_b32_e32 v32, v19, v20, vcc
	v_add_u32_e32 v20, s26, v42
	v_lshl_add_u64 v[36:37], v[20:21], 1, s[10:11]
	v_add_u32_e32 v20, s26, v18
	v_add_u32_e32 v42, s27, v42
	v_lshl_add_u64 v[38:39], v[20:21], 1, s[10:11]
	v_add_u32_e32 v20, s26, v32
	v_lshl_add_u64 v[50:51], v[42:43], 1, s[10:11]
	;; [unrolled: 2-line block ×3, first 2 shown]
	v_lshl_add_u64 v[48:49], v[20:21], 1, s[10:11]
	v_lshl_add_u64 v[52:53], v[42:43], 1, s[10:11]
	global_load_ushort v26, v[28:29], off
	global_load_ushort v25, v[30:31], off
	;; [unrolled: 1-line block ×8, first 2 shown]
	v_add_u32_e32 v42, s27, v32
	v_lshl_add_u64 v[28:29], v[42:43], 1, s[10:11]
	global_load_ushort v19, v[28:29], off
	s_cbranch_execnz .LBB89_6
	s_branch .LBB89_19
.LBB89_18:                              ;   in Loop: Header=BB89_8 Depth=1
                                        ; implicit-def: $vgpr19
                                        ; implicit-def: $vgpr18
                                        ; implicit-def: $vgpr20
                                        ; implicit-def: $vgpr21
                                        ; implicit-def: $vgpr22
                                        ; implicit-def: $vgpr23
                                        ; implicit-def: $vgpr24
                                        ; implicit-def: $vgpr25
                                        ; implicit-def: $vgpr26
.LBB89_19:                              ;   in Loop: Header=BB89_8 Depth=1
	v_mov_b32_e32 v41, v43
	v_mov_b32_e32 v47, v43
	;; [unrolled: 1-line block ×3, first 2 shown]
	s_waitcnt vmcnt(8)
	v_mov_b32_e32 v26, 0
	s_waitcnt vmcnt(7)
	v_mov_b32_e32 v25, 0
	;; [unrolled: 2-line block ×9, first 2 shown]
	s_branch .LBB89_6
.LBB89_20:
	s_endpgm
	.section	.rodata,"a",@progbits
	.p2align	6, 0x0
	.amdhsa_kernel _Z16wvSplitK_hf_sml_I6__halfLi64ELi3ELi16ELi8ELi2ELi3EEviiiiiiPKT_S3_S3_PS1_ii
		.amdhsa_group_segment_fixed_size 65536
		.amdhsa_private_segment_fixed_size 0
		.amdhsa_kernarg_size 64
		.amdhsa_user_sgpr_count 2
		.amdhsa_user_sgpr_dispatch_ptr 0
		.amdhsa_user_sgpr_queue_ptr 0
		.amdhsa_user_sgpr_kernarg_segment_ptr 1
		.amdhsa_user_sgpr_dispatch_id 0
		.amdhsa_user_sgpr_kernarg_preload_length 0
		.amdhsa_user_sgpr_kernarg_preload_offset 0
		.amdhsa_user_sgpr_private_segment_size 0
		.amdhsa_uses_dynamic_stack 0
		.amdhsa_enable_private_segment 0
		.amdhsa_system_sgpr_workgroup_id_x 1
		.amdhsa_system_sgpr_workgroup_id_y 0
		.amdhsa_system_sgpr_workgroup_id_z 0
		.amdhsa_system_sgpr_workgroup_info 0
		.amdhsa_system_vgpr_workitem_id 1
		.amdhsa_next_free_vgpr 74
		.amdhsa_next_free_sgpr 30
		.amdhsa_accum_offset 76
		.amdhsa_reserve_vcc 1
		.amdhsa_float_round_mode_32 0
		.amdhsa_float_round_mode_16_64 0
		.amdhsa_float_denorm_mode_32 3
		.amdhsa_float_denorm_mode_16_64 3
		.amdhsa_dx10_clamp 1
		.amdhsa_ieee_mode 1
		.amdhsa_fp16_overflow 0
		.amdhsa_tg_split 0
		.amdhsa_exception_fp_ieee_invalid_op 0
		.amdhsa_exception_fp_denorm_src 0
		.amdhsa_exception_fp_ieee_div_zero 0
		.amdhsa_exception_fp_ieee_overflow 0
		.amdhsa_exception_fp_ieee_underflow 0
		.amdhsa_exception_fp_ieee_inexact 0
		.amdhsa_exception_int_div_zero 0
	.end_amdhsa_kernel
	.section	.text._Z16wvSplitK_hf_sml_I6__halfLi64ELi3ELi16ELi8ELi2ELi3EEviiiiiiPKT_S3_S3_PS1_ii,"axG",@progbits,_Z16wvSplitK_hf_sml_I6__halfLi64ELi3ELi16ELi8ELi2ELi3EEviiiiiiPKT_S3_S3_PS1_ii,comdat
.Lfunc_end89:
	.size	_Z16wvSplitK_hf_sml_I6__halfLi64ELi3ELi16ELi8ELi2ELi3EEviiiiiiPKT_S3_S3_PS1_ii, .Lfunc_end89-_Z16wvSplitK_hf_sml_I6__halfLi64ELi3ELi16ELi8ELi2ELi3EEviiiiiiPKT_S3_S3_PS1_ii
                                        ; -- End function
	.section	.AMDGPU.csdata,"",@progbits
; Kernel info:
; codeLenInByte = 3428
; NumSgprs: 36
; NumVgprs: 74
; NumAgprs: 0
; TotalNumVgprs: 74
; ScratchSize: 0
; MemoryBound: 0
; FloatMode: 240
; IeeeMode: 1
; LDSByteSize: 65536 bytes/workgroup (compile time only)
; SGPRBlocks: 4
; VGPRBlocks: 9
; NumSGPRsForWavesPerEU: 36
; NumVGPRsForWavesPerEU: 74
; AccumOffset: 76
; Occupancy: 4
; WaveLimiterHint : 0
; COMPUTE_PGM_RSRC2:SCRATCH_EN: 0
; COMPUTE_PGM_RSRC2:USER_SGPR: 2
; COMPUTE_PGM_RSRC2:TRAP_HANDLER: 0
; COMPUTE_PGM_RSRC2:TGID_X_EN: 1
; COMPUTE_PGM_RSRC2:TGID_Y_EN: 0
; COMPUTE_PGM_RSRC2:TGID_Z_EN: 0
; COMPUTE_PGM_RSRC2:TIDIG_COMP_CNT: 1
; COMPUTE_PGM_RSRC3_GFX90A:ACCUM_OFFSET: 18
; COMPUTE_PGM_RSRC3_GFX90A:TG_SPLIT: 0
	.section	.text._Z12wvSplitK_hf_I6__halfLi64ELi3ELi16ELi8ELi2ELi3EEviiiiiiPKT_S3_S3_PS1_ii,"axG",@progbits,_Z12wvSplitK_hf_I6__halfLi64ELi3ELi16ELi8ELi2ELi3EEviiiiiiPKT_S3_S3_PS1_ii,comdat
	.protected	_Z12wvSplitK_hf_I6__halfLi64ELi3ELi16ELi8ELi2ELi3EEviiiiiiPKT_S3_S3_PS1_ii ; -- Begin function _Z12wvSplitK_hf_I6__halfLi64ELi3ELi16ELi8ELi2ELi3EEviiiiiiPKT_S3_S3_PS1_ii
	.globl	_Z12wvSplitK_hf_I6__halfLi64ELi3ELi16ELi8ELi2ELi3EEviiiiiiPKT_S3_S3_PS1_ii
	.p2align	8
	.type	_Z12wvSplitK_hf_I6__halfLi64ELi3ELi16ELi8ELi2ELi3EEviiiiiiPKT_S3_S3_PS1_ii,@function
_Z12wvSplitK_hf_I6__halfLi64ELi3ELi16ELi8ELi2ELi3EEviiiiiiPKT_S3_S3_PS1_ii: ; @_Z12wvSplitK_hf_I6__halfLi64ELi3ELi16ELi8ELi2ELi3EEviiiiiiPKT_S3_S3_PS1_ii
; %bb.0:
	s_load_dwordx2 s[22:23], s[0:1], 0x38
	s_load_dwordx4 s[8:11], s[0:1], 0x0
	s_load_dwordx2 s[16:17], s[0:1], 0x10
	v_bfe_u32 v3, v0, 10, 10
	s_mov_b32 s4, 1
	s_waitcnt lgkmcnt(0)
	s_mul_i32 s2, s2, s22
	v_add_u32_e32 v1, s2, v3
	v_lshl_add_u32 v52, v1, 1, v1
	v_add_u32_e32 v1, 3, v52
	s_mov_b32 s6, s4
	v_cmp_gt_u32_e32 vcc, s11, v52
	v_cmp_le_u32_e64 s[2:3], s11, v1
	s_mov_b32 s5, s4
	v_mov_b32_e32 v50, s6
	s_and_b64 s[12:13], vcc, s[2:3]
	v_mov_b32_e32 v49, s5
	v_mov_b32_e32 v48, s4
	s_and_saveexec_b64 s[2:3], s[12:13]
	s_cbranch_execz .LBB90_6
; %bb.1:
	s_add_i32 s7, s11, -3
	v_mov_b32_e32 v50, s6
	v_cmp_ne_u32_e32 vcc, s7, v52
	v_mov_b32_e32 v49, s5
	v_mov_b32_e32 v48, s4
	s_and_saveexec_b64 s[12:13], vcc
	s_cbranch_execz .LBB90_5
; %bb.2:
	v_subrev_u32_e32 v1, s7, v52
	v_cmp_lt_u32_e32 vcc, 1, v1
	s_mov_b64 s[14:15], 0
	s_mov_b64 s[18:19], 0
	v_cndmask_b32_e32 v2, 1, v1, vcc
	s_mov_b32 s5, s4
	s_mov_b32 s6, s4
.LBB90_3:                               ; =>This Inner Loop Header: Depth=1
	s_cmp_lg_u32 s18, 2
	s_cselect_b32 s6, s6, 0
	s_cmp_lg_u32 s18, 1
	s_cselect_b32 s5, s5, 0
	s_cmp_lg_u32 s18, 0
	s_cselect_b32 s4, s4, 0
	s_add_u32 s18, s18, 1
	s_addc_u32 s19, s19, 0
	v_cmp_eq_u32_e32 vcc, s18, v2
	v_mov_b32_e32 v50, s6
	s_or_b64 s[14:15], vcc, s[14:15]
	v_mov_b32_e32 v49, s5
	v_mov_b32_e32 v48, s4
	s_andn2_b64 exec, exec, s[14:15]
	s_cbranch_execnz .LBB90_3
; %bb.4:
	s_or_b64 exec, exec, s[14:15]
	v_mov_b32_e32 v52, s7
.LBB90_5:
	s_or_b64 exec, exec, s[12:13]
.LBB90_6:
	s_or_b64 exec, exec, s[2:3]
	s_load_dwordx4 s[12:15], s[0:1], 0x20
	v_and_b32_e32 v2, 0x3ff, v0
	v_lshlrev_b32_e32 v51, 3, v2
	s_mul_i32 s2, s10, 3
	v_lshl_add_u32 v4, v3, 9, v51
	s_min_u32 s18, s2, 0x8000
	v_cmp_gt_u32_e32 vcc, s18, v4
	s_and_saveexec_b64 s[2:3], vcc
	s_cbranch_execz .LBB90_9
; %bb.7:
	v_mov_b32_e32 v7, 0
	v_lshlrev_b32_e32 v6, 10, v3
	v_lshlrev_b32_e32 v8, 4, v2
	v_mov_b32_e32 v9, v7
	v_lshl_add_u64 v[0:1], v[6:7], 0, v[8:9]
	s_waitcnt lgkmcnt(0)
	v_lshl_add_u64 v[0:1], s[12:13], 0, v[0:1]
	v_add_u32_e32 v5, v6, v8
	s_mov_b64 s[4:5], 0
	s_mov_b64 s[6:7], 0x4000
.LBB90_8:                               ; =>This Inner Loop Header: Depth=1
	global_load_dwordx4 v[6:9], v[0:1], off
	v_add_u32_e32 v4, 0x2000, v4
	v_cmp_le_u32_e32 vcc, s18, v4
	v_lshl_add_u64 v[0:1], v[0:1], 0, s[6:7]
	s_or_b64 s[4:5], vcc, s[4:5]
	s_waitcnt vmcnt(0)
	ds_write_b128 v5, v[6:9]
	v_add_u32_e32 v5, 0x4000, v5
	s_andn2_b64 exec, exec, s[4:5]
	s_cbranch_execnz .LBB90_8
.LBB90_9:
	s_or_b64 exec, exec, s[2:3]
	v_cmp_gt_u32_e32 vcc, s22, v3
	v_cmp_gt_u32_e64 s[2:3], s11, v52
	s_and_b64 s[2:3], vcc, s[2:3]
	s_waitcnt lgkmcnt(0)
	s_barrier
	s_and_saveexec_b64 s[4:5], s[2:3]
	s_cbranch_execz .LBB90_70
; %bb.10:
	s_cmp_lg_u32 s8, 0
	s_cselect_b64 s[2:3], -1, 0
	s_add_i32 s33, s8, -8
	s_add_i32 s36, s11, -1
	s_cmp_lg_u64 s[14:15], 0
	s_cselect_b64 s[24:25], -1, 0
	s_abs_i32 s4, s17
	v_cvt_f32_u32_e32 v0, s16
	v_cvt_f32_u32_e32 v1, s4
	s_sub_i32 s5, 0, s16
	s_add_i32 s17, s11, -3
	v_rcp_iflag_f32_e32 v0, v0
	v_rcp_iflag_f32_e32 v1, v1
	s_load_dwordx2 s[18:19], s[0:1], 0x18
	s_load_dwordx2 s[20:21], s[0:1], 0x30
	s_mul_i32 s37, s22, s23
	v_mul_f32_e32 v0, 0x4f7ffffe, v0
	v_mul_f32_e32 v1, 0x4f7ffffe, v1
	v_cvt_u32_f32_e32 v0, v0
	v_cvt_u32_f32_e32 v1, v1
	v_cmp_eq_u32_e64 s[0:1], 63, v2
	s_mov_b64 s[22:23], 0
	v_mul_lo_u32 v3, s5, v0
	s_sub_i32 s5, 0, s4
	v_readfirstlane_b32 s6, v1
	s_mul_i32 s5, s5, s6
	s_mul_hi_u32 s5, s6, s5
	s_add_i32 s6, s6, s5
	s_sub_i32 s5, 1, s4
	s_cmp_lt_u32 s4, 2
	s_cselect_b32 s5, s5, 1
	s_sub_i32 s7, s5, s4
	s_cmp_ge_u32 s5, s4
	s_cselect_b32 s38, s7, s5
	s_lshr_b32 s5, s6, 31
	s_mul_i32 s5, s5, s4
	s_sub_i32 s5, 2, s5
	s_sub_i32 s6, s5, s4
	s_cmp_ge_u32 s5, s4
	s_cselect_b32 s5, s6, s5
	s_sub_i32 s6, s5, s4
	v_mul_hi_u32 v3, v0, v3
	s_cmp_ge_u32 s5, s4
	v_add_u32_e32 v70, v0, v3
	s_cselect_b32 s39, s6, s5
	s_lshl_b32 s40, s10, 1
	v_cndmask_b32_e64 v0, 0, 1, s[2:3]
	s_mul_i32 s37, s37, 3
	v_mov_b32_e32 v55, 0
	s_mul_i32 s38, s38, s16
	s_mul_i32 s39, s39, s16
	v_lshlrev_b32_e32 v71, 4, v2
	s_lshl_b32 s41, s10, 2
	v_add_u32_e32 v72, s40, v51
	v_add_u32_e32 v73, s10, v51
	v_cmp_ne_u32_e64 s[2:3], 1, v0
	s_movk_i32 s10, 0x7fff
	s_mov_b32 s26, 0
	s_branch .LBB90_13
.LBB90_11:                              ;   in Loop: Header=BB90_13 Depth=1
	s_or_b64 exec, exec, s[28:29]
	v_mov_b32_e32 v52, s17
.LBB90_12:                              ;   in Loop: Header=BB90_13 Depth=1
	s_or_b64 exec, exec, s[6:7]
	v_cmp_le_u32_e32 vcc, s11, v52
	s_or_b64 s[22:23], vcc, s[22:23]
	s_andn2_b64 exec, exec, s[22:23]
	s_cbranch_execz .LBB90_70
.LBB90_13:                              ; =>This Loop Header: Depth=1
                                        ;     Child Loop BB90_18 Depth 2
                                        ;     Child Loop BB90_60 Depth 2
	s_and_b64 vcc, exec, s[2:3]
	v_add_u32_e32 v58, 1, v52
	v_add_u32_e32 v56, 2, v52
	v_mov_b32_e32 v79, v55
	v_mov_b32_e32 v78, v55
	;; [unrolled: 1-line block ×9, first 2 shown]
	s_cbranch_vccnz .LBB90_44
; %bb.14:                               ;   in Loop: Header=BB90_13 Depth=1
	v_min_u32_e32 v0, s36, v52
	v_mul_lo_u32 v54, v0, s9
	v_min_u32_e32 v0, s36, v58
	v_min_u32_e32 v2, s36, v56
	v_mul_lo_u32 v0, v0, s9
	v_mov_b32_e32 v1, v55
	v_mul_lo_u32 v2, v2, s9
	v_mov_b32_e32 v3, v55
	v_mov_b32_e32 v59, 0
	v_lshlrev_b64 v[60:61], 1, v[54:55]
	v_lshlrev_b64 v[62:63], 1, v[0:1]
	;; [unrolled: 1-line block ×3, first 2 shown]
	v_mov_b32_e32 v80, v71
	v_mov_b32_e32 v57, 0
	;; [unrolled: 1-line block ×9, first 2 shown]
	s_mov_b32 s30, s26
	s_branch .LBB90_18
.LBB90_15:                              ;   in Loop: Header=BB90_18 Depth=2
	s_or_b64 exec, exec, s[28:29]
.LBB90_16:                              ;   in Loop: Header=BB90_18 Depth=2
	s_or_b64 exec, exec, s[6:7]
.LBB90_17:                              ;   in Loop: Header=BB90_18 Depth=2
	s_or_b64 exec, exec, s[4:5]
	s_waitcnt vmcnt(0) lgkmcnt(0)
	;;#ASMSTART
	v_dot2c_f32_f16 v79, v32, v20
	;;#ASMEND
	;;#ASMSTART
	v_dot2c_f32_f16 v78, v32, v12
	;;#ASMEND
	;;#ASMSTART
	v_dot2c_f32_f16 v77, v32, v16
	;;#ASMEND
	;;#ASMSTART
	v_dot2c_f32_f16 v76, v28, v20
	;;#ASMEND
	;;#ASMSTART
	v_dot2c_f32_f16 v75, v28, v12
	;;#ASMEND
	;;#ASMSTART
	v_dot2c_f32_f16 v74, v28, v16
	;;#ASMEND
	;;#ASMSTART
	v_dot2c_f32_f16 v59, v24, v20
	;;#ASMEND
	;;#ASMSTART
	v_dot2c_f32_f16 v57, v24, v12
	;;#ASMEND
	;;#ASMSTART
	v_dot2c_f32_f16 v53, v24, v16
	;;#ASMEND
	s_nop 0
	;;#ASMSTART
	v_dot2c_f32_f16 v79, v33, v21
	;;#ASMEND
	;;#ASMSTART
	v_dot2c_f32_f16 v78, v33, v13
	;;#ASMEND
	;;#ASMSTART
	v_dot2c_f32_f16 v77, v33, v17
	;;#ASMEND
	;;#ASMSTART
	v_dot2c_f32_f16 v76, v29, v21
	;;#ASMEND
	;;#ASMSTART
	v_dot2c_f32_f16 v75, v29, v13
	;;#ASMEND
	;;#ASMSTART
	v_dot2c_f32_f16 v74, v29, v17
	;;#ASMEND
	;;#ASMSTART
	v_dot2c_f32_f16 v59, v25, v21
	;;#ASMEND
	;;#ASMSTART
	v_dot2c_f32_f16 v57, v25, v13
	;;#ASMEND
	;;#ASMSTART
	v_dot2c_f32_f16 v53, v25, v17
	;;#ASMEND
	s_nop 0
	;; [unrolled: 28-line block ×5, first 2 shown]
	;;#ASMSTART
	v_dot2c_f32_f16 v79, v45, v9
	;;#ASMEND
	;;#ASMSTART
	v_dot2c_f32_f16 v78, v45, v5
	;;#ASMEND
	;; [unrolled: 3-line block ×9, first 2 shown]
	s_addk_i32 s30, 0x400
	;;#ASMSTART
	v_dot2c_f32_f16 v79, v46, v10
	;;#ASMEND
	;;#ASMSTART
	v_dot2c_f32_f16 v78, v46, v6
	;;#ASMEND
	;; [unrolled: 3-line block ×9, first 2 shown]
	s_cmp_ge_u32 s30, s8
	v_add_u32_e32 v80, 0x800, v80
	;;#ASMSTART
	v_dot2c_f32_f16 v79, v47, v11
	;;#ASMEND
	;;#ASMSTART
	v_dot2c_f32_f16 v78, v47, v7
	;;#ASMEND
	;; [unrolled: 3-line block ×9, first 2 shown]
	s_cbranch_scc1 .LBB90_44
.LBB90_18:                              ;   Parent Loop BB90_13 Depth=1
                                        ; =>  This Inner Loop Header: Depth=2
	v_add_u32_e32 v68, s30, v51
	v_min_u32_e32 v54, s33, v68
	s_waitcnt lgkmcnt(0)
	v_lshl_add_u64 v[0:1], v[54:55], 1, s[18:19]
	v_add_u32_e32 v66, 0x200, v68
	v_lshl_add_u64 v[2:3], v[0:1], 0, v[60:61]
	v_min_u32_e32 v54, s33, v66
	v_lshl_add_u64 v[4:5], v[0:1], 0, v[62:63]
	global_load_dwordx4 v[20:23], v[2:3], off nt
	global_load_dwordx4 v[12:15], v[4:5], off nt
	v_lshl_add_u64 v[2:3], v[54:55], 1, s[18:19]
	v_lshl_add_u64 v[0:1], v[0:1], 0, v[64:65]
	;; [unrolled: 1-line block ×3, first 2 shown]
	s_waitcnt vmcnt(8)
	v_lshl_add_u64 v[24:25], v[2:3], 0, v[62:63]
	global_load_dwordx4 v[16:19], v[0:1], off nt
	global_load_dwordx4 v[8:11], v[4:5], off nt
	v_lshl_add_u64 v[26:27], v[2:3], 0, v[64:65]
	global_load_dwordx4 v[4:7], v[24:25], off nt
	global_load_dwordx4 v[0:3], v[26:27], off nt
	s_mov_b32 s27, s26
	v_cmp_gt_u32_e32 vcc, s8, v68
	v_mov_b64_e32 v[42:43], s[26:27]
	v_mov_b32_e32 v39, 0
	v_mov_b32_e32 v38, 0
	;; [unrolled: 1-line block ×4, first 2 shown]
	v_mov_b64_e32 v[40:41], s[26:27]
	v_mov_b64_e32 v[46:47], s[26:27]
	v_mov_b64_e32 v[44:45], s[26:27]
	v_mov_b64_e32 v[26:27], s[26:27]
	v_mov_b64_e32 v[24:25], s[26:27]
	v_mov_b64_e32 v[30:31], s[26:27]
	v_mov_b64_e32 v[28:29], s[26:27]
	v_mov_b64_e32 v[34:35], s[26:27]
	v_mov_b64_e32 v[32:33], s[26:27]
	s_and_saveexec_b64 s[4:5], vcc
	s_cbranch_execz .LBB90_17
; %bb.19:                               ;   in Loop: Header=BB90_18 Depth=2
	v_cmp_lt_u32_e32 vcc, s10, v68
                                        ; implicit-def: $vgpr34_vgpr35
	s_and_saveexec_b64 s[6:7], vcc
	s_xor_b64 s[6:7], exec, s[6:7]
	s_cbranch_execz .LBB90_21
; %bb.20:                               ;   in Loop: Header=BB90_18 Depth=2
	v_mov_b32_e32 v69, v55
	v_lshl_add_u64 v[24:25], v[68:69], 1, s[12:13]
	global_load_dwordx4 v[32:35], v[24:25], off
.LBB90_21:                              ;   in Loop: Header=BB90_18 Depth=2
	s_andn2_saveexec_b64 s[6:7], s[6:7]
	s_cbranch_execz .LBB90_23
; %bb.22:                               ;   in Loop: Header=BB90_18 Depth=2
	s_waitcnt vmcnt(0)
	ds_read_b128 v[32:35], v80
.LBB90_23:                              ;   in Loop: Header=BB90_18 Depth=2
	s_or_b64 exec, exec, s[6:7]
	v_add_u32_e32 v54, s30, v73
	v_cmp_lt_u32_e32 vcc, s10, v54
                                        ; implicit-def: $vgpr30_vgpr31
	s_and_saveexec_b64 s[6:7], vcc
	s_xor_b64 s[6:7], exec, s[6:7]
	s_cbranch_execz .LBB90_25
; %bb.24:                               ;   in Loop: Header=BB90_18 Depth=2
	v_lshl_add_u64 v[24:25], v[54:55], 1, s[12:13]
	global_load_dwordx4 v[28:31], v[24:25], off
.LBB90_25:                              ;   in Loop: Header=BB90_18 Depth=2
	s_andn2_saveexec_b64 s[6:7], s[6:7]
	s_cbranch_execz .LBB90_27
; %bb.26:                               ;   in Loop: Header=BB90_18 Depth=2
	v_add_u32_e32 v24, s40, v80
	s_waitcnt vmcnt(0)
	ds_read_b128 v[28:31], v24
.LBB90_27:                              ;   in Loop: Header=BB90_18 Depth=2
	s_or_b64 exec, exec, s[6:7]
	v_add_u32_e32 v68, s30, v72
	v_cmp_lt_u32_e32 vcc, s10, v68
                                        ; implicit-def: $vgpr26_vgpr27
	s_and_saveexec_b64 s[6:7], vcc
	s_xor_b64 s[6:7], exec, s[6:7]
	s_cbranch_execz .LBB90_29
; %bb.28:                               ;   in Loop: Header=BB90_18 Depth=2
	v_mov_b32_e32 v69, v55
	v_lshl_add_u64 v[24:25], v[68:69], 1, s[12:13]
	global_load_dwordx4 v[24:27], v[24:25], off
.LBB90_29:                              ;   in Loop: Header=BB90_18 Depth=2
	s_andn2_saveexec_b64 s[6:7], s[6:7]
	s_cbranch_execz .LBB90_31
; %bb.30:                               ;   in Loop: Header=BB90_18 Depth=2
	s_waitcnt vmcnt(0)
	v_add_u32_e32 v26, s41, v80
	ds_read2_b32 v[24:25], v26 offset1:1
	ds_read2_b32 v[26:27], v26 offset0:2 offset1:3
.LBB90_31:                              ;   in Loop: Header=BB90_18 Depth=2
	s_or_b64 exec, exec, s[6:7]
	s_mov_b32 s27, s26
	v_cmp_gt_u32_e32 vcc, s8, v66
	v_mov_b32_e32 v39, 0
	v_mov_b64_e32 v[42:43], s[26:27]
	v_mov_b32_e32 v38, 0
	v_mov_b32_e32 v37, 0
	;; [unrolled: 1-line block ×3, first 2 shown]
	v_mov_b64_e32 v[40:41], s[26:27]
	v_mov_b64_e32 v[46:47], s[26:27]
	;; [unrolled: 1-line block ×3, first 2 shown]
	s_and_saveexec_b64 s[6:7], vcc
	s_cbranch_execz .LBB90_16
; %bb.32:                               ;   in Loop: Header=BB90_18 Depth=2
	v_cmp_lt_u32_e32 vcc, s10, v66
                                        ; implicit-def: $vgpr46_vgpr47
	s_and_saveexec_b64 s[28:29], vcc
	s_xor_b64 s[28:29], exec, s[28:29]
	s_cbranch_execz .LBB90_34
; %bb.33:                               ;   in Loop: Header=BB90_18 Depth=2
	v_mov_b32_e32 v67, v55
	v_lshl_add_u64 v[36:37], v[66:67], 1, s[12:13]
	global_load_dwordx4 v[44:47], v[36:37], off
.LBB90_34:                              ;   in Loop: Header=BB90_18 Depth=2
	s_andn2_saveexec_b64 s[28:29], s[28:29]
	s_cbranch_execz .LBB90_36
; %bb.35:                               ;   in Loop: Header=BB90_18 Depth=2
	s_waitcnt vmcnt(0)
	ds_read_b128 v[44:47], v80 offset:1024
.LBB90_36:                              ;   in Loop: Header=BB90_18 Depth=2
	s_or_b64 exec, exec, s[28:29]
	v_add_u32_e32 v54, 0x200, v54
	v_cmp_lt_u32_e32 vcc, s10, v54
                                        ; implicit-def: $vgpr42_vgpr43
	s_and_saveexec_b64 s[28:29], vcc
	s_xor_b64 s[28:29], exec, s[28:29]
	s_cbranch_execz .LBB90_38
; %bb.37:                               ;   in Loop: Header=BB90_18 Depth=2
	v_lshl_add_u64 v[36:37], v[54:55], 1, s[12:13]
	global_load_dwordx4 v[40:43], v[36:37], off
.LBB90_38:                              ;   in Loop: Header=BB90_18 Depth=2
	s_andn2_saveexec_b64 s[28:29], s[28:29]
	s_cbranch_execz .LBB90_40
; %bb.39:                               ;   in Loop: Header=BB90_18 Depth=2
	v_add_u32_e32 v36, s40, v80
	s_waitcnt vmcnt(0)
	ds_read_b128 v[40:43], v36 offset:1024
.LBB90_40:                              ;   in Loop: Header=BB90_18 Depth=2
	s_or_b64 exec, exec, s[28:29]
	v_add_u32_e32 v54, 0x200, v68
	v_cmp_lt_u32_e32 vcc, s10, v54
                                        ; implicit-def: $vgpr39
	s_and_saveexec_b64 s[28:29], vcc
	s_xor_b64 s[28:29], exec, s[28:29]
	s_cbranch_execz .LBB90_42
; %bb.41:                               ;   in Loop: Header=BB90_18 Depth=2
	v_lshl_add_u64 v[36:37], v[54:55], 1, s[12:13]
	global_load_dwordx4 v[36:39], v[36:37], off
.LBB90_42:                              ;   in Loop: Header=BB90_18 Depth=2
	s_andn2_saveexec_b64 s[28:29], s[28:29]
	s_cbranch_execz .LBB90_15
; %bb.43:                               ;   in Loop: Header=BB90_18 Depth=2
	s_waitcnt vmcnt(0)
	v_add_u32_e32 v36, s41, v80
	v_add_u32_e32 v37, 0x400, v36
	v_add_u32_e32 v38, 0x408, v36
	ds_read2_b32 v[36:37], v37 offset1:1
	ds_read2_b32 v[38:39], v38 offset1:1
	s_branch .LBB90_15
.LBB90_44:                              ;   in Loop: Header=BB90_13 Depth=1
	v_cvt_i32_f32_e32 v0, v79
	v_cvt_i32_f32_e32 v1, v78
	;; [unrolled: 1-line block ×4, first 2 shown]
	v_cvt_f32_i32_dpp v0, v0 row_shr:8 row_mask:0xf bank_mask:0xf bound_ctrl:1
	v_cvt_f32_i32_dpp v1, v1 row_shr:8 row_mask:0xf bank_mask:0xf bound_ctrl:1
	;; [unrolled: 1-line block ×4, first 2 shown]
	v_add_f32_e32 v0, v79, v0
	v_cvt_i32_f32_e32 v5, v0
	v_add_f32_e32 v1, v78, v1
	v_cvt_i32_f32_e32 v6, v1
	v_add_f32_e32 v2, v77, v2
	v_cvt_f32_i32_dpp v5, v5 row_shr:4 row_mask:0xf bank_mask:0xf bound_ctrl:1
	v_cvt_i32_f32_e32 v3, v76
	v_cvt_f32_i32_dpp v4, v6 row_shr:4 row_mask:0xf bank_mask:0xf bound_ctrl:1
	v_cvt_i32_f32_e32 v6, v2
	v_add_f32_e32 v0, v0, v5
	v_cvt_i32_f32_e32 v5, v0
	v_add_f32_e32 v1, v1, v4
	v_cvt_i32_f32_e32 v4, v1
	v_cvt_f32_i32_dpp v3, v3 row_shr:8 row_mask:0xf bank_mask:0xf bound_ctrl:1
	v_cvt_f32_i32_dpp v5, v5 row_shr:2 row_mask:0xf bank_mask:0xf bound_ctrl:1
	;; [unrolled: 1-line block ×4, first 2 shown]
	v_add_f32_e32 v3, v76, v3
	v_add_f32_e32 v0, v0, v5
	v_cvt_i32_f32_e32 v5, v0
	v_add_f32_e32 v1, v1, v4
	v_cvt_i32_f32_e32 v4, v1
	v_add_f32_e32 v2, v2, v6
	v_cvt_f32_i32_dpp v5, v5 row_shr:1 row_mask:0xf bank_mask:0xf bound_ctrl:1
	v_cvt_i32_f32_e32 v8, v3
	v_cvt_f32_i32_dpp v4, v4 row_shr:1 row_mask:0xf bank_mask:0xf bound_ctrl:1
	v_cvt_i32_f32_e32 v6, v2
	v_add_f32_e32 v0, v0, v5
	v_cvt_i32_f32_e32 v5, v0
	v_add_f32_e32 v1, v1, v4
	v_cvt_i32_f32_e32 v4, v1
	v_cvt_f32_i32_dpp v6, v6 row_shr:2 row_mask:0xf bank_mask:0xf bound_ctrl:1
	v_cvt_f32_i32_dpp v5, v5 row_bcast:15 row_mask:0xf bank_mask:0xf bound_ctrl:1
	v_cvt_f32_i32_dpp v10, v8 row_shr:4 row_mask:0xf bank_mask:0xf bound_ctrl:1
	v_cvt_f32_i32_dpp v9, v4 row_bcast:15 row_mask:0xf bank_mask:0xf bound_ctrl:1
	v_add_f32_e32 v2, v2, v6
	v_add_f32_e32 v4, v0, v5
	v_cvt_i32_f32_e32 v5, v4
	v_add_f32_e32 v0, v1, v9
	v_add_f32_e32 v1, v3, v10
	v_cvt_i32_f32_e32 v6, v2
	v_cvt_i32_f32_e32 v3, v1
	v_mov_b32_dpp v8, v5 row_bcast:31 row_mask:0xf bank_mask:0xf bound_ctrl:1
	v_add_f32_e32 v5, v75, v7
	v_cvt_f32_i32_dpp v6, v6 row_shr:1 row_mask:0xf bank_mask:0xf bound_ctrl:1
	v_cvt_i32_f32_e32 v7, v5
	v_cvt_f32_i32_dpp v3, v3 row_shr:2 row_mask:0xf bank_mask:0xf bound_ctrl:1
	v_cvt_i32_f32_e32 v9, v0
	v_add_f32_e32 v2, v2, v6
	v_cvt_f32_i32_dpp v6, v7 row_shr:4 row_mask:0xf bank_mask:0xf bound_ctrl:1
	v_add_f32_e32 v3, v1, v3
	v_cvt_i32_f32_e32 v7, v2
	v_cvt_i32_f32_e32 v1, v3
	v_add_f32_e32 v5, v5, v6
	v_cvt_i32_f32_e32 v6, v5
	v_cvt_f32_i32_dpp v10, v7 row_bcast:15 row_mask:0xf bank_mask:0xf bound_ctrl:1
	v_cvt_f32_i32_dpp v11, v1 row_shr:1 row_mask:0xf bank_mask:0xf bound_ctrl:1
	v_mov_b32_dpp v7, v9 row_bcast:31 row_mask:0xf bank_mask:0xf bound_ctrl:1
	v_cvt_f32_i32_dpp v6, v6 row_shr:2 row_mask:0xf bank_mask:0xf bound_ctrl:1
	v_add_f32_e32 v1, v2, v10
	v_add_f32_e32 v2, v3, v11
	v_cvt_i32_f32_e32 v3, v74
	v_add_f32_e32 v5, v5, v6
	v_cvt_i32_f32_e32 v6, v5
	v_cvt_i32_f32_e32 v9, v2
	v_cvt_f32_i32_dpp v3, v3 row_shr:8 row_mask:0xf bank_mask:0xf bound_ctrl:1
	v_cvt_i32_f32_e32 v10, v1
	v_cvt_f32_i32_dpp v6, v6 row_shr:1 row_mask:0xf bank_mask:0xf bound_ctrl:1
	v_cvt_f32_i32_dpp v9, v9 row_bcast:15 row_mask:0xf bank_mask:0xf bound_ctrl:1
	v_add_f32_e32 v3, v74, v3
	v_cvt_i32_f32_e32 v11, v3
	v_add_f32_e32 v5, v5, v6
	v_cvt_i32_f32_e32 v6, v5
	v_add_f32_e32 v2, v2, v9
	v_cvt_f32_i32_dpp v11, v11 row_shr:4 row_mask:0xf bank_mask:0xf bound_ctrl:1
	v_cvt_i32_f32_e32 v9, v59
	v_cvt_f32_i32_dpp v6, v6 row_bcast:15 row_mask:0xf bank_mask:0xf bound_ctrl:1
	v_cvt_i32_f32_e32 v13, v2
	v_add_f32_e32 v11, v3, v11
	v_cvt_i32_f32_e32 v12, v11
	v_cvt_f32_i32_dpp v9, v9 row_shr:8 row_mask:0xf bank_mask:0xf bound_ctrl:1
	v_add_f32_e32 v3, v5, v6
	v_cvt_i32_f32_e32 v6, v3
	v_cvt_f32_i32_dpp v5, v12 row_shr:2 row_mask:0xf bank_mask:0xf bound_ctrl:1
	v_add_f32_e32 v9, v59, v9
	v_cvt_i32_f32_e32 v14, v9
	v_mov_b32_dpp v12, v13 row_bcast:31 row_mask:0xf bank_mask:0xf bound_ctrl:1
	v_add_f32_e32 v5, v11, v5
	v_cvt_i32_f32_e32 v11, v5
	v_cvt_f32_i32_dpp v13, v14 row_shr:4 row_mask:0xf bank_mask:0xf bound_ctrl:1
	v_cvt_i32_f32_e32 v14, v57
	v_mov_b32_dpp v10, v10 row_bcast:31 row_mask:0xf bank_mask:0xf bound_ctrl:1
	v_cvt_f32_i32_dpp v11, v11 row_shr:1 row_mask:0xf bank_mask:0xf bound_ctrl:1
	v_add_f32_e32 v9, v9, v13
	v_cvt_i32_f32_e32 v13, v53
	v_cvt_f32_i32_dpp v14, v14 row_shr:8 row_mask:0xf bank_mask:0xf bound_ctrl:1
	v_add_f32_e32 v5, v5, v11
	v_cvt_i32_f32_e32 v15, v9
	;; [unrolled: 3-line block ×4, first 2 shown]
	v_cvt_i32_f32_e32 v16, v11
	v_add_f32_e32 v9, v9, v13
	v_cvt_f32_i32_dpp v17, v17 row_bcast:15 row_mask:0xf bank_mask:0xf bound_ctrl:1
	v_cvt_f32_i32_dpp v15, v15 row_shr:4 row_mask:0xf bank_mask:0xf bound_ctrl:1
	v_cvt_f32_i32_dpp v13, v16 row_shr:4 row_mask:0xf bank_mask:0xf bound_ctrl:1
	v_cvt_i32_f32_e32 v16, v9
	v_mov_b32_dpp v6, v6 row_bcast:31 row_mask:0xf bank_mask:0xf bound_ctrl:1
	v_add_f32_e32 v14, v14, v15
	v_add_f32_e32 v11, v11, v13
	v_cvt_i32_f32_e32 v15, v14
	v_cvt_i32_f32_e32 v13, v11
	v_cvt_f32_i32_dpp v16, v16 row_shr:1 row_mask:0xf bank_mask:0xf bound_ctrl:1
	v_cvt_f32_i32_dpp v15, v15 row_shr:2 row_mask:0xf bank_mask:0xf bound_ctrl:1
	;; [unrolled: 1-line block ×3, first 2 shown]
	v_add_f32_e32 v9, v9, v16
	v_cvt_i32_f32_e32 v16, v9
	v_add_f32_e32 v14, v14, v15
	v_add_f32_e32 v11, v11, v13
	v_cvt_i32_f32_e32 v15, v14
	v_cvt_i32_f32_e32 v13, v11
	s_waitcnt vmcnt(0)
	v_cvt_f32_i32_dpp v18, v15 row_shr:1 row_mask:0xf bank_mask:0xf bound_ctrl:1
	v_add_f32_e32 v15, v5, v17
	v_cvt_f32_i32_dpp v5, v13 row_shr:1 row_mask:0xf bank_mask:0xf bound_ctrl:1
	v_cvt_f32_i32_dpp v13, v16 row_bcast:15 row_mask:0xf bank_mask:0xf bound_ctrl:1
	v_add_f32_e32 v16, v14, v18
	v_cvt_i32_f32_e32 v14, v16
	v_add_f32_e32 v5, v11, v5
	v_cvt_i32_f32_e32 v11, v5
	v_cvt_i32_f32_e32 v17, v15
	v_cvt_f32_i32_dpp v18, v14 row_bcast:15 row_mask:0xf bank_mask:0xf bound_ctrl:1
	v_add_f32_e32 v14, v9, v13
	v_cvt_f32_i32_dpp v9, v11 row_bcast:15 row_mask:0xf bank_mask:0xf bound_ctrl:1
	v_cvt_i32_f32_e32 v13, v14
	v_add_f32_e32 v11, v16, v18
	v_cvt_i32_f32_e32 v18, v11
	v_add_f32_e32 v5, v5, v9
	v_cvt_i32_f32_e32 v9, v5
	v_mov_b32_dpp v17, v17 row_bcast:31 row_mask:0xf bank_mask:0xf bound_ctrl:1
	v_mov_b32_dpp v16, v13 row_bcast:31 row_mask:0xf bank_mask:0xf bound_ctrl:1
	;; [unrolled: 1-line block ×4, first 2 shown]
	s_and_saveexec_b64 s[28:29], s[0:1]
	s_cbranch_execz .LBB90_57
; %bb.45:                               ;   in Loop: Header=BB90_13 Depth=1
	s_andn2_b64 vcc, exec, s[24:25]
	v_mov_b32_e32 v26, 0
	v_mov_b32_e32 v25, 0
	;; [unrolled: 1-line block ×9, first 2 shown]
	s_cbranch_vccnz .LBB90_47
; %bb.46:                               ;   in Loop: Header=BB90_13 Depth=1
	v_mul_hi_u32 v18, v52, v70
	v_mul_lo_u32 v18, v18, s16
	v_sub_u32_e32 v18, v52, v18
	v_subrev_u32_e32 v19, s16, v18
	v_cmp_le_u32_e32 vcc, s16, v18
	v_mov_b32_e32 v21, v55
	v_mov_b32_e32 v33, v55
	v_cndmask_b32_e32 v18, v18, v19, vcc
	v_subrev_u32_e32 v19, s16, v18
	v_cmp_le_u32_e32 vcc, s16, v18
	s_nop 1
	v_cndmask_b32_e32 v54, v18, v19, vcc
	v_mul_hi_u32 v18, v58, v70
	v_mul_lo_u32 v18, v18, s16
	v_sub_u32_e32 v18, v58, v18
	v_subrev_u32_e32 v19, s16, v18
	v_cmp_le_u32_e32 vcc, s16, v18
	v_lshl_add_u64 v[28:29], v[54:55], 1, s[14:15]
	s_nop 0
	v_cndmask_b32_e32 v18, v18, v19, vcc
	v_subrev_u32_e32 v19, s16, v18
	v_cmp_le_u32_e32 vcc, s16, v18
	s_nop 1
	v_cndmask_b32_e32 v18, v18, v19, vcc
	v_mov_b32_e32 v19, v55
	v_lshl_add_u64 v[30:31], v[18:19], 1, s[14:15]
	v_mul_hi_u32 v19, v56, v70
	v_mul_lo_u32 v19, v19, s16
	v_sub_u32_e32 v19, v56, v19
	v_subrev_u32_e32 v20, s16, v19
	v_cmp_le_u32_e32 vcc, s16, v19
	s_nop 1
	v_cndmask_b32_e32 v19, v19, v20, vcc
	v_subrev_u32_e32 v20, s16, v19
	v_cmp_le_u32_e32 vcc, s16, v19
	s_nop 1
	v_cndmask_b32_e32 v32, v19, v20, vcc
	v_add_u32_e32 v20, s38, v54
	v_lshl_add_u64 v[36:37], v[20:21], 1, s[14:15]
	v_add_u32_e32 v20, s38, v18
	v_add_u32_e32 v54, s39, v54
	v_lshl_add_u64 v[38:39], v[20:21], 1, s[14:15]
	v_add_u32_e32 v20, s38, v32
	v_lshl_add_u64 v[42:43], v[54:55], 1, s[14:15]
	;; [unrolled: 2-line block ×3, first 2 shown]
	v_lshl_add_u64 v[40:41], v[20:21], 1, s[14:15]
	v_lshl_add_u64 v[44:45], v[54:55], 1, s[14:15]
	global_load_ushort v26, v[28:29], off
	global_load_ushort v25, v[30:31], off
	;; [unrolled: 1-line block ×8, first 2 shown]
	v_add_u32_e32 v54, s39, v32
	v_lshl_add_u64 v[28:29], v[54:55], 1, s[14:15]
	global_load_ushort v18, v[28:29], off
.LBB90_47:                              ;   in Loop: Header=BB90_13 Depth=1
	v_cmp_ne_u32_e32 vcc, 0, v48
	s_and_saveexec_b64 s[4:5], vcc
	s_cbranch_execnz .LBB90_62
; %bb.48:                               ;   in Loop: Header=BB90_13 Depth=1
	s_or_b64 exec, exec, s[4:5]
	v_cmp_ne_u32_e64 s[4:5], 0, v49
	s_and_saveexec_b64 s[6:7], s[4:5]
	s_cbranch_execnz .LBB90_63
.LBB90_49:                              ;   in Loop: Header=BB90_13 Depth=1
	s_or_b64 exec, exec, s[6:7]
	v_cmp_ne_u32_e64 s[6:7], 0, v50
	s_and_saveexec_b64 s[30:31], s[6:7]
	s_cbranch_execnz .LBB90_64
.LBB90_50:                              ;   in Loop: Header=BB90_13 Depth=1
	s_or_b64 exec, exec, s[30:31]
	v_add_u32_e32 v54, s11, v52
	s_and_saveexec_b64 s[30:31], vcc
	s_cbranch_execnz .LBB90_65
.LBB90_51:                              ;   in Loop: Header=BB90_13 Depth=1
	s_or_b64 exec, exec, s[30:31]
	s_and_saveexec_b64 s[30:31], s[4:5]
	s_cbranch_execnz .LBB90_66
.LBB90_52:                              ;   in Loop: Header=BB90_13 Depth=1
	s_or_b64 exec, exec, s[30:31]
	s_and_saveexec_b64 s[30:31], s[6:7]
	s_cbranch_execnz .LBB90_67
.LBB90_53:                              ;   in Loop: Header=BB90_13 Depth=1
	s_or_b64 exec, exec, s[30:31]
	v_add_u32_e32 v54, s11, v54
	s_and_saveexec_b64 s[30:31], vcc
	s_cbranch_execnz .LBB90_68
.LBB90_54:                              ;   in Loop: Header=BB90_13 Depth=1
	s_or_b64 exec, exec, s[30:31]
	s_and_saveexec_b64 s[30:31], s[4:5]
	s_cbranch_execnz .LBB90_69
.LBB90_55:                              ;   in Loop: Header=BB90_13 Depth=1
	s_or_b64 exec, exec, s[30:31]
	s_and_b64 exec, exec, s[6:7]
	s_cbranch_execz .LBB90_57
.LBB90_56:                              ;   in Loop: Header=BB90_13 Depth=1
	v_cvt_f32_i32_e32 v0, v9
	s_waitcnt vmcnt(0)
	v_cvt_f32_f16_e32 v1, v18
	v_add_u32_e32 v54, 2, v54
	v_add_f32_e32 v0, v5, v0
	v_add_f32_e32 v0, v0, v1
	v_cvt_f16_f32_e32 v2, v0
	s_waitcnt lgkmcnt(0)
	v_lshl_add_u64 v[0:1], v[54:55], 1, s[20:21]
	global_store_short v[0:1], v2, off
.LBB90_57:                              ;   in Loop: Header=BB90_13 Depth=1
	s_or_b64 exec, exec, s[28:29]
	v_add_u32_e32 v52, s37, v52
	v_add_u32_e32 v0, 3, v52
	v_cmp_gt_u32_e32 vcc, s11, v52
	v_cmp_le_u32_e64 s[4:5], s11, v0
	s_and_b64 s[4:5], vcc, s[4:5]
	s_and_saveexec_b64 s[6:7], s[4:5]
	s_cbranch_execz .LBB90_12
; %bb.58:                               ;   in Loop: Header=BB90_13 Depth=1
	v_cmp_ne_u32_e32 vcc, s17, v52
	s_and_saveexec_b64 s[28:29], vcc
	s_cbranch_execz .LBB90_11
; %bb.59:                               ;   in Loop: Header=BB90_13 Depth=1
	v_subrev_u32_e32 v0, s17, v52
	v_cmp_lt_u32_e32 vcc, 1, v0
	s_mov_b64 s[30:31], 0
	s_mov_b64 s[34:35], 0
	v_cndmask_b32_e32 v0, 1, v0, vcc
.LBB90_60:                              ;   Parent Loop BB90_13 Depth=1
                                        ; =>  This Inner Loop Header: Depth=2
	s_cmp_lg_u32 s34, 2
	s_cselect_b64 vcc, -1, 0
	s_cmp_lg_u32 s34, 1
	v_cndmask_b32_e32 v50, 0, v50, vcc
	s_cselect_b64 vcc, -1, 0
	s_cmp_lg_u32 s34, 0
	v_cndmask_b32_e32 v49, 0, v49, vcc
	s_cselect_b64 vcc, -1, 0
	s_add_u32 s34, s34, 1
	s_addc_u32 s35, s35, 0
	v_cmp_eq_u32_e64 s[4:5], s34, v0
	s_or_b64 s[30:31], s[4:5], s[30:31]
	v_cndmask_b32_e32 v48, 0, v48, vcc
	s_andn2_b64 exec, exec, s[30:31]
	s_cbranch_execnz .LBB90_60
; %bb.61:                               ;   in Loop: Header=BB90_13 Depth=1
	s_or_b64 exec, exec, s[30:31]
	s_branch .LBB90_11
.LBB90_62:                              ;   in Loop: Header=BB90_13 Depth=1
	v_cvt_f32_i32_e32 v8, v8
	s_waitcnt vmcnt(8)
	v_cvt_f32_f16_e32 v26, v26
	v_mov_b32_e32 v53, v55
	v_add_f32_e32 v4, v4, v8
	v_add_f32_e32 v4, v4, v26
	v_cvt_f16_f32_e32 v4, v4
	s_waitcnt lgkmcnt(0)
	v_lshl_add_u64 v[26:27], v[52:53], 1, s[20:21]
	global_store_short v[26:27], v4, off
	s_or_b64 exec, exec, s[4:5]
	v_cmp_ne_u32_e64 s[4:5], 0, v49
	s_and_saveexec_b64 s[6:7], s[4:5]
	s_cbranch_execz .LBB90_49
.LBB90_63:                              ;   in Loop: Header=BB90_13 Depth=1
	v_cvt_f32_i32_e32 v4, v7
	s_waitcnt vmcnt(7)
	v_cvt_f32_f16_e32 v7, v25
	v_mov_b32_e32 v59, v55
	s_waitcnt lgkmcnt(0)
	v_lshl_add_u64 v[26:27], v[58:59], 1, s[20:21]
	v_add_f32_e32 v0, v0, v4
	v_add_f32_e32 v0, v0, v7
	v_cvt_f16_f32_e32 v0, v0
	global_store_short v[26:27], v0, off
	s_or_b64 exec, exec, s[6:7]
	v_cmp_ne_u32_e64 s[6:7], 0, v50
	s_and_saveexec_b64 s[30:31], s[6:7]
	s_cbranch_execz .LBB90_50
.LBB90_64:                              ;   in Loop: Header=BB90_13 Depth=1
	v_cvt_f32_i32_e32 v0, v10
	s_waitcnt vmcnt(6)
	v_cvt_f32_f16_e32 v4, v24
	v_mov_b32_e32 v57, v55
	v_add_f32_e32 v0, v1, v0
	v_add_f32_e32 v0, v0, v4
	v_cvt_f16_f32_e32 v4, v0
	s_waitcnt lgkmcnt(0)
	v_lshl_add_u64 v[0:1], v[56:57], 1, s[20:21]
	global_store_short v[0:1], v4, off
	s_or_b64 exec, exec, s[30:31]
	v_add_u32_e32 v54, s11, v52
	s_and_saveexec_b64 s[30:31], vcc
	s_cbranch_execz .LBB90_51
.LBB90_65:                              ;   in Loop: Header=BB90_13 Depth=1
	v_cvt_f32_i32_e32 v0, v12
	s_waitcnt vmcnt(5)
	v_cvt_f32_f16_e32 v1, v23
	v_add_f32_e32 v0, v2, v0
	v_add_f32_e32 v0, v0, v1
	v_cvt_f16_f32_e32 v2, v0
	s_waitcnt lgkmcnt(0)
	v_lshl_add_u64 v[0:1], v[54:55], 1, s[20:21]
	global_store_short v[0:1], v2, off
	s_or_b64 exec, exec, s[30:31]
	s_and_saveexec_b64 s[30:31], s[4:5]
	s_cbranch_execz .LBB90_52
.LBB90_66:                              ;   in Loop: Header=BB90_13 Depth=1
	v_cvt_f32_i32_e32 v0, v6
	s_waitcnt vmcnt(4)
	v_cvt_f32_f16_e32 v1, v22
	v_add_f32_e32 v0, v3, v0
	v_add_f32_e32 v0, v0, v1
	v_cvt_f16_f32_e32 v2, v0
	v_add_u32_e32 v0, 1, v54
	v_mov_b32_e32 v1, v55
	s_waitcnt lgkmcnt(0)
	v_lshl_add_u64 v[0:1], v[0:1], 1, s[20:21]
	global_store_short v[0:1], v2, off
	s_or_b64 exec, exec, s[30:31]
	s_and_saveexec_b64 s[30:31], s[6:7]
	s_cbranch_execz .LBB90_53
.LBB90_67:                              ;   in Loop: Header=BB90_13 Depth=1
	v_cvt_f32_i32_e32 v0, v17
	s_waitcnt vmcnt(3)
	v_cvt_f32_f16_e32 v1, v21
	v_add_f32_e32 v0, v15, v0
	v_add_f32_e32 v0, v0, v1
	v_cvt_f16_f32_e32 v2, v0
	v_add_u32_e32 v0, 2, v54
	v_mov_b32_e32 v1, v55
	s_waitcnt lgkmcnt(0)
	v_lshl_add_u64 v[0:1], v[0:1], 1, s[20:21]
	global_store_short v[0:1], v2, off
	s_or_b64 exec, exec, s[30:31]
	v_add_u32_e32 v54, s11, v54
	s_and_saveexec_b64 s[30:31], vcc
	s_cbranch_execz .LBB90_54
.LBB90_68:                              ;   in Loop: Header=BB90_13 Depth=1
	v_cvt_f32_i32_e32 v0, v16
	s_waitcnt vmcnt(2)
	v_cvt_f32_f16_e32 v1, v20
	v_add_f32_e32 v0, v14, v0
	v_add_f32_e32 v0, v0, v1
	v_cvt_f16_f32_e32 v2, v0
	s_waitcnt lgkmcnt(0)
	v_lshl_add_u64 v[0:1], v[54:55], 1, s[20:21]
	global_store_short v[0:1], v2, off
	s_or_b64 exec, exec, s[30:31]
	s_and_saveexec_b64 s[30:31], s[4:5]
	s_cbranch_execz .LBB90_55
.LBB90_69:                              ;   in Loop: Header=BB90_13 Depth=1
	v_cvt_f32_i32_e32 v0, v13
	s_waitcnt vmcnt(1)
	v_cvt_f32_f16_e32 v1, v19
	v_add_f32_e32 v0, v11, v0
	v_add_f32_e32 v0, v0, v1
	v_cvt_f16_f32_e32 v2, v0
	v_add_u32_e32 v0, 1, v54
	v_mov_b32_e32 v1, v55
	s_waitcnt lgkmcnt(0)
	v_lshl_add_u64 v[0:1], v[0:1], 1, s[20:21]
	global_store_short v[0:1], v2, off
	s_or_b64 exec, exec, s[30:31]
	s_and_b64 exec, exec, s[6:7]
	s_cbranch_execnz .LBB90_56
	s_branch .LBB90_57
.LBB90_70:
	s_endpgm
	.section	.rodata,"a",@progbits
	.p2align	6, 0x0
	.amdhsa_kernel _Z12wvSplitK_hf_I6__halfLi64ELi3ELi16ELi8ELi2ELi3EEviiiiiiPKT_S3_S3_PS1_ii
		.amdhsa_group_segment_fixed_size 65536
		.amdhsa_private_segment_fixed_size 0
		.amdhsa_kernarg_size 64
		.amdhsa_user_sgpr_count 2
		.amdhsa_user_sgpr_dispatch_ptr 0
		.amdhsa_user_sgpr_queue_ptr 0
		.amdhsa_user_sgpr_kernarg_segment_ptr 1
		.amdhsa_user_sgpr_dispatch_id 0
		.amdhsa_user_sgpr_kernarg_preload_length 0
		.amdhsa_user_sgpr_kernarg_preload_offset 0
		.amdhsa_user_sgpr_private_segment_size 0
		.amdhsa_uses_dynamic_stack 0
		.amdhsa_enable_private_segment 0
		.amdhsa_system_sgpr_workgroup_id_x 1
		.amdhsa_system_sgpr_workgroup_id_y 0
		.amdhsa_system_sgpr_workgroup_id_z 0
		.amdhsa_system_sgpr_workgroup_info 0
		.amdhsa_system_vgpr_workitem_id 1
		.amdhsa_next_free_vgpr 81
		.amdhsa_next_free_sgpr 42
		.amdhsa_accum_offset 84
		.amdhsa_reserve_vcc 1
		.amdhsa_float_round_mode_32 0
		.amdhsa_float_round_mode_16_64 0
		.amdhsa_float_denorm_mode_32 3
		.amdhsa_float_denorm_mode_16_64 3
		.amdhsa_dx10_clamp 1
		.amdhsa_ieee_mode 1
		.amdhsa_fp16_overflow 0
		.amdhsa_tg_split 0
		.amdhsa_exception_fp_ieee_invalid_op 0
		.amdhsa_exception_fp_denorm_src 0
		.amdhsa_exception_fp_ieee_div_zero 0
		.amdhsa_exception_fp_ieee_overflow 0
		.amdhsa_exception_fp_ieee_underflow 0
		.amdhsa_exception_fp_ieee_inexact 0
		.amdhsa_exception_int_div_zero 0
	.end_amdhsa_kernel
	.section	.text._Z12wvSplitK_hf_I6__halfLi64ELi3ELi16ELi8ELi2ELi3EEviiiiiiPKT_S3_S3_PS1_ii,"axG",@progbits,_Z12wvSplitK_hf_I6__halfLi64ELi3ELi16ELi8ELi2ELi3EEviiiiiiPKT_S3_S3_PS1_ii,comdat
.Lfunc_end90:
	.size	_Z12wvSplitK_hf_I6__halfLi64ELi3ELi16ELi8ELi2ELi3EEviiiiiiPKT_S3_S3_PS1_ii, .Lfunc_end90-_Z12wvSplitK_hf_I6__halfLi64ELi3ELi16ELi8ELi2ELi3EEviiiiiiPKT_S3_S3_PS1_ii
                                        ; -- End function
	.section	.AMDGPU.csdata,"",@progbits
; Kernel info:
; codeLenInByte = 4268
; NumSgprs: 48
; NumVgprs: 81
; NumAgprs: 0
; TotalNumVgprs: 81
; ScratchSize: 0
; MemoryBound: 1
; FloatMode: 240
; IeeeMode: 1
; LDSByteSize: 65536 bytes/workgroup (compile time only)
; SGPRBlocks: 5
; VGPRBlocks: 10
; NumSGPRsForWavesPerEU: 48
; NumVGPRsForWavesPerEU: 81
; AccumOffset: 84
; Occupancy: 4
; WaveLimiterHint : 0
; COMPUTE_PGM_RSRC2:SCRATCH_EN: 0
; COMPUTE_PGM_RSRC2:USER_SGPR: 2
; COMPUTE_PGM_RSRC2:TRAP_HANDLER: 0
; COMPUTE_PGM_RSRC2:TGID_X_EN: 1
; COMPUTE_PGM_RSRC2:TGID_Y_EN: 0
; COMPUTE_PGM_RSRC2:TGID_Z_EN: 0
; COMPUTE_PGM_RSRC2:TIDIG_COMP_CNT: 1
; COMPUTE_PGM_RSRC3_GFX90A:ACCUM_OFFSET: 20
; COMPUTE_PGM_RSRC3_GFX90A:TG_SPLIT: 0
	.section	.text._Z16wvSplitK_hf_big_I6__halfLi64ELi3ELi16ELi8ELi2ELi3EEviiiiiiPKT_S3_S3_PS1_ii,"axG",@progbits,_Z16wvSplitK_hf_big_I6__halfLi64ELi3ELi16ELi8ELi2ELi3EEviiiiiiPKT_S3_S3_PS1_ii,comdat
	.protected	_Z16wvSplitK_hf_big_I6__halfLi64ELi3ELi16ELi8ELi2ELi3EEviiiiiiPKT_S3_S3_PS1_ii ; -- Begin function _Z16wvSplitK_hf_big_I6__halfLi64ELi3ELi16ELi8ELi2ELi3EEviiiiiiPKT_S3_S3_PS1_ii
	.globl	_Z16wvSplitK_hf_big_I6__halfLi64ELi3ELi16ELi8ELi2ELi3EEviiiiiiPKT_S3_S3_PS1_ii
	.p2align	8
	.type	_Z16wvSplitK_hf_big_I6__halfLi64ELi3ELi16ELi8ELi2ELi3EEviiiiiiPKT_S3_S3_PS1_ii,@function
_Z16wvSplitK_hf_big_I6__halfLi64ELi3ELi16ELi8ELi2ELi3EEviiiiiiPKT_S3_S3_PS1_ii: ; @_Z16wvSplitK_hf_big_I6__halfLi64ELi3ELi16ELi8ELi2ELi3EEviiiiiiPKT_S3_S3_PS1_ii
; %bb.0:
	s_load_dwordx2 s[8:9], s[0:1], 0x38
	v_bfe_u32 v1, v0, 10, 10
	s_waitcnt lgkmcnt(0)
	v_cmp_gt_u32_e32 vcc, s8, v1
	s_and_saveexec_b64 s[4:5], vcc
	s_cbranch_execz .LBB91_58
; %bb.1:
	s_load_dwordx4 s[20:23], s[0:1], 0x0
	s_mul_i32 s2, s2, s8
	v_add_u32_e32 v2, s2, v1
	v_lshl_add_u32 v52, v2, 1, v2
	s_mov_b32 s4, 1
	v_add_u32_e32 v2, 3, v52
	s_mov_b32 s6, s4
	s_waitcnt lgkmcnt(0)
	v_cmp_gt_u32_e32 vcc, s23, v52
	v_cmp_le_u32_e64 s[2:3], s23, v2
	s_mov_b32 s5, s4
	v_mov_b32_e32 v50, s6
	s_and_b64 s[10:11], vcc, s[2:3]
	v_mov_b32_e32 v49, s5
	v_mov_b32_e32 v48, s4
	s_and_saveexec_b64 s[2:3], s[10:11]
	s_cbranch_execz .LBB91_7
; %bb.2:
	s_add_i32 s7, s23, -3
	v_mov_b32_e32 v50, s6
	v_cmp_ne_u32_e32 vcc, s7, v52
	v_mov_b32_e32 v49, s5
	v_mov_b32_e32 v48, s4
	s_and_saveexec_b64 s[10:11], vcc
	s_cbranch_execz .LBB91_6
; %bb.3:
	v_subrev_u32_e32 v2, s7, v52
	v_cmp_lt_u32_e32 vcc, 1, v2
	s_mov_b64 s[12:13], 0
	s_mov_b64 s[14:15], 0
	v_cndmask_b32_e32 v2, 1, v2, vcc
	s_mov_b32 s5, s4
	s_mov_b32 s6, s4
.LBB91_4:                               ; =>This Inner Loop Header: Depth=1
	s_cmp_lg_u32 s14, 2
	s_cselect_b32 s6, s6, 0
	s_cmp_lg_u32 s14, 1
	s_cselect_b32 s5, s5, 0
	;; [unrolled: 2-line block ×3, first 2 shown]
	s_add_u32 s14, s14, 1
	s_addc_u32 s15, s15, 0
	v_cmp_eq_u32_e32 vcc, s14, v2
	v_mov_b32_e32 v50, s6
	s_or_b64 s[12:13], vcc, s[12:13]
	v_mov_b32_e32 v49, s5
	v_mov_b32_e32 v48, s4
	s_andn2_b64 exec, exec, s[12:13]
	s_cbranch_execnz .LBB91_4
; %bb.5:
	s_or_b64 exec, exec, s[12:13]
	v_mov_b32_e32 v52, s7
.LBB91_6:
	s_or_b64 exec, exec, s[10:11]
.LBB91_7:
	s_or_b64 exec, exec, s[2:3]
	s_mul_i32 s44, s8, 3
	s_abs_i32 s2, s44
	v_cvt_f32_u32_e32 v2, s2
	s_sub_i32 s5, 0, s2
	s_abs_i32 s4, s23
	s_ashr_i32 s3, s23, 31
	v_rcp_iflag_f32_e32 v2, v2
	s_nop 0
	v_mul_f32_e32 v2, 0x4f7ffffe, v2
	v_cvt_u32_f32_e32 v2, v2
	s_nop 0
	v_readfirstlane_b32 s6, v2
	s_mul_i32 s5, s5, s6
	s_mul_hi_u32 s5, s6, s5
	s_add_i32 s6, s6, s5
	s_mul_hi_u32 s5, s4, s6
	s_mul_i32 s5, s5, s2
	s_sub_i32 s4, s4, s5
	s_sub_i32 s5, s4, s2
	s_cmp_ge_u32 s4, s2
	s_cselect_b32 s4, s5, s4
	s_sub_i32 s5, s4, s2
	s_cmp_ge_u32 s4, s2
	s_cselect_b32 s2, s5, s4
	s_xor_b32 s2, s2, s3
	s_sub_i32 s2, s2, s3
	s_add_i32 s3, s44, s23
	s_sub_i32 s3, s3, s2
	s_cmp_eq_u32 s2, 0
	s_cselect_b32 s33, s23, s3
	v_cmp_gt_u32_e32 vcc, s33, v52
	s_and_b64 exec, exec, vcc
	s_cbranch_execz .LBB91_58
; %bb.8:
	s_load_dwordx8 s[12:19], s[0:1], 0x10
	s_min_u32 s40, s22, 0x2800
	s_cmp_lg_u32 s20, 0
	s_cselect_b64 s[2:3], -1, 0
	s_cmp_lg_u32 s22, 0
	s_cselect_b64 s[4:5], -1, 0
	s_lshl_b32 s41, s8, 9
	s_add_i32 s42, s20, -8
	s_add_i32 s43, s23, -1
	s_waitcnt lgkmcnt(0)
	s_cmp_lg_u64 s[18:19], 0
	s_cselect_b64 s[26:27], -1, 0
	s_abs_i32 s6, s13
	v_cvt_f32_u32_e32 v2, s12
	v_cvt_f32_u32_e32 v3, s6
	s_sub_i32 s7, 0, s12
	s_mul_i32 s44, s44, s9
	v_rcp_iflag_f32_e32 v2, v2
	v_rcp_iflag_f32_e32 v3, v3
	s_add_i32 s13, s23, -3
	s_load_dwordx2 s[10:11], s[0:1], 0x30
	v_mul_f32_e32 v2, 0x4f7ffffe, v2
	v_mul_f32_e32 v3, 0x4f7ffffe, v3
	v_cvt_u32_f32_e32 v2, v2
	v_cvt_u32_f32_e32 v3, v3
	v_and_b32_e32 v0, 0x3ff, v0
	v_lshlrev_b32_e32 v51, 3, v0
	v_mul_lo_u32 v4, s7, v2
	s_sub_i32 s7, 0, s6
	v_readfirstlane_b32 s9, v3
	s_mul_i32 s7, s7, s9
	s_mul_hi_u32 s7, s9, s7
	s_add_i32 s9, s9, s7
	s_sub_i32 s7, 1, s6
	s_cmp_lt_u32 s6, 2
	s_cselect_b32 s7, s7, 1
	s_sub_i32 s28, s7, s6
	s_cmp_ge_u32 s7, s6
	s_cselect_b32 s45, s28, s7
	s_lshr_b32 s7, s9, 31
	s_mul_i32 s7, s7, s6
	s_sub_i32 s7, 2, s7
	s_sub_i32 s9, s7, s6
	s_cmp_ge_u32 s7, s6
	s_cselect_b32 s7, s9, s7
	v_cmp_eq_u32_e64 s[0:1], 63, v0
	s_sub_i32 s9, s7, s6
	v_lshlrev_b32_e32 v0, 4, v0
	s_cmp_ge_u32 s7, s6
	v_lshl_add_u32 v63, v1, 10, v0
	v_cndmask_b32_e64 v0, 0, 1, s[2:3]
	v_mul_hi_u32 v4, v2, v4
	s_cselect_b32 s46, s9, s7
	s_waitcnt lgkmcnt(0)
	s_add_u32 s28, s10, 2
	v_lshl_add_u32 v64, v1, 9, v51
	v_cmp_ne_u32_e64 s[2:3], 1, v0
	v_cndmask_b32_e64 v0, 0, 1, s[4:5]
	s_mov_b64 s[24:25], 0
	v_add_u32_e32 v62, v2, v4
	v_mov_b32_e32 v55, 0
	s_mul_i32 s45, s45, s12
	s_mul_i32 s46, s46, s12
	s_addc_u32 s29, s11, 0
	s_lshl_b32 s47, s40, 2
	s_lshl_b32 s48, s8, 10
	s_lshl_b32 s49, s40, 1
	v_lshl_add_u32 v65, s22, 1, v64
	v_add_u32_e32 v66, s22, v64
	v_cmp_ne_u32_e64 s[4:5], 1, v0
	s_branch .LBB91_12
.LBB91_9:                               ;   in Loop: Header=BB91_12 Depth=1
	s_or_b64 exec, exec, s[34:35]
	v_mov_b32_e32 v52, s13
.LBB91_10:                              ;   in Loop: Header=BB91_12 Depth=1
	s_or_b64 exec, exec, s[8:9]
.LBB91_11:                              ;   in Loop: Header=BB91_12 Depth=1
	s_or_b64 exec, exec, s[30:31]
	v_cmp_le_u32_e32 vcc, s33, v52
	s_or_b64 s[24:25], vcc, s[24:25]
	s_andn2_b64 exec, exec, s[24:25]
	s_cbranch_execz .LBB91_58
.LBB91_12:                              ; =>This Loop Header: Depth=1
                                        ;     Child Loop BB91_17 Depth 2
                                        ;       Child Loop BB91_22 Depth 3
                                        ;     Child Loop BB91_48 Depth 2
	s_mov_b32 s36, 0
	s_and_b64 vcc, exec, s[2:3]
	v_mov_b32_e32 v74, v55
	v_mov_b32_e32 v73, v55
	;; [unrolled: 1-line block ×9, first 2 shown]
	s_cbranch_vccnz .LBB91_29
; %bb.13:                               ;   in Loop: Header=BB91_12 Depth=1
	v_min_u32_e32 v0, s43, v52
	v_mul_lo_u32 v54, v0, s21
	v_add_u32_e32 v0, 1, v52
	v_add_u32_e32 v2, 2, v52
	v_min_u32_e32 v0, s43, v0
	v_min_u32_e32 v2, s43, v2
	v_mul_lo_u32 v0, v0, s21
	v_mov_b32_e32 v1, v55
	v_mul_lo_u32 v2, v2, s21
	v_mov_b32_e32 v3, v55
	v_cmp_gt_u32_e64 s[6:7], s23, v52
	v_mov_b32_e32 v68, 0
	v_lshlrev_b64 v[56:57], 1, v[54:55]
	v_lshlrev_b64 v[58:59], 1, v[0:1]
	;; [unrolled: 1-line block ×3, first 2 shown]
	v_mov_b32_e32 v67, 0
	v_mov_b32_e32 v53, 0
	;; [unrolled: 1-line block ×8, first 2 shown]
	s_mov_b32 s37, 0
	s_branch .LBB91_17
.LBB91_14:                              ;   in Loop: Header=BB91_17 Depth=2
	s_or_b64 exec, exec, s[34:35]
.LBB91_15:                              ;   in Loop: Header=BB91_17 Depth=2
	s_or_b64 exec, exec, s[30:31]
	s_waitcnt vmcnt(5) lgkmcnt(2)
	;;#ASMSTART
	v_dot2c_f32_f16 v74, v44, v32
	;;#ASMEND
	s_waitcnt vmcnt(4)
	;;#ASMSTART
	v_dot2c_f32_f16 v73, v44, v28
	;;#ASMEND
	s_waitcnt vmcnt(3)
	;;#ASMSTART
	v_dot2c_f32_f16 v72, v44, v24
	;;#ASMEND
	s_waitcnt lgkmcnt(1)
	;;#ASMSTART
	v_dot2c_f32_f16 v71, v40, v32
	;;#ASMEND
	;;#ASMSTART
	v_dot2c_f32_f16 v70, v40, v28
	;;#ASMEND
	;; [unrolled: 3-line block ×3, first 2 shown]
	s_waitcnt lgkmcnt(0)
	;;#ASMSTART
	v_dot2c_f32_f16 v68, v36, v32
	;;#ASMEND
	;;#ASMSTART
	v_dot2c_f32_f16 v67, v36, v28
	;;#ASMEND
	;;#ASMSTART
	v_dot2c_f32_f16 v53, v36, v24
	;;#ASMEND
	;;#ASMSTART
	v_dot2c_f32_f16 v74, v45, v33
	;;#ASMEND
	;;#ASMSTART
	v_dot2c_f32_f16 v73, v45, v29
	;;#ASMEND
	;;#ASMSTART
	v_dot2c_f32_f16 v72, v45, v25
	;;#ASMEND
	;;#ASMSTART
	v_dot2c_f32_f16 v71, v41, v33
	;;#ASMEND
	;;#ASMSTART
	v_dot2c_f32_f16 v70, v41, v29
	;;#ASMEND
	;;#ASMSTART
	v_dot2c_f32_f16 v69, v41, v25
	;;#ASMEND
	s_nop 0
	;;#ASMSTART
	v_dot2c_f32_f16 v68, v37, v33
	;;#ASMEND
	;;#ASMSTART
	v_dot2c_f32_f16 v67, v37, v29
	;;#ASMEND
	;;#ASMSTART
	v_dot2c_f32_f16 v53, v37, v25
	;;#ASMEND
	;;#ASMSTART
	v_dot2c_f32_f16 v74, v46, v34
	;;#ASMEND
	;;#ASMSTART
	v_dot2c_f32_f16 v73, v46, v30
	;;#ASMEND
	;;#ASMSTART
	v_dot2c_f32_f16 v72, v46, v26
	;;#ASMEND
	;;#ASMSTART
	v_dot2c_f32_f16 v71, v42, v34
	;;#ASMEND
	;;#ASMSTART
	v_dot2c_f32_f16 v70, v42, v30
	;;#ASMEND
	;;#ASMSTART
	v_dot2c_f32_f16 v69, v42, v26
	;;#ASMEND
	s_nop 0
	;; [unrolled: 28-line block ×3, first 2 shown]
	;;#ASMSTART
	v_dot2c_f32_f16 v68, v39, v35
	;;#ASMEND
	;;#ASMSTART
	v_dot2c_f32_f16 v67, v39, v31
	;;#ASMEND
	;; [unrolled: 3-line block ×3, first 2 shown]
	s_waitcnt vmcnt(2)
	;;#ASMSTART
	v_dot2c_f32_f16 v74, v20, v8
	;;#ASMEND
	s_waitcnt vmcnt(1)
	;;#ASMSTART
	v_dot2c_f32_f16 v73, v20, v4
	;;#ASMEND
	;; [unrolled: 4-line block ×3, first 2 shown]
	;;#ASMSTART
	v_dot2c_f32_f16 v71, v16, v8
	;;#ASMEND
	;;#ASMSTART
	v_dot2c_f32_f16 v70, v16, v4
	;;#ASMEND
	;;#ASMSTART
	v_dot2c_f32_f16 v69, v16, v0
	;;#ASMEND
	;;#ASMSTART
	v_dot2c_f32_f16 v68, v12, v8
	;;#ASMEND
	;;#ASMSTART
	v_dot2c_f32_f16 v67, v12, v4
	;;#ASMEND
	;;#ASMSTART
	v_dot2c_f32_f16 v53, v12, v0
	;;#ASMEND
	;;#ASMSTART
	v_dot2c_f32_f16 v74, v21, v9
	;;#ASMEND
	;;#ASMSTART
	v_dot2c_f32_f16 v73, v21, v5
	;;#ASMEND
	s_nop 0
	;;#ASMSTART
	v_dot2c_f32_f16 v72, v21, v1
	;;#ASMEND
	;;#ASMSTART
	v_dot2c_f32_f16 v71, v17, v9
	;;#ASMEND
	;;#ASMSTART
	v_dot2c_f32_f16 v70, v17, v5
	;;#ASMEND
	;;#ASMSTART
	v_dot2c_f32_f16 v69, v17, v1
	;;#ASMEND
	;;#ASMSTART
	v_dot2c_f32_f16 v68, v13, v9
	;;#ASMEND
	;;#ASMSTART
	v_dot2c_f32_f16 v67, v13, v5
	;;#ASMEND
	;;#ASMSTART
	v_dot2c_f32_f16 v53, v13, v1
	;;#ASMEND
	;;#ASMSTART
	v_dot2c_f32_f16 v74, v22, v10
	;;#ASMEND
	;;#ASMSTART
	v_dot2c_f32_f16 v73, v22, v6
	;;#ASMEND
	s_nop 0
	;;#ASMSTART
	v_dot2c_f32_f16 v72, v22, v2
	;;#ASMEND
	;; [unrolled: 28-line block ×3, first 2 shown]
	;;#ASMSTART
	v_dot2c_f32_f16 v71, v19, v11
	;;#ASMEND
	;;#ASMSTART
	v_dot2c_f32_f16 v70, v19, v7
	;;#ASMEND
	;;#ASMSTART
	v_dot2c_f32_f16 v69, v19, v3
	;;#ASMEND
	;;#ASMSTART
	v_dot2c_f32_f16 v68, v15, v11
	;;#ASMEND
	;;#ASMSTART
	v_dot2c_f32_f16 v67, v15, v7
	;;#ASMEND
	;;#ASMSTART
	v_dot2c_f32_f16 v53, v15, v3
	;;#ASMEND
.LBB91_16:                              ;   in Loop: Header=BB91_17 Depth=2
	s_or_b64 exec, exec, s[8:9]
	s_addk_i32 s37, 0x400
	s_cmp_ge_u32 s37, s20
	s_cbranch_scc1 .LBB91_29
.LBB91_17:                              ;   Parent Loop BB91_12 Depth=1
                                        ; =>  This Loop Header: Depth=2
                                        ;       Child Loop BB91_22 Depth 3
	s_cmp_eq_u32 s37, 0
	s_cselect_b64 s[8:9], -1, 0
	s_add_i32 s30, s36, s40
	s_cmp_eq_u32 s37, s30
	s_cselect_b64 s[34:35], -1, 0
	s_or_b64 s[34:35], s[8:9], s[34:35]
	s_andn2_b64 vcc, exec, s[34:35]
	s_cbranch_vccz .LBB91_19
; %bb.18:                               ;   in Loop: Header=BB91_17 Depth=2
	s_and_saveexec_b64 s[8:9], s[6:7]
	s_cbranch_execz .LBB91_16
	s_branch .LBB91_26
.LBB91_19:                              ;   in Loop: Header=BB91_17 Depth=2
	s_and_b64 s[8:9], s[8:9], exec
	s_cselect_b32 s36, s36, s30
	s_and_b64 vcc, exec, s[4:5]
	s_barrier
	s_cbranch_vccnz .LBB91_25
; %bb.20:                               ;   in Loop: Header=BB91_17 Depth=2
	v_add_u32_e32 v0, s36, v65
	v_add_u32_e32 v1, s36, v66
	;; [unrolled: 1-line block ×3, first 2 shown]
	s_mov_b32 s38, 0
	s_mov_b64 s[30:31], 0
	v_mov_b32_e32 v3, v63
                                        ; implicit-def: $sgpr34_sgpr35
	s_branch .LBB91_22
.LBB91_21:                              ;   in Loop: Header=BB91_22 Depth=3
	s_or_b64 exec, exec, s[8:9]
	s_and_b64 s[8:9], exec, s[34:35]
	s_or_b64 s[30:31], s[8:9], s[30:31]
	s_andn2_b64 exec, exec, s[30:31]
	s_cbranch_execz .LBB91_24
.LBB91_22:                              ;   Parent Loop BB91_12 Depth=1
                                        ;     Parent Loop BB91_17 Depth=2
                                        ; =>    This Inner Loop Header: Depth=3
	v_add_u32_e32 v4, s38, v64
	v_add_u32_e32 v54, s38, v2
	v_cmp_gt_u32_e32 vcc, s22, v54
	v_cmp_gt_u32_e64 s[8:9], s40, v4
	s_and_b64 s[50:51], s[8:9], vcc
	s_or_b64 s[34:35], s[34:35], exec
	s_and_saveexec_b64 s[8:9], s[50:51]
	s_cbranch_execz .LBB91_21
; %bb.23:                               ;   in Loop: Header=BB91_22 Depth=3
	v_lshl_add_u64 v[12:13], v[54:55], 1, s[16:17]
	v_add_u32_e32 v54, s38, v1
	v_lshl_add_u64 v[14:15], v[54:55], 1, s[16:17]
	v_add_u32_e32 v54, s38, v0
	global_load_dwordx4 v[4:7], v[12:13], off
	global_load_dwordx4 v[8:11], v[14:15], off
	v_lshl_add_u64 v[12:13], v[54:55], 1, s[16:17]
	global_load_dwordx4 v[12:15], v[12:13], off
	s_add_i32 s38, s38, s41
	s_cmp_ge_u32 s38, s40
	s_cselect_b64 s[50:51], -1, 0
	s_andn2_b64 s[34:35], s[34:35], exec
	s_and_b64 s[50:51], s[50:51], exec
	v_add_u32_e32 v16, s49, v3
	v_add_u32_e32 v17, s47, v3
	s_or_b64 s[34:35], s[34:35], s[50:51]
	s_waitcnt vmcnt(2)
	ds_write_b128 v3, v[4:7]
	v_add_u32_e32 v3, s48, v3
	s_waitcnt vmcnt(1)
	ds_write2_b64 v16, v[8:9], v[10:11] offset1:1
	s_waitcnt vmcnt(0)
	ds_write2_b32 v17, v12, v13 offset1:1
	ds_write2_b32 v17, v14, v15 offset0:2 offset1:3
	s_branch .LBB91_21
.LBB91_24:                              ;   in Loop: Header=BB91_17 Depth=2
	s_or_b64 exec, exec, s[30:31]
.LBB91_25:                              ;   in Loop: Header=BB91_17 Depth=2
	s_waitcnt lgkmcnt(0)
	s_barrier
	s_and_saveexec_b64 s[8:9], s[6:7]
	s_cbranch_execz .LBB91_16
.LBB91_26:                              ;   in Loop: Header=BB91_17 Depth=2
	v_add_u32_e32 v75, s37, v51
	v_min_u32_e32 v54, s42, v75
	v_lshl_add_u64 v[0:1], v[54:55], 1, s[14:15]
	v_add_u32_e32 v76, 0x200, v75
	v_lshl_add_u64 v[2:3], v[0:1], 0, v[56:57]
	v_min_u32_e32 v54, s42, v76
	v_lshl_add_u64 v[4:5], v[0:1], 0, v[58:59]
	global_load_dwordx4 v[32:35], v[2:3], off nt
	global_load_dwordx4 v[28:31], v[4:5], off nt
	v_lshl_add_u64 v[2:3], v[54:55], 1, s[14:15]
	v_lshl_add_u64 v[0:1], v[0:1], 0, v[60:61]
	;; [unrolled: 1-line block ×4, first 2 shown]
	global_load_dwordx4 v[24:27], v[0:1], off nt
	global_load_dwordx4 v[8:11], v[4:5], off nt
	v_lshl_add_u64 v[14:15], v[2:3], 0, v[60:61]
	global_load_dwordx4 v[4:7], v[12:13], off nt
	global_load_dwordx4 v[0:3], v[14:15], off nt
	v_cmp_gt_u32_e32 vcc, s20, v75
	v_mov_b32_e32 v44, 0
	v_mov_b32_e32 v45, 0
	;; [unrolled: 1-line block ×12, first 2 shown]
	s_waitcnt vmcnt(7)
	v_mov_b32_e32 v20, 0
	v_mov_b32_e32 v21, 0
	;; [unrolled: 1-line block ×7, first 2 shown]
	s_waitcnt vmcnt(6)
	v_mov_b32_e32 v19, 0
	v_mov_b32_e32 v12, 0
	;; [unrolled: 1-line block ×5, first 2 shown]
	s_and_saveexec_b64 s[30:31], vcc
	s_cbranch_execz .LBB91_15
; %bb.27:                               ;   in Loop: Header=BB91_17 Depth=2
	v_subrev_u32_e32 v12, s36, v75
	v_lshlrev_b32_e32 v77, 1, v12
	v_add_u32_e32 v75, s49, v77
	v_add_u32_e32 v54, s49, v75
	ds_read_b128 v[44:47], v77
	ds_read_b128 v[40:43], v75
	;; [unrolled: 1-line block ×3, first 2 shown]
	v_cmp_gt_u32_e32 vcc, s20, v76
	v_mov_b32_e32 v15, 0
	v_mov_b32_e32 v14, 0
	;; [unrolled: 1-line block ×12, first 2 shown]
	s_and_saveexec_b64 s[34:35], vcc
	s_cbranch_execz .LBB91_14
; %bb.28:                               ;   in Loop: Header=BB91_17 Depth=2
	ds_read_b128 v[20:23], v77 offset:1024
	ds_read_b128 v[16:19], v75 offset:1024
	;; [unrolled: 1-line block ×3, first 2 shown]
	s_branch .LBB91_14
.LBB91_29:                              ;   in Loop: Header=BB91_12 Depth=1
	v_cmp_le_u32_e32 vcc, s23, v52
	s_and_saveexec_b64 s[6:7], vcc
	s_xor_b64 s[6:7], exec, s[6:7]
; %bb.30:                               ;   in Loop: Header=BB91_12 Depth=1
	v_add_u32_e32 v52, s44, v52
                                        ; implicit-def: $vgpr74
                                        ; implicit-def: $vgpr73
                                        ; implicit-def: $vgpr72
                                        ; implicit-def: $vgpr71
                                        ; implicit-def: $vgpr70
                                        ; implicit-def: $vgpr69
                                        ; implicit-def: $vgpr53
                                        ; implicit-def: $vgpr67
                                        ; implicit-def: $vgpr68
; %bb.31:                               ;   in Loop: Header=BB91_12 Depth=1
	s_andn2_saveexec_b64 s[30:31], s[6:7]
	s_cbranch_execz .LBB91_11
; %bb.32:                               ;   in Loop: Header=BB91_12 Depth=1
	v_cvt_i32_f32_e32 v0, v74
	v_cvt_i32_f32_e32 v1, v73
	;; [unrolled: 1-line block ×4, first 2 shown]
	v_cvt_f32_i32_dpp v0, v0 row_shr:8 row_mask:0xf bank_mask:0xf bound_ctrl:1
	v_cvt_f32_i32_dpp v1, v1 row_shr:8 row_mask:0xf bank_mask:0xf bound_ctrl:1
	;; [unrolled: 1-line block ×4, first 2 shown]
	v_add_f32_e32 v0, v74, v0
	v_cvt_i32_f32_e32 v5, v0
	v_add_f32_e32 v1, v73, v1
	v_cvt_i32_f32_e32 v6, v1
	v_add_f32_e32 v2, v72, v2
	v_cvt_f32_i32_dpp v5, v5 row_shr:4 row_mask:0xf bank_mask:0xf bound_ctrl:1
	v_cvt_i32_f32_e32 v7, v2
	v_cvt_f32_i32_dpp v6, v6 row_shr:4 row_mask:0xf bank_mask:0xf bound_ctrl:1
	v_add_f32_e32 v3, v71, v3
	v_add_f32_e32 v0, v0, v5
	v_cvt_i32_f32_e32 v5, v0
	v_add_f32_e32 v1, v1, v6
	v_cvt_i32_f32_e32 v6, v1
	v_cvt_i32_f32_e32 v4, v70
	v_cvt_f32_i32_dpp v5, v5 row_shr:2 row_mask:0xf bank_mask:0xf bound_ctrl:1
	v_cvt_i32_f32_e32 v8, v3
	v_cvt_f32_i32_dpp v6, v6 row_shr:2 row_mask:0xf bank_mask:0xf bound_ctrl:1
	v_cvt_f32_i32_dpp v7, v7 row_shr:4 row_mask:0xf bank_mask:0xf bound_ctrl:1
	v_add_f32_e32 v0, v0, v5
	v_cvt_i32_f32_e32 v5, v0
	v_add_f32_e32 v1, v1, v6
	v_cvt_i32_f32_e32 v6, v1
	v_cvt_f32_i32_dpp v4, v4 row_shr:8 row_mask:0xf bank_mask:0xf bound_ctrl:1
	v_cvt_f32_i32_dpp v5, v5 row_shr:1 row_mask:0xf bank_mask:0xf bound_ctrl:1
	;; [unrolled: 1-line block ×4, first 2 shown]
	v_add_f32_e32 v2, v2, v7
	v_add_f32_e32 v0, v0, v5
	v_cvt_i32_f32_e32 v5, v0
	v_add_f32_e32 v1, v1, v6
	v_cvt_i32_f32_e32 v6, v1
	v_cvt_i32_f32_e32 v7, v2
	v_cvt_f32_i32_dpp v5, v5 row_bcast:15 row_mask:0xf bank_mask:0xf bound_ctrl:1
	v_add_f32_e32 v4, v70, v4
	v_cvt_f32_i32_dpp v6, v6 row_bcast:15 row_mask:0xf bank_mask:0xf bound_ctrl:1
	v_cvt_f32_i32_dpp v7, v7 row_shr:2 row_mask:0xf bank_mask:0xf bound_ctrl:1
	v_add_f32_e32 v5, v0, v5
	v_cvt_i32_f32_e32 v0, v5
	v_add_f32_e32 v1, v1, v6
	v_cvt_i32_f32_e32 v6, v4
	v_add_f32_e32 v2, v2, v7
	v_mov_b32_dpp v9, v0 row_bcast:31 row_mask:0xf bank_mask:0xf bound_ctrl:1
	v_add_f32_e32 v0, v3, v8
	v_cvt_i32_f32_e32 v3, v0
	v_cvt_f32_i32_dpp v6, v6 row_shr:4 row_mask:0xf bank_mask:0xf bound_ctrl:1
	v_cvt_i32_f32_e32 v7, v2
	v_cvt_i32_f32_e32 v8, v1
	v_cvt_f32_i32_dpp v3, v3 row_shr:2 row_mask:0xf bank_mask:0xf bound_ctrl:1
	v_add_f32_e32 v4, v4, v6
	v_cvt_i32_f32_e32 v6, v4
	v_cvt_f32_i32_dpp v7, v7 row_shr:1 row_mask:0xf bank_mask:0xf bound_ctrl:1
	v_add_f32_e32 v0, v0, v3
	;; [unrolled: 3-line block ×4, first 2 shown]
	v_cvt_i32_f32_e32 v6, v4
	v_cvt_f32_i32_dpp v7, v7 row_bcast:15 row_mask:0xf bank_mask:0xf bound_ctrl:1
	v_add_f32_e32 v0, v0, v3
	v_cvt_i32_f32_e32 v3, v69
	v_cvt_f32_i32_dpp v6, v6 row_shr:1 row_mask:0xf bank_mask:0xf bound_ctrl:1
	v_add_f32_e32 v2, v2, v7
	v_cvt_i32_f32_e32 v7, v0
	v_cvt_f32_i32_dpp v3, v3 row_shr:8 row_mask:0xf bank_mask:0xf bound_ctrl:1
	v_cvt_i32_f32_e32 v10, v2
	v_add_f32_e32 v4, v4, v6
	v_cvt_f32_i32_dpp v7, v7 row_bcast:15 row_mask:0xf bank_mask:0xf bound_ctrl:1
	v_add_f32_e32 v12, v69, v3
	v_cvt_i32_f32_e32 v3, v12
	v_cvt_i32_f32_e32 v6, v4
	v_mov_b32_dpp v11, v10 row_bcast:31 row_mask:0xf bank_mask:0xf bound_ctrl:1
	v_mov_b32_dpp v8, v8 row_bcast:31 row_mask:0xf bank_mask:0xf bound_ctrl:1
	v_cvt_f32_i32_dpp v10, v3 row_shr:4 row_mask:0xf bank_mask:0xf bound_ctrl:1
	v_add_f32_e32 v3, v0, v7
	v_cvt_f32_i32_dpp v0, v6 row_bcast:15 row_mask:0xf bank_mask:0xf bound_ctrl:1
	v_cvt_i32_f32_e32 v6, v68
	v_add_f32_e32 v7, v12, v10
	v_cvt_i32_f32_e32 v10, v7
	v_add_f32_e32 v4, v4, v0
	v_cvt_f32_i32_dpp v6, v6 row_shr:8 row_mask:0xf bank_mask:0xf bound_ctrl:1
	v_cvt_i32_f32_e32 v12, v3
	v_cvt_f32_i32_dpp v0, v10 row_shr:2 row_mask:0xf bank_mask:0xf bound_ctrl:1
	v_cvt_i32_f32_e32 v10, v4
	v_add_f32_e32 v6, v68, v6
	v_cvt_i32_f32_e32 v14, v6
	v_add_f32_e32 v0, v7, v0
	v_cvt_i32_f32_e32 v15, v0
	v_mov_b32_dpp v13, v12 row_bcast:31 row_mask:0xf bank_mask:0xf bound_ctrl:1
	v_cvt_f32_i32_dpp v12, v14 row_shr:4 row_mask:0xf bank_mask:0xf bound_ctrl:1
	v_mov_b32_dpp v7, v10 row_bcast:31 row_mask:0xf bank_mask:0xf bound_ctrl:1
	v_cvt_f32_i32_dpp v10, v15 row_shr:1 row_mask:0xf bank_mask:0xf bound_ctrl:1
	v_cvt_i32_f32_e32 v14, v67
	v_add_f32_e32 v6, v6, v12
	v_cvt_i32_f32_e32 v12, v53
	v_add_f32_e32 v0, v0, v10
	v_cvt_f32_i32_dpp v14, v14 row_shr:8 row_mask:0xf bank_mask:0xf bound_ctrl:1
	v_cvt_i32_f32_e32 v15, v6
	v_cvt_f32_i32_dpp v10, v12 row_shr:8 row_mask:0xf bank_mask:0xf bound_ctrl:1
	v_cvt_i32_f32_e32 v17, v0
	v_add_f32_e32 v14, v67, v14
	v_cvt_f32_i32_dpp v12, v15 row_shr:2 row_mask:0xf bank_mask:0xf bound_ctrl:1
	v_add_f32_e32 v10, v53, v10
	v_cvt_i32_f32_e32 v15, v14
	v_cvt_i32_f32_e32 v16, v10
	v_add_f32_e32 v6, v6, v12
	v_cvt_f32_i32_dpp v17, v17 row_bcast:15 row_mask:0xf bank_mask:0xf bound_ctrl:1
	v_cvt_f32_i32_dpp v15, v15 row_shr:4 row_mask:0xf bank_mask:0xf bound_ctrl:1
	v_cvt_f32_i32_dpp v12, v16 row_shr:4 row_mask:0xf bank_mask:0xf bound_ctrl:1
	v_cvt_i32_f32_e32 v16, v6
	v_add_f32_e32 v14, v14, v15
	v_add_f32_e32 v10, v10, v12
	v_cvt_i32_f32_e32 v15, v14
	v_cvt_i32_f32_e32 v12, v10
	v_cvt_f32_i32_dpp v16, v16 row_shr:1 row_mask:0xf bank_mask:0xf bound_ctrl:1
	v_cvt_f32_i32_dpp v15, v15 row_shr:2 row_mask:0xf bank_mask:0xf bound_ctrl:1
	;; [unrolled: 1-line block ×3, first 2 shown]
	v_add_f32_e32 v6, v6, v16
	v_add_f32_e32 v16, v0, v17
	;; [unrolled: 1-line block ×4, first 2 shown]
	v_cvt_i32_f32_e32 v15, v14
	v_cvt_i32_f32_e32 v12, v10
	;; [unrolled: 1-line block ×4, first 2 shown]
	v_cvt_f32_i32_dpp v15, v15 row_shr:1 row_mask:0xf bank_mask:0xf bound_ctrl:1
	v_cvt_f32_i32_dpp v0, v12 row_shr:1 row_mask:0xf bank_mask:0xf bound_ctrl:1
	v_cvt_f32_i32_dpp v12, v18 row_bcast:15 row_mask:0xf bank_mask:0xf bound_ctrl:1
	v_add_f32_e32 v14, v14, v15
	v_add_f32_e32 v0, v10, v0
	v_cvt_i32_f32_e32 v15, v14
	v_cvt_i32_f32_e32 v10, v0
	s_nop 0
	v_cvt_f32_i32_dpp v18, v15 row_bcast:15 row_mask:0xf bank_mask:0xf bound_ctrl:1
	v_add_f32_e32 v15, v6, v12
	v_cvt_f32_i32_dpp v6, v10 row_bcast:15 row_mask:0xf bank_mask:0xf bound_ctrl:1
	v_cvt_i32_f32_e32 v10, v15
	v_add_f32_e32 v12, v14, v18
	v_cvt_i32_f32_e32 v14, v12
	v_add_f32_e32 v6, v0, v6
	v_cvt_i32_f32_e32 v0, v6
	v_mov_b32_dpp v18, v17 row_bcast:31 row_mask:0xf bank_mask:0xf bound_ctrl:1
	v_mov_b32_dpp v17, v10 row_bcast:31 row_mask:0xf bank_mask:0xf bound_ctrl:1
	;; [unrolled: 1-line block ×4, first 2 shown]
	s_and_saveexec_b64 s[34:35], s[0:1]
	s_cbranch_execz .LBB91_45
; %bb.33:                               ;   in Loop: Header=BB91_12 Depth=1
	s_andn2_b64 vcc, exec, s[26:27]
	s_waitcnt vmcnt(8)
	v_mov_b32_e32 v27, 0
	v_add_u32_e32 v0, 2, v52
	s_waitcnt vmcnt(7)
	v_mov_b32_e32 v26, 0
	s_waitcnt vmcnt(6)
	v_mov_b32_e32 v25, 0
	;; [unrolled: 2-line block ×8, first 2 shown]
	s_cbranch_vccnz .LBB91_35
; %bb.34:                               ;   in Loop: Header=BB91_12 Depth=1
	v_mul_hi_u32 v19, v52, v62
	v_mul_lo_u32 v19, v19, s12
	v_sub_u32_e32 v19, v52, v19
	v_subrev_u32_e32 v20, s12, v19
	v_cmp_le_u32_e32 vcc, s12, v19
	v_mov_b32_e32 v21, v55
	v_mov_b32_e32 v23, v55
	v_cndmask_b32_e32 v19, v19, v20, vcc
	v_subrev_u32_e32 v20, s12, v19
	v_cmp_le_u32_e32 vcc, s12, v19
	v_mov_b32_e32 v33, v55
	s_nop 0
	v_cndmask_b32_e32 v54, v19, v20, vcc
	v_add_u32_e32 v19, 1, v52
	v_mul_hi_u32 v20, v19, v62
	v_mul_lo_u32 v20, v20, s12
	v_sub_u32_e32 v19, v19, v20
	v_subrev_u32_e32 v20, s12, v19
	v_cmp_le_u32_e32 vcc, s12, v19
	v_add_u32_e32 v22, s45, v54
	v_lshl_add_u64 v[28:29], v[54:55], 1, s[18:19]
	v_cndmask_b32_e32 v19, v19, v20, vcc
	v_subrev_u32_e32 v20, s12, v19
	v_cmp_le_u32_e32 vcc, s12, v19
	v_lshl_add_u64 v[36:37], v[22:23], 1, s[18:19]
	v_add_u32_e32 v54, s46, v54
	v_cndmask_b32_e32 v20, v19, v20, vcc
	v_mul_hi_u32 v19, v0, v62
	v_mul_lo_u32 v19, v19, s12
	v_sub_u32_e32 v19, v0, v19
	v_lshl_add_u64 v[30:31], v[20:21], 1, s[18:19]
	v_subrev_u32_e32 v21, s12, v19
	v_cmp_le_u32_e32 vcc, s12, v19
	v_add_u32_e32 v22, s45, v20
	v_lshl_add_u64 v[38:39], v[22:23], 1, s[18:19]
	v_cndmask_b32_e32 v19, v19, v21, vcc
	v_subrev_u32_e32 v21, s12, v19
	v_cmp_le_u32_e32 vcc, s12, v19
	v_lshl_add_u64 v[42:43], v[54:55], 1, s[18:19]
	v_add_u32_e32 v54, s46, v20
	v_cndmask_b32_e32 v32, v19, v21, vcc
	v_add_u32_e32 v22, s45, v32
	v_lshl_add_u64 v[34:35], v[32:33], 1, s[18:19]
	v_lshl_add_u64 v[40:41], v[22:23], 1, s[18:19]
	;; [unrolled: 1-line block ×3, first 2 shown]
	global_load_ushort v27, v[28:29], off
	global_load_ushort v26, v[30:31], off
	;; [unrolled: 1-line block ×8, first 2 shown]
	v_add_u32_e32 v54, s46, v32
	v_lshl_add_u64 v[28:29], v[54:55], 1, s[18:19]
	global_load_ushort v19, v[28:29], off
.LBB91_35:                              ;   in Loop: Header=BB91_12 Depth=1
	v_cmp_ne_u32_e32 vcc, 0, v48
	s_and_saveexec_b64 s[6:7], vcc
	s_cbranch_execnz .LBB91_50
; %bb.36:                               ;   in Loop: Header=BB91_12 Depth=1
	s_or_b64 exec, exec, s[6:7]
	v_cmp_ne_u32_e64 s[6:7], 0, v49
	s_and_saveexec_b64 s[8:9], s[6:7]
	s_cbranch_execnz .LBB91_51
.LBB91_37:                              ;   in Loop: Header=BB91_12 Depth=1
	s_or_b64 exec, exec, s[8:9]
	v_cmp_ne_u32_e64 s[8:9], 0, v50
	s_and_saveexec_b64 s[36:37], s[8:9]
	s_cbranch_execnz .LBB91_52
.LBB91_38:                              ;   in Loop: Header=BB91_12 Depth=1
	s_or_b64 exec, exec, s[36:37]
	v_add_u32_e32 v54, s23, v52
	s_and_saveexec_b64 s[36:37], vcc
	s_cbranch_execnz .LBB91_53
.LBB91_39:                              ;   in Loop: Header=BB91_12 Depth=1
	s_or_b64 exec, exec, s[36:37]
	s_and_saveexec_b64 s[36:37], s[6:7]
	s_cbranch_execnz .LBB91_54
.LBB91_40:                              ;   in Loop: Header=BB91_12 Depth=1
	s_or_b64 exec, exec, s[36:37]
	s_and_saveexec_b64 s[36:37], s[8:9]
	s_cbranch_execnz .LBB91_55
.LBB91_41:                              ;   in Loop: Header=BB91_12 Depth=1
	s_or_b64 exec, exec, s[36:37]
	v_add_u32_e32 v54, s23, v54
	s_and_saveexec_b64 s[36:37], vcc
	s_cbranch_execnz .LBB91_56
.LBB91_42:                              ;   in Loop: Header=BB91_12 Depth=1
	s_or_b64 exec, exec, s[36:37]
	s_and_saveexec_b64 s[36:37], s[6:7]
	s_cbranch_execnz .LBB91_57
.LBB91_43:                              ;   in Loop: Header=BB91_12 Depth=1
	s_or_b64 exec, exec, s[36:37]
	s_and_b64 exec, exec, s[8:9]
	s_cbranch_execz .LBB91_45
.LBB91_44:                              ;   in Loop: Header=BB91_12 Depth=1
	v_cvt_f32_i32_e32 v0, v10
	s_waitcnt vmcnt(0)
	v_cvt_f32_f16_e32 v1, v19
	v_add_u32_e32 v54, 2, v54
	v_add_f32_e32 v0, v6, v0
	v_add_f32_e32 v0, v0, v1
	v_cvt_f16_f32_e32 v2, v0
	v_lshl_add_u64 v[0:1], v[54:55], 1, s[10:11]
	global_store_short v[0:1], v2, off
.LBB91_45:                              ;   in Loop: Header=BB91_12 Depth=1
	s_or_b64 exec, exec, s[34:35]
	v_add_u32_e32 v52, s44, v52
	v_add_u32_e32 v0, 3, v52
	v_cmp_gt_u32_e32 vcc, s23, v52
	v_cmp_le_u32_e64 s[6:7], s23, v0
	s_and_b64 s[6:7], vcc, s[6:7]
	s_and_saveexec_b64 s[8:9], s[6:7]
	s_cbranch_execz .LBB91_10
; %bb.46:                               ;   in Loop: Header=BB91_12 Depth=1
	v_cmp_ne_u32_e32 vcc, s13, v52
	s_and_saveexec_b64 s[34:35], vcc
	s_cbranch_execz .LBB91_9
; %bb.47:                               ;   in Loop: Header=BB91_12 Depth=1
	v_subrev_u32_e32 v0, s13, v52
	v_cmp_lt_u32_e32 vcc, 1, v0
	s_mov_b64 s[36:37], 0
	s_mov_b64 s[38:39], 0
	v_cndmask_b32_e32 v0, 1, v0, vcc
.LBB91_48:                              ;   Parent Loop BB91_12 Depth=1
                                        ; =>  This Inner Loop Header: Depth=2
	s_cmp_lg_u32 s38, 2
	s_cselect_b64 vcc, -1, 0
	s_cmp_lg_u32 s38, 1
	v_cndmask_b32_e32 v50, 0, v50, vcc
	s_cselect_b64 vcc, -1, 0
	s_cmp_lg_u32 s38, 0
	v_cndmask_b32_e32 v49, 0, v49, vcc
	s_cselect_b64 vcc, -1, 0
	s_add_u32 s38, s38, 1
	s_addc_u32 s39, s39, 0
	v_cmp_eq_u32_e64 s[6:7], s38, v0
	s_or_b64 s[36:37], s[6:7], s[36:37]
	v_cndmask_b32_e32 v48, 0, v48, vcc
	s_andn2_b64 exec, exec, s[36:37]
	s_cbranch_execnz .LBB91_48
; %bb.49:                               ;   in Loop: Header=BB91_12 Depth=1
	s_or_b64 exec, exec, s[36:37]
	s_branch .LBB91_9
.LBB91_50:                              ;   in Loop: Header=BB91_12 Depth=1
	v_cvt_f32_i32_e32 v9, v9
	s_waitcnt vmcnt(8)
	v_cvt_f32_f16_e32 v27, v27
	v_mov_b32_e32 v53, v55
	v_lshl_add_u64 v[28:29], v[52:53], 1, s[10:11]
	v_add_f32_e32 v5, v5, v9
	v_add_f32_e32 v5, v5, v27
	v_cvt_f16_f32_e32 v5, v5
	global_store_short v[28:29], v5, off
	s_or_b64 exec, exec, s[6:7]
	v_cmp_ne_u32_e64 s[6:7], 0, v49
	s_and_saveexec_b64 s[8:9], s[6:7]
	s_cbranch_execz .LBB91_37
.LBB91_51:                              ;   in Loop: Header=BB91_12 Depth=1
	v_cvt_f32_i32_e32 v5, v8
	s_waitcnt vmcnt(7)
	v_cvt_f32_f16_e32 v8, v26
	v_mov_b32_e32 v53, v55
	v_add_f32_e32 v1, v1, v5
	v_add_f32_e32 v1, v1, v8
	v_cvt_f16_f32_e32 v1, v1
	v_lshl_add_u64 v[8:9], v[52:53], 1, s[28:29]
	global_store_short v[8:9], v1, off
	s_or_b64 exec, exec, s[8:9]
	v_cmp_ne_u32_e64 s[8:9], 0, v50
	s_and_saveexec_b64 s[36:37], s[8:9]
	s_cbranch_execz .LBB91_38
.LBB91_52:                              ;   in Loop: Header=BB91_12 Depth=1
	v_cvt_f32_i32_e32 v1, v11
	s_waitcnt vmcnt(6)
	v_cvt_f32_f16_e32 v5, v25
	v_add_f32_e32 v1, v2, v1
	v_add_f32_e32 v1, v1, v5
	v_cvt_f16_f32_e32 v2, v1
	v_mov_b32_e32 v1, v55
	v_lshl_add_u64 v[0:1], v[0:1], 1, s[10:11]
	global_store_short v[0:1], v2, off
	s_or_b64 exec, exec, s[36:37]
	v_add_u32_e32 v54, s23, v52
	s_and_saveexec_b64 s[36:37], vcc
	s_cbranch_execz .LBB91_39
.LBB91_53:                              ;   in Loop: Header=BB91_12 Depth=1
	v_cvt_f32_i32_e32 v0, v13
	s_waitcnt vmcnt(5)
	v_cvt_f32_f16_e32 v1, v24
	v_add_f32_e32 v0, v3, v0
	v_add_f32_e32 v0, v0, v1
	v_cvt_f16_f32_e32 v2, v0
	v_lshl_add_u64 v[0:1], v[54:55], 1, s[10:11]
	global_store_short v[0:1], v2, off
	s_or_b64 exec, exec, s[36:37]
	s_and_saveexec_b64 s[36:37], s[6:7]
	s_cbranch_execz .LBB91_40
.LBB91_54:                              ;   in Loop: Header=BB91_12 Depth=1
	v_cvt_f32_i32_e32 v0, v7
	s_waitcnt vmcnt(4)
	v_cvt_f32_f16_e32 v1, v23
	v_add_f32_e32 v0, v4, v0
	v_add_f32_e32 v0, v0, v1
	v_cvt_f16_f32_e32 v2, v0
	v_add_u32_e32 v0, 1, v54
	v_mov_b32_e32 v1, v55
	v_lshl_add_u64 v[0:1], v[0:1], 1, s[10:11]
	global_store_short v[0:1], v2, off
	s_or_b64 exec, exec, s[36:37]
	s_and_saveexec_b64 s[36:37], s[8:9]
	s_cbranch_execz .LBB91_41
.LBB91_55:                              ;   in Loop: Header=BB91_12 Depth=1
	v_cvt_f32_i32_e32 v0, v18
	s_waitcnt vmcnt(3)
	v_cvt_f32_f16_e32 v1, v22
	v_add_f32_e32 v0, v16, v0
	v_add_f32_e32 v0, v0, v1
	v_cvt_f16_f32_e32 v2, v0
	v_add_u32_e32 v0, 2, v54
	v_mov_b32_e32 v1, v55
	v_lshl_add_u64 v[0:1], v[0:1], 1, s[10:11]
	global_store_short v[0:1], v2, off
	s_or_b64 exec, exec, s[36:37]
	v_add_u32_e32 v54, s23, v54
	s_and_saveexec_b64 s[36:37], vcc
	s_cbranch_execz .LBB91_42
.LBB91_56:                              ;   in Loop: Header=BB91_12 Depth=1
	v_cvt_f32_i32_e32 v0, v17
	s_waitcnt vmcnt(2)
	v_cvt_f32_f16_e32 v1, v21
	v_add_f32_e32 v0, v15, v0
	v_add_f32_e32 v0, v0, v1
	v_cvt_f16_f32_e32 v2, v0
	v_lshl_add_u64 v[0:1], v[54:55], 1, s[10:11]
	global_store_short v[0:1], v2, off
	s_or_b64 exec, exec, s[36:37]
	s_and_saveexec_b64 s[36:37], s[6:7]
	s_cbranch_execz .LBB91_43
.LBB91_57:                              ;   in Loop: Header=BB91_12 Depth=1
	v_cvt_f32_i32_e32 v0, v14
	s_waitcnt vmcnt(1)
	v_cvt_f32_f16_e32 v1, v20
	v_add_f32_e32 v0, v12, v0
	v_add_f32_e32 v0, v0, v1
	v_cvt_f16_f32_e32 v2, v0
	v_add_u32_e32 v0, 1, v54
	v_mov_b32_e32 v1, v55
	v_lshl_add_u64 v[0:1], v[0:1], 1, s[10:11]
	global_store_short v[0:1], v2, off
	s_or_b64 exec, exec, s[36:37]
	s_and_b64 exec, exec, s[8:9]
	s_cbranch_execnz .LBB91_44
	s_branch .LBB91_45
.LBB91_58:
	s_endpgm
	.section	.rodata,"a",@progbits
	.p2align	6, 0x0
	.amdhsa_kernel _Z16wvSplitK_hf_big_I6__halfLi64ELi3ELi16ELi8ELi2ELi3EEviiiiiiPKT_S3_S3_PS1_ii
		.amdhsa_group_segment_fixed_size 65536
		.amdhsa_private_segment_fixed_size 0
		.amdhsa_kernarg_size 64
		.amdhsa_user_sgpr_count 2
		.amdhsa_user_sgpr_dispatch_ptr 0
		.amdhsa_user_sgpr_queue_ptr 0
		.amdhsa_user_sgpr_kernarg_segment_ptr 1
		.amdhsa_user_sgpr_dispatch_id 0
		.amdhsa_user_sgpr_kernarg_preload_length 0
		.amdhsa_user_sgpr_kernarg_preload_offset 0
		.amdhsa_user_sgpr_private_segment_size 0
		.amdhsa_uses_dynamic_stack 0
		.amdhsa_enable_private_segment 0
		.amdhsa_system_sgpr_workgroup_id_x 1
		.amdhsa_system_sgpr_workgroup_id_y 0
		.amdhsa_system_sgpr_workgroup_id_z 0
		.amdhsa_system_sgpr_workgroup_info 0
		.amdhsa_system_vgpr_workitem_id 1
		.amdhsa_next_free_vgpr 78
		.amdhsa_next_free_sgpr 52
		.amdhsa_accum_offset 80
		.amdhsa_reserve_vcc 1
		.amdhsa_float_round_mode_32 0
		.amdhsa_float_round_mode_16_64 0
		.amdhsa_float_denorm_mode_32 3
		.amdhsa_float_denorm_mode_16_64 3
		.amdhsa_dx10_clamp 1
		.amdhsa_ieee_mode 1
		.amdhsa_fp16_overflow 0
		.amdhsa_tg_split 0
		.amdhsa_exception_fp_ieee_invalid_op 0
		.amdhsa_exception_fp_denorm_src 0
		.amdhsa_exception_fp_ieee_div_zero 0
		.amdhsa_exception_fp_ieee_overflow 0
		.amdhsa_exception_fp_ieee_underflow 0
		.amdhsa_exception_fp_ieee_inexact 0
		.amdhsa_exception_int_div_zero 0
	.end_amdhsa_kernel
	.section	.text._Z16wvSplitK_hf_big_I6__halfLi64ELi3ELi16ELi8ELi2ELi3EEviiiiiiPKT_S3_S3_PS1_ii,"axG",@progbits,_Z16wvSplitK_hf_big_I6__halfLi64ELi3ELi16ELi8ELi2ELi3EEviiiiiiPKT_S3_S3_PS1_ii,comdat
.Lfunc_end91:
	.size	_Z16wvSplitK_hf_big_I6__halfLi64ELi3ELi16ELi8ELi2ELi3EEviiiiiiPKT_S3_S3_PS1_ii, .Lfunc_end91-_Z16wvSplitK_hf_big_I6__halfLi64ELi3ELi16ELi8ELi2ELi3EEviiiiiiPKT_S3_S3_PS1_ii
                                        ; -- End function
	.section	.AMDGPU.csdata,"",@progbits
; Kernel info:
; codeLenInByte = 4344
; NumSgprs: 58
; NumVgprs: 78
; NumAgprs: 0
; TotalNumVgprs: 78
; ScratchSize: 0
; MemoryBound: 0
; FloatMode: 240
; IeeeMode: 1
; LDSByteSize: 65536 bytes/workgroup (compile time only)
; SGPRBlocks: 7
; VGPRBlocks: 9
; NumSGPRsForWavesPerEU: 58
; NumVGPRsForWavesPerEU: 78
; AccumOffset: 80
; Occupancy: 4
; WaveLimiterHint : 0
; COMPUTE_PGM_RSRC2:SCRATCH_EN: 0
; COMPUTE_PGM_RSRC2:USER_SGPR: 2
; COMPUTE_PGM_RSRC2:TRAP_HANDLER: 0
; COMPUTE_PGM_RSRC2:TGID_X_EN: 1
; COMPUTE_PGM_RSRC2:TGID_Y_EN: 0
; COMPUTE_PGM_RSRC2:TGID_Z_EN: 0
; COMPUTE_PGM_RSRC2:TIDIG_COMP_CNT: 1
; COMPUTE_PGM_RSRC3_GFX90A:ACCUM_OFFSET: 19
; COMPUTE_PGM_RSRC3_GFX90A:TG_SPLIT: 0
	.section	.text._Z16wvSplitK_hf_sml_I6__halfLi64ELi4ELi16ELi8ELi1ELi3EEviiiiiiPKT_S3_S3_PS1_ii,"axG",@progbits,_Z16wvSplitK_hf_sml_I6__halfLi64ELi4ELi16ELi8ELi1ELi3EEviiiiiiPKT_S3_S3_PS1_ii,comdat
	.protected	_Z16wvSplitK_hf_sml_I6__halfLi64ELi4ELi16ELi8ELi1ELi3EEviiiiiiPKT_S3_S3_PS1_ii ; -- Begin function _Z16wvSplitK_hf_sml_I6__halfLi64ELi4ELi16ELi8ELi1ELi3EEviiiiiiPKT_S3_S3_PS1_ii
	.globl	_Z16wvSplitK_hf_sml_I6__halfLi64ELi4ELi16ELi8ELi1ELi3EEviiiiiiPKT_S3_S3_PS1_ii
	.p2align	8
	.type	_Z16wvSplitK_hf_sml_I6__halfLi64ELi4ELi16ELi8ELi1ELi3EEviiiiiiPKT_S3_S3_PS1_ii,@function
_Z16wvSplitK_hf_sml_I6__halfLi64ELi4ELi16ELi8ELi1ELi3EEviiiiiiPKT_S3_S3_PS1_ii: ; @_Z16wvSplitK_hf_sml_I6__halfLi64ELi4ELi16ELi8ELi1ELi3EEviiiiiiPKT_S3_S3_PS1_ii
; %bb.0:
	s_load_dwordx4 s[4:7], s[0:1], 0x0
	s_load_dwordx2 s[8:9], s[0:1], 0x10
	s_load_dwordx2 s[10:11], s[0:1], 0x28
	v_and_b32_e32 v2, 0x3ff, v0
	v_bfe_u32 v3, v0, 10, 10
	v_lshlrev_b32_e32 v40, 3, v2
	s_waitcnt lgkmcnt(0)
	s_mul_i32 s3, s6, 3
	v_lshl_add_u32 v4, v3, 9, v40
	s_min_u32 s3, s3, 0x8000
	v_cmp_gt_u32_e32 vcc, s3, v4
	s_and_saveexec_b64 s[12:13], vcc
	s_cbranch_execz .LBB92_3
; %bb.1:
	s_load_dwordx2 s[14:15], s[0:1], 0x20
	v_mov_b32_e32 v7, 0
	v_lshlrev_b32_e32 v6, 10, v3
	v_lshlrev_b32_e32 v8, 4, v2
	v_mov_b32_e32 v9, v7
	v_lshl_add_u64 v[0:1], v[6:7], 0, v[8:9]
	s_waitcnt lgkmcnt(0)
	v_lshl_add_u64 v[0:1], s[14:15], 0, v[0:1]
	v_add_u32_e32 v5, v6, v8
	s_mov_b64 s[14:15], 0
	s_mov_b64 s[16:17], 0x4000
.LBB92_2:                               ; =>This Inner Loop Header: Depth=1
	global_load_dwordx4 v[6:9], v[0:1], off
	v_add_u32_e32 v4, 0x2000, v4
	v_cmp_le_u32_e32 vcc, s3, v4
	v_lshl_add_u64 v[0:1], v[0:1], 0, s[16:17]
	s_or_b64 s[14:15], vcc, s[14:15]
	s_waitcnt vmcnt(0)
	ds_write_b128 v5, v[6:9]
	v_add_u32_e32 v5, 0x4000, v5
	s_andn2_b64 exec, exec, s[14:15]
	s_cbranch_execnz .LBB92_2
.LBB92_3:
	s_or_b64 exec, exec, s[12:13]
	s_load_dwordx2 s[16:17], s[0:1], 0x38
	s_waitcnt lgkmcnt(0)
	s_barrier
	v_cmp_gt_u32_e32 vcc, s16, v3
	s_and_saveexec_b64 s[12:13], vcc
	s_cbranch_execz .LBB92_18
; %bb.4:
	s_mul_i32 s2, s2, s16
	v_add_lshl_u32 v24, s2, v3, 2
	v_cmp_gt_u32_e32 vcc, s7, v24
	s_and_b64 exec, exec, vcc
	s_cbranch_execz .LBB92_18
; %bb.5:
	s_cmp_lg_u32 s4, 0
	s_cselect_b64 s[2:3], -1, 0
	s_add_i32 s24, s4, -8
	s_add_i32 s25, s7, -1
	s_cmp_lg_u64 s[10:11], 0
	s_cselect_b64 s[18:19], -1, 0
	s_abs_i32 s21, s9
	v_cvt_f32_u32_e32 v0, s8
	v_cvt_f32_u32_e32 v1, s21
	s_mul_i32 s20, s16, s17
	s_lshl_b32 s9, s20, 2
	v_rcp_iflag_f32_e32 v0, v0
	v_rcp_iflag_f32_e32 v1, v1
	s_sub_i32 s20, 0, s8
	s_load_dwordx2 s[12:13], s[0:1], 0x18
	s_load_dwordx2 s[14:15], s[0:1], 0x30
	v_mul_f32_e32 v0, 0x4f7ffffe, v0
	v_mul_f32_e32 v1, 0x4f7ffffe, v1
	v_cvt_u32_f32_e32 v0, v0
	v_cvt_u32_f32_e32 v1, v1
	v_cmp_eq_u32_e64 s[0:1], 63, v2
	s_mov_b64 s[16:17], 0
	v_mul_lo_u32 v3, s20, v0
	s_sub_i32 s20, 0, s21
	v_readfirstlane_b32 s22, v1
	s_mul_i32 s20, s20, s22
	s_mul_hi_u32 s20, s22, s20
	s_add_i32 s22, s22, s20
	s_sub_i32 s20, 1, s21
	s_cmp_lt_u32 s21, 2
	s_cselect_b32 s20, s20, 1
	s_sub_i32 s23, s20, s21
	s_cmp_ge_u32 s20, s21
	s_cselect_b32 s26, s23, s20
	s_lshr_b32 s20, s22, 31
	s_mul_i32 s20, s20, s21
	s_sub_i32 s20, 2, s20
	s_sub_i32 s22, s20, s21
	s_cmp_ge_u32 s20, s21
	s_cselect_b32 s20, s22, s20
	s_sub_i32 s22, s20, s21
	v_mul_hi_u32 v3, v0, v3
	s_cmp_ge_u32 s20, s21
	v_add_u32_e32 v41, v0, v3
	s_cselect_b32 s27, s22, s20
	v_cndmask_b32_e64 v0, 0, 1, s[2:3]
	v_mov_b32_e32 v27, 0
	s_mul_i32 s26, s26, s8
	s_mul_i32 s27, s27, s8
	s_lshl_b32 s28, s6, 2
	v_lshlrev_b32_e32 v42, 4, v2
	s_lshl_b32 s6, s6, 1
	v_cmp_ne_u32_e64 s[2:3], 1, v0
	s_branch .LBB92_8
.LBB92_6:                               ;   in Loop: Header=BB92_8 Depth=1
	v_cvt_f32_i32_e32 v2, v2
	v_cvt_f32_i32_e32 v4, v4
	;; [unrolled: 1-line block ×4, first 2 shown]
	v_add_f32_e32 v0, v0, v2
	v_cvt_f32_i32_e32 v2, v10
	v_add_f32_e32 v1, v1, v4
	v_add_f32_e32 v4, v5, v7
	v_cvt_f32_i32_e32 v7, v15
	v_add_f32_e32 v5, v8, v2
	v_cvt_f32_i32_e32 v2, v12
	s_waitcnt vmcnt(11)
	v_cvt_f32_f16_e32 v12, v39
	v_add_f32_e32 v3, v3, v6
	v_cvt_f32_i32_e32 v6, v14
	v_add_f32_e32 v9, v9, v2
	v_cvt_f32_i32_e32 v2, v22
	v_add_f32_e32 v0, v0, v12
	v_add_f32_e32 v7, v13, v7
	s_waitcnt vmcnt(9)
	v_cvt_f32_f16_e32 v12, v37
	v_add_f32_e32 v13, v17, v2
	v_cvt_f32_f16_e32 v2, v38
	v_cvt_f16_f32_e32 v14, v0
	s_waitcnt vmcnt(8)
	v_cvt_f32_f16_e32 v0, v36
	v_add_u32_e32 v26, s7, v24
	v_add_f32_e32 v1, v1, v2
	v_add_f32_e32 v2, v3, v12
	;; [unrolled: 1-line block ×3, first 2 shown]
	v_cvt_f16_f32_e32 v2, v2
	v_cvt_f16_f32_e32 v3, v0
	;; [unrolled: 1-line block ×3, first 2 shown]
	s_waitcnt vmcnt(7)
	v_cvt_f32_f16_e32 v12, v35
	s_waitcnt lgkmcnt(0)
	v_lshl_add_u64 v[0:1], v[24:25], 1, s[14:15]
	v_pack_b32_f16 v3, v2, v3
	v_pack_b32_f16 v2, v14, v4
	global_store_dwordx2 v[0:1], v[2:3], off
	v_add_f32_e32 v0, v5, v12
	v_cvt_f16_f32_e32 v2, v0
	s_waitcnt vmcnt(7)
	v_cvt_f32_f16_e32 v3, v34
	v_lshl_add_u64 v[0:1], v[26:27], 1, s[14:15]
	v_add_f32_e32 v6, v11, v6
	global_store_short v[0:1], v2, off
	v_add_f32_e32 v0, v9, v3
	v_cvt_f16_f32_e32 v2, v0
	s_waitcnt vmcnt(7)
	v_cvt_f32_f16_e32 v3, v31
	v_add_u32_e32 v0, 1, v26
	v_mov_b32_e32 v1, v27
	v_lshl_add_u64 v[0:1], v[0:1], 1, s[14:15]
	global_store_short v[0:1], v2, off
	v_add_f32_e32 v0, v6, v3
	v_cvt_f16_f32_e32 v2, v0
	s_waitcnt vmcnt(7)
	v_cvt_f32_f16_e32 v3, v29
	v_add_u32_e32 v0, 2, v26
	v_mov_b32_e32 v1, v27
	v_lshl_add_u64 v[0:1], v[0:1], 1, s[14:15]
	v_cvt_f32_i32_e32 v8, v23
	global_store_short v[0:1], v2, off
	v_add_f32_e32 v0, v7, v3
	v_cvt_f16_f32_e32 v2, v0
	s_waitcnt vmcnt(7)
	v_cvt_f32_f16_e32 v3, v33
	s_waitcnt vmcnt(6)
	v_cvt_f32_f16_e32 v4, v32
	v_add_u32_e32 v0, 3, v26
	v_mov_b32_e32 v1, v27
	v_add_f32_e32 v8, v16, v8
	v_lshl_add_u64 v[0:1], v[0:1], 1, s[14:15]
	global_store_short v[0:1], v2, off
	v_add_f32_e32 v0, v8, v3
	v_cvt_f16_f32_e32 v2, v0
	v_add_f32_e32 v0, v13, v4
	v_cvt_f16_f32_e32 v3, v0
	v_cvt_f32_i32_e32 v10, v21
	v_cvt_f32_i32_e32 v11, v20
	s_waitcnt vmcnt(6)
	v_cvt_f32_f16_e32 v4, v30
	v_pack_b32_f16 v2, v2, v3
	s_waitcnt vmcnt(5)
	v_cvt_f32_f16_e32 v3, v28
	v_add_u32_e32 v26, s7, v26
	v_add_f32_e32 v10, v18, v10
	v_lshl_add_u64 v[0:1], v[26:27], 1, s[14:15]
	v_add_f32_e32 v11, v19, v11
	global_store_dword v[0:1], v2, off
	v_add_f32_e32 v0, v10, v4
	v_cvt_f16_f32_e32 v2, v0
	v_add_f32_e32 v3, v11, v3
	v_cvt_f16_f32_e32 v3, v3
	v_add_u32_e32 v0, 2, v26
	v_mov_b32_e32 v1, v27
	v_lshl_add_u64 v[0:1], v[0:1], 1, s[14:15]
	v_add_u32_e32 v26, 3, v26
	global_store_short v[0:1], v2, off
	v_lshl_add_u64 v[0:1], v[26:27], 1, s[14:15]
	global_store_short v[0:1], v3, off
.LBB92_7:                               ;   in Loop: Header=BB92_8 Depth=1
	s_or_b64 exec, exec, s[20:21]
	v_add_u32_e32 v24, s9, v24
	v_cmp_le_u32_e32 vcc, s7, v24
	s_or_b64 s[16:17], vcc, s[16:17]
	s_andn2_b64 exec, exec, s[16:17]
	s_cbranch_execz .LBB92_18
.LBB92_8:                               ; =>This Loop Header: Depth=1
                                        ;     Child Loop BB92_11 Depth 2
	s_mov_b32 s22, 0
	s_and_b64 vcc, exec, s[2:3]
	v_mov_b32_e32 v53, v27
	v_mov_b32_e32 v52, v27
	;; [unrolled: 1-line block ×12, first 2 shown]
	s_cbranch_vccnz .LBB92_13
; %bb.9:                                ;   in Loop: Header=BB92_8 Depth=1
	v_min_u32_e32 v0, s25, v24
	v_mul_lo_u32 v28, v0, s5
	v_or_b32_e32 v0, 1, v24
	v_min_u32_e32 v0, s25, v0
	v_mul_lo_u32 v30, v0, s5
	v_or_b32_e32 v0, 2, v24
	;; [unrolled: 3-line block ×3, first 2 shown]
	v_min_u32_e32 v0, s25, v0
	v_mov_b32_e32 v29, v27
	v_mov_b32_e32 v31, v27
	;; [unrolled: 1-line block ×3, first 2 shown]
	v_mul_lo_u32 v34, v0, s5
	v_mov_b32_e32 v35, v27
	v_mov_b32_e32 v49, 0
	;; [unrolled: 1-line block ×14, first 2 shown]
	s_branch .LBB92_11
.LBB92_10:                              ;   in Loop: Header=BB92_11 Depth=2
	s_or_b64 exec, exec, s[20:21]
	s_waitcnt vmcnt(3) lgkmcnt(1)
	;;#ASMSTART
	v_dot2c_f32_f16 v53, v20, v12
	;;#ASMEND
	s_waitcnt vmcnt(2)
	;;#ASMSTART
	v_dot2c_f32_f16 v52, v20, v8
	;;#ASMEND
	s_waitcnt vmcnt(1)
	;; [unrolled: 4-line block ×3, first 2 shown]
	;;#ASMSTART
	v_dot2c_f32_f16 v50, v20, v0
	;;#ASMEND
	;;#ASMSTART
	v_dot2c_f32_f16 v49, v16, v12
	;;#ASMEND
	;; [unrolled: 3-line block ×12, first 2 shown]
	s_nop 0
	;;#ASMSTART
	v_dot2c_f32_f16 v50, v21, v1
	;;#ASMEND
	;;#ASMSTART
	v_dot2c_f32_f16 v49, v17, v13
	;;#ASMEND
	;; [unrolled: 3-line block ×9, first 2 shown]
	s_addk_i32 s22, 0x200
	;;#ASMSTART
	v_dot2c_f32_f16 v53, v22, v14
	;;#ASMEND
	;;#ASMSTART
	v_dot2c_f32_f16 v52, v22, v10
	;;#ASMEND
	;; [unrolled: 3-line block ×8, first 2 shown]
	s_waitcnt lgkmcnt(0)
	;;#ASMSTART
	v_dot2c_f32_f16 v45, v38, v14
	;;#ASMEND
	;;#ASMSTART
	v_dot2c_f32_f16 v44, v38, v10
	;;#ASMEND
	;; [unrolled: 3-line block ×4, first 2 shown]
	s_cmp_ge_u32 s22, s4
	v_add_u32_e32 v54, 0x400, v54
	;;#ASMSTART
	v_dot2c_f32_f16 v53, v23, v15
	;;#ASMEND
	;;#ASMSTART
	v_dot2c_f32_f16 v52, v23, v11
	;;#ASMEND
	;; [unrolled: 3-line block ×12, first 2 shown]
	s_cbranch_scc1 .LBB92_13
.LBB92_11:                              ;   Parent Loop BB92_8 Depth=1
                                        ; =>  This Inner Loop Header: Depth=2
	v_add_u32_e32 v20, s22, v40
	v_min_u32_e32 v26, s24, v20
	s_waitcnt lgkmcnt(0)
	v_lshl_add_u64 v[0:1], v[26:27], 1, s[12:13]
	v_lshl_add_u64 v[2:3], v[28:29], 1, v[0:1]
	;; [unrolled: 1-line block ×4, first 2 shown]
	global_load_dwordx4 v[12:15], v[2:3], off nt
	global_load_dwordx4 v[8:11], v[4:5], off nt
	v_lshl_add_u64 v[18:19], v[34:35], 1, v[0:1]
	global_load_dwordx4 v[4:7], v[16:17], off nt
	global_load_dwordx4 v[0:3], v[18:19], off nt
	v_cmp_gt_u32_e32 vcc, s4, v20
	v_mov_b32_e32 v20, 0
	v_mov_b32_e32 v21, 0
	;; [unrolled: 1-line block ×12, first 2 shown]
	s_and_saveexec_b64 s[20:21], vcc
	s_cbranch_execz .LBB92_10
; %bb.12:                               ;   in Loop: Header=BB92_11 Depth=2
	v_add_u32_e32 v16, s6, v54
	v_add_u32_e32 v26, s28, v54
	ds_read_b128 v[16:19], v16
	ds_read2_b32 v[36:37], v26 offset1:1
	ds_read_b128 v[20:23], v54
	ds_read2_b32 v[38:39], v26 offset0:2 offset1:3
	s_branch .LBB92_10
.LBB92_13:                              ;   in Loop: Header=BB92_8 Depth=1
	; sched_barrier mask(0x00000000)
	v_cvt_i32_f32_e32 v0, v53
	v_cvt_i32_f32_e32 v1, v52
	;; [unrolled: 1-line block ×4, first 2 shown]
	v_cvt_f32_i32_dpp v0, v0 row_shr:8 row_mask:0xf bank_mask:0xf bound_ctrl:1
	v_cvt_f32_i32_dpp v1, v1 row_shr:8 row_mask:0xf bank_mask:0xf bound_ctrl:1
	;; [unrolled: 1-line block ×4, first 2 shown]
	v_add_f32_e32 v0, v53, v0
	v_cvt_i32_f32_e32 v5, v0
	v_add_f32_e32 v1, v52, v1
	v_cvt_i32_f32_e32 v6, v1
	v_add_f32_e32 v2, v51, v2
	v_cvt_f32_i32_dpp v5, v5 row_shr:4 row_mask:0xf bank_mask:0xf bound_ctrl:1
	v_cvt_i32_f32_e32 v7, v2
	v_cvt_f32_i32_dpp v6, v6 row_shr:4 row_mask:0xf bank_mask:0xf bound_ctrl:1
	v_add_f32_e32 v3, v50, v3
	v_add_f32_e32 v0, v0, v5
	v_cvt_i32_f32_e32 v5, v0
	v_add_f32_e32 v1, v1, v6
	v_cvt_i32_f32_e32 v6, v1
	v_cvt_f32_i32_dpp v7, v7 row_shr:4 row_mask:0xf bank_mask:0xf bound_ctrl:1
	v_cvt_f32_i32_dpp v5, v5 row_shr:2 row_mask:0xf bank_mask:0xf bound_ctrl:1
	v_cvt_i32_f32_e32 v8, v3
	v_cvt_f32_i32_dpp v6, v6 row_shr:2 row_mask:0xf bank_mask:0xf bound_ctrl:1
	v_add_f32_e32 v2, v2, v7
	v_add_f32_e32 v0, v0, v5
	v_cvt_i32_f32_e32 v5, v0
	v_cvt_i32_f32_e32 v7, v2
	v_add_f32_e32 v1, v1, v6
	v_cvt_i32_f32_e32 v6, v1
	v_cvt_f32_i32_dpp v5, v5 row_shr:1 row_mask:0xf bank_mask:0xf bound_ctrl:1
	v_cvt_f32_i32_dpp v7, v7 row_shr:2 row_mask:0xf bank_mask:0xf bound_ctrl:1
	;; [unrolled: 1-line block ×4, first 2 shown]
	v_add_f32_e32 v0, v0, v5
	v_cvt_i32_f32_e32 v5, v0
	v_add_f32_e32 v7, v2, v7
	v_cvt_i32_f32_e32 v4, v49
	v_cvt_i32_f32_e32 v2, v7
	v_cvt_f32_i32_dpp v5, v5 row_bcast:15 row_mask:0xf bank_mask:0xf bound_ctrl:1
	v_add_f32_e32 v1, v1, v6
	v_add_f32_e32 v3, v3, v8
	v_cvt_i32_f32_e32 v6, v1
	v_add_f32_e32 v0, v0, v5
	v_cvt_i32_f32_e32 v5, v0
	v_cvt_f32_i32_dpp v8, v2 row_shr:1 row_mask:0xf bank_mask:0xf bound_ctrl:1
	v_cvt_f32_i32_dpp v4, v4 row_shr:8 row_mask:0xf bank_mask:0xf bound_ctrl:1
	v_cvt_f32_i32_dpp v6, v6 row_bcast:15 row_mask:0xf bank_mask:0xf bound_ctrl:1
	v_mov_b32_dpp v2, v5 row_bcast:31 row_mask:0xf bank_mask:0xf bound_ctrl:1
	v_cvt_i32_f32_e32 v5, v3
	v_add_f32_e32 v7, v7, v8
	v_add_f32_e32 v9, v49, v4
	v_cvt_i32_f32_e32 v8, v7
	v_cvt_f32_i32_dpp v5, v5 row_shr:2 row_mask:0xf bank_mask:0xf bound_ctrl:1
	v_cvt_i32_f32_e32 v4, v9
	v_add_f32_e32 v1, v1, v6
	v_cvt_i32_f32_e32 v6, v1
	v_add_f32_e32 v5, v3, v5
	v_cvt_i32_f32_e32 v3, v5
	v_cvt_f32_i32_dpp v8, v8 row_bcast:15 row_mask:0xf bank_mask:0xf bound_ctrl:1
	v_cvt_f32_i32_dpp v10, v4 row_shr:4 row_mask:0xf bank_mask:0xf bound_ctrl:1
	v_mov_b32_dpp v4, v6 row_bcast:31 row_mask:0xf bank_mask:0xf bound_ctrl:1
	v_cvt_f32_i32_dpp v6, v3 row_shr:1 row_mask:0xf bank_mask:0xf bound_ctrl:1
	v_add_f32_e32 v3, v7, v8
	v_add_f32_e32 v7, v9, v10
	v_cvt_i32_f32_e32 v8, v7
	v_add_f32_e32 v5, v5, v6
	v_cvt_i32_f32_e32 v6, v48
	v_cvt_i32_f32_e32 v9, v5
	v_cvt_f32_i32_dpp v8, v8 row_shr:2 row_mask:0xf bank_mask:0xf bound_ctrl:1
	v_cvt_i32_f32_e32 v10, v3
	v_cvt_f32_i32_dpp v6, v6 row_shr:8 row_mask:0xf bank_mask:0xf bound_ctrl:1
	v_cvt_f32_i32_dpp v9, v9 row_bcast:15 row_mask:0xf bank_mask:0xf bound_ctrl:1
	v_add_f32_e32 v7, v7, v8
	v_cvt_i32_f32_e32 v8, v7
	v_add_f32_e32 v11, v48, v6
	v_cvt_i32_f32_e32 v12, v11
	v_add_f32_e32 v5, v5, v9
	v_cvt_f32_i32_dpp v8, v8 row_shr:1 row_mask:0xf bank_mask:0xf bound_ctrl:1
	v_mov_b32_dpp v6, v10 row_bcast:31 row_mask:0xf bank_mask:0xf bound_ctrl:1
	v_cvt_f32_i32_dpp v9, v12 row_shr:4 row_mask:0xf bank_mask:0xf bound_ctrl:1
	v_cvt_i32_f32_e32 v10, v5
	v_add_f32_e32 v8, v7, v8
	v_cvt_i32_f32_e32 v7, v47
	v_add_f32_e32 v9, v11, v9
	v_cvt_i32_f32_e32 v11, v9
	v_cvt_i32_f32_e32 v12, v8
	v_cvt_f32_i32_dpp v13, v7 row_shr:8 row_mask:0xf bank_mask:0xf bound_ctrl:1
	v_mov_b32_dpp v7, v10 row_bcast:31 row_mask:0xf bank_mask:0xf bound_ctrl:1
	v_cvt_f32_i32_dpp v10, v11 row_shr:2 row_mask:0xf bank_mask:0xf bound_ctrl:1
	v_cvt_f32_i32_dpp v11, v12 row_bcast:15 row_mask:0xf bank_mask:0xf bound_ctrl:1
	v_add_f32_e32 v12, v47, v13
	v_cvt_i32_f32_e32 v13, v12
	v_add_f32_e32 v9, v9, v10
	v_cvt_i32_f32_e32 v10, v46
	v_cvt_i32_f32_e32 v14, v9
	v_cvt_f32_i32_dpp v13, v13 row_shr:4 row_mask:0xf bank_mask:0xf bound_ctrl:1
	v_add_f32_e32 v8, v8, v11
	v_cvt_f32_i32_dpp v10, v10 row_shr:8 row_mask:0xf bank_mask:0xf bound_ctrl:1
	v_cvt_f32_i32_dpp v11, v14 row_shr:1 row_mask:0xf bank_mask:0xf bound_ctrl:1
	v_add_f32_e32 v12, v12, v13
	v_cvt_i32_f32_e32 v13, v12
	v_add_f32_e32 v10, v46, v10
	v_cvt_i32_f32_e32 v14, v10
	v_add_f32_e32 v9, v9, v11
	v_cvt_f32_i32_dpp v13, v13 row_shr:2 row_mask:0xf bank_mask:0xf bound_ctrl:1
	v_cvt_i32_f32_e32 v15, v8
	v_cvt_f32_i32_dpp v11, v14 row_shr:4 row_mask:0xf bank_mask:0xf bound_ctrl:1
	v_cvt_i32_f32_e32 v14, v9
	v_add_f32_e32 v12, v12, v13
	v_cvt_i32_f32_e32 v13, v12
	v_add_f32_e32 v11, v10, v11
	v_cvt_i32_f32_e32 v16, v11
	v_mov_b32_dpp v10, v15 row_bcast:31 row_mask:0xf bank_mask:0xf bound_ctrl:1
	v_cvt_f32_i32_dpp v13, v13 row_shr:1 row_mask:0xf bank_mask:0xf bound_ctrl:1
	v_cvt_f32_i32_dpp v14, v14 row_bcast:15 row_mask:0xf bank_mask:0xf bound_ctrl:1
	v_cvt_f32_i32_dpp v15, v16 row_shr:2 row_mask:0xf bank_mask:0xf bound_ctrl:1
	v_add_f32_e32 v13, v12, v13
	v_cvt_i32_f32_e32 v12, v45
	v_add_f32_e32 v11, v11, v15
	v_add_f32_e32 v9, v9, v14
	v_cvt_i32_f32_e32 v14, v11
	v_cvt_f32_i32_dpp v12, v12 row_shr:8 row_mask:0xf bank_mask:0xf bound_ctrl:1
	v_cvt_i32_f32_e32 v15, v13
	v_cvt_i32_f32_e32 v16, v9
	v_cvt_f32_i32_dpp v14, v14 row_shr:1 row_mask:0xf bank_mask:0xf bound_ctrl:1
	v_add_f32_e32 v17, v45, v12
	v_cvt_i32_f32_e32 v18, v17
	v_cvt_f32_i32_dpp v15, v15 row_bcast:15 row_mask:0xf bank_mask:0xf bound_ctrl:1
	v_add_f32_e32 v14, v11, v14
	v_mov_b32_dpp v12, v16 row_bcast:31 row_mask:0xf bank_mask:0xf bound_ctrl:1
	v_cvt_f32_i32_dpp v16, v18 row_shr:4 row_mask:0xf bank_mask:0xf bound_ctrl:1
	v_cvt_i32_f32_e32 v19, v14
	v_add_f32_e32 v11, v13, v15
	v_cvt_i32_f32_e32 v15, v44
	v_add_f32_e32 v16, v17, v16
	v_cvt_f32_i32_dpp v13, v19 row_bcast:15 row_mask:0xf bank_mask:0xf bound_ctrl:1
	v_cvt_i32_f32_e32 v17, v16
	v_cvt_f32_i32_dpp v15, v15 row_shr:8 row_mask:0xf bank_mask:0xf bound_ctrl:1
	v_cvt_i32_f32_e32 v18, v11
	v_add_f32_e32 v13, v14, v13
	v_cvt_f32_i32_dpp v14, v17 row_shr:2 row_mask:0xf bank_mask:0xf bound_ctrl:1
	v_add_f32_e32 v19, v44, v15
	v_cvt_i32_f32_e32 v15, v19
	v_cvt_i32_f32_e32 v17, v13
	v_add_f32_e32 v16, v16, v14
	v_cvt_i32_f32_e32 v20, v16
	v_mov_b32_dpp v14, v18 row_bcast:31 row_mask:0xf bank_mask:0xf bound_ctrl:1
	v_cvt_f32_i32_dpp v18, v15 row_shr:4 row_mask:0xf bank_mask:0xf bound_ctrl:1
	v_mov_b32_dpp v15, v17 row_bcast:31 row_mask:0xf bank_mask:0xf bound_ctrl:1
	v_cvt_f32_i32_dpp v17, v20 row_shr:1 row_mask:0xf bank_mask:0xf bound_ctrl:1
	v_cvt_i32_f32_e32 v20, v43
	v_add_f32_e32 v18, v19, v18
	v_cvt_i32_f32_e32 v19, v25
	v_add_f32_e32 v16, v16, v17
	v_cvt_f32_i32_dpp v20, v20 row_shr:8 row_mask:0xf bank_mask:0xf bound_ctrl:1
	v_cvt_i32_f32_e32 v21, v18
	v_cvt_f32_i32_dpp v17, v19 row_shr:8 row_mask:0xf bank_mask:0xf bound_ctrl:1
	v_cvt_i32_f32_e32 v23, v16
	v_add_f32_e32 v20, v43, v20
	v_cvt_f32_i32_dpp v19, v21 row_shr:2 row_mask:0xf bank_mask:0xf bound_ctrl:1
	v_add_f32_e32 v17, v25, v17
	v_cvt_i32_f32_e32 v21, v20
	v_cvt_i32_f32_e32 v22, v17
	v_add_f32_e32 v18, v18, v19
	v_cvt_f32_i32_dpp v23, v23 row_bcast:15 row_mask:0xf bank_mask:0xf bound_ctrl:1
	v_cvt_f32_i32_dpp v21, v21 row_shr:4 row_mask:0xf bank_mask:0xf bound_ctrl:1
	v_cvt_f32_i32_dpp v19, v22 row_shr:4 row_mask:0xf bank_mask:0xf bound_ctrl:1
	v_cvt_i32_f32_e32 v22, v18
	v_add_f32_e32 v16, v16, v23
	v_add_f32_e32 v20, v20, v21
	;; [unrolled: 1-line block ×3, first 2 shown]
	v_cvt_i32_f32_e32 v21, v20
	v_cvt_i32_f32_e32 v19, v17
	v_cvt_f32_i32_dpp v22, v22 row_shr:1 row_mask:0xf bank_mask:0xf bound_ctrl:1
	v_cvt_i32_f32_e32 v25, v16
	v_cvt_f32_i32_dpp v21, v21 row_shr:2 row_mask:0xf bank_mask:0xf bound_ctrl:1
	v_cvt_f32_i32_dpp v19, v19 row_shr:2 row_mask:0xf bank_mask:0xf bound_ctrl:1
	v_add_f32_e32 v18, v18, v22
	v_cvt_i32_f32_e32 v22, v18
	v_add_f32_e32 v20, v20, v21
	v_add_f32_e32 v17, v17, v19
	v_cvt_i32_f32_e32 v21, v20
	v_cvt_i32_f32_e32 v19, v17
	v_cvt_f32_i32_dpp v22, v22 row_bcast:15 row_mask:0xf bank_mask:0xf bound_ctrl:1
	v_cvt_f32_i32_dpp v21, v21 row_shr:1 row_mask:0xf bank_mask:0xf bound_ctrl:1
	v_cvt_f32_i32_dpp v19, v19 row_shr:1 row_mask:0xf bank_mask:0xf bound_ctrl:1
	v_add_f32_e32 v20, v20, v21
	v_add_f32_e32 v19, v17, v19
	v_cvt_i32_f32_e32 v21, v20
	v_cvt_i32_f32_e32 v23, v19
	v_add_f32_e32 v17, v18, v22
	v_cvt_i32_f32_e32 v26, v17
	v_cvt_f32_i32_dpp v21, v21 row_bcast:15 row_mask:0xf bank_mask:0xf bound_ctrl:1
	v_cvt_f32_i32_dpp v22, v23 row_bcast:15 row_mask:0xf bank_mask:0xf bound_ctrl:1
	v_mov_b32_dpp v23, v25 row_bcast:31 row_mask:0xf bank_mask:0xf bound_ctrl:1
	v_add_f32_e32 v18, v20, v21
	v_add_f32_e32 v19, v19, v22
	v_cvt_i32_f32_e32 v20, v18
	v_cvt_i32_f32_e32 v28, v19
	v_mov_b32_dpp v22, v26 row_bcast:31 row_mask:0xf bank_mask:0xf bound_ctrl:1
	v_mov_b32_dpp v21, v20 row_bcast:31 row_mask:0xf bank_mask:0xf bound_ctrl:1
	;; [unrolled: 1-line block ×3, first 2 shown]
	s_and_saveexec_b64 s[20:21], s[0:1]
	s_cbranch_execz .LBB92_7
; %bb.14:                               ;   in Loop: Header=BB92_8 Depth=1
	s_and_b64 vcc, exec, s[18:19]
	s_cbranch_vccz .LBB92_16
; %bb.15:                               ;   in Loop: Header=BB92_8 Depth=1
	v_mul_hi_u32 v25, v24, v41
	v_mul_lo_u32 v25, v25, s8
	v_sub_u32_e32 v25, v24, v25
	v_subrev_u32_e32 v26, s8, v25
	v_cmp_le_u32_e32 vcc, s8, v25
	v_mov_b32_e32 v29, v27
	v_mov_b32_e32 v35, v27
	v_cndmask_b32_e32 v25, v25, v26, vcc
	v_subrev_u32_e32 v26, s8, v25
	v_cmp_le_u32_e32 vcc, s8, v25
	v_mov_b32_e32 v31, v27
	v_mov_b32_e32 v49, v27
	v_cndmask_b32_e32 v26, v25, v26, vcc
	v_or_b32_e32 v25, 1, v24
	v_mul_hi_u32 v28, v25, v41
	v_mul_lo_u32 v28, v28, s8
	v_sub_u32_e32 v25, v25, v28
	v_subrev_u32_e32 v28, s8, v25
	v_cmp_le_u32_e32 vcc, s8, v25
	v_add_u32_e32 v34, s26, v26
	v_lshl_add_u64 v[52:53], v[34:35], 1, s[10:11]
	v_cndmask_b32_e32 v25, v25, v28, vcc
	v_subrev_u32_e32 v28, s8, v25
	v_cmp_le_u32_e32 vcc, s8, v25
	v_lshl_add_u64 v[32:33], v[26:27], 1, s[10:11]
	v_add_u32_e32 v26, s27, v26
	v_cndmask_b32_e32 v28, v25, v28, vcc
	v_or_b32_e32 v25, 2, v24
	v_lshl_add_u64 v[44:45], v[28:29], 1, s[10:11]
	v_mul_hi_u32 v29, v25, v41
	v_mul_lo_u32 v29, v29, s8
	v_sub_u32_e32 v25, v25, v29
	v_subrev_u32_e32 v29, s8, v25
	v_cmp_le_u32_e32 vcc, s8, v25
	v_add_u32_e32 v34, s26, v28
	v_lshl_add_u64 v[54:55], v[34:35], 1, s[10:11]
	v_cndmask_b32_e32 v25, v25, v29, vcc
	v_subrev_u32_e32 v29, s8, v25
	v_cmp_le_u32_e32 vcc, s8, v25
	s_nop 1
	v_cndmask_b32_e32 v30, v25, v29, vcc
	v_or_b32_e32 v25, 3, v24
	v_mul_hi_u32 v29, v25, v41
	v_mul_lo_u32 v29, v29, s8
	v_sub_u32_e32 v25, v25, v29
	v_subrev_u32_e32 v29, s8, v25
	v_cmp_le_u32_e32 vcc, s8, v25
	v_add_u32_e32 v34, s26, v30
	v_lshl_add_u64 v[56:57], v[34:35], 1, s[10:11]
	v_cndmask_b32_e32 v25, v25, v29, vcc
	v_subrev_u32_e32 v29, s8, v25
	v_cmp_le_u32_e32 vcc, s8, v25
	v_lshl_add_u64 v[46:47], v[30:31], 1, s[10:11]
	s_nop 0
	v_cndmask_b32_e32 v48, v25, v29, vcc
	v_add_u32_e32 v34, s26, v48
	v_lshl_add_u64 v[50:51], v[48:49], 1, s[10:11]
	v_lshl_add_u64 v[58:59], v[34:35], 1, s[10:11]
	global_load_ushort v39, v[32:33], off
	global_load_ushort v38, v[44:45], off
	;; [unrolled: 1-line block ×8, first 2 shown]
	v_lshl_add_u64 v[44:45], v[26:27], 1, s[10:11]
	v_add_u32_e32 v26, s27, v28
	v_lshl_add_u64 v[46:47], v[26:27], 1, s[10:11]
	v_add_u32_e32 v26, s27, v30
	;; [unrolled: 2-line block ×3, first 2 shown]
	v_lshl_add_u64 v[48:49], v[26:27], 1, s[10:11]
	global_load_ushort v33, v[44:45], off
	global_load_ushort v32, v[46:47], off
	;; [unrolled: 1-line block ×4, first 2 shown]
	v_mov_b32_e32 v25, v27
	s_cbranch_execnz .LBB92_6
	s_branch .LBB92_17
.LBB92_16:                              ;   in Loop: Header=BB92_8 Depth=1
                                        ; implicit-def: $vgpr28
                                        ; implicit-def: $vgpr30
                                        ; implicit-def: $vgpr32
                                        ; implicit-def: $vgpr33
                                        ; implicit-def: $vgpr29
                                        ; implicit-def: $vgpr31
                                        ; implicit-def: $vgpr34
                                        ; implicit-def: $vgpr35
                                        ; implicit-def: $vgpr36
                                        ; implicit-def: $vgpr37
                                        ; implicit-def: $vgpr38
                                        ; implicit-def: $vgpr39
.LBB92_17:                              ;   in Loop: Header=BB92_8 Depth=1
	v_mov_b32_e32 v25, v27
	s_waitcnt vmcnt(11)
	v_mov_b32_e32 v39, 0
	s_waitcnt vmcnt(10)
	;; [unrolled: 2-line block ×12, first 2 shown]
	v_mov_b32_e32 v28, 0
	s_branch .LBB92_6
.LBB92_18:
	s_endpgm
	.section	.rodata,"a",@progbits
	.p2align	6, 0x0
	.amdhsa_kernel _Z16wvSplitK_hf_sml_I6__halfLi64ELi4ELi16ELi8ELi1ELi3EEviiiiiiPKT_S3_S3_PS1_ii
		.amdhsa_group_segment_fixed_size 65536
		.amdhsa_private_segment_fixed_size 0
		.amdhsa_kernarg_size 64
		.amdhsa_user_sgpr_count 2
		.amdhsa_user_sgpr_dispatch_ptr 0
		.amdhsa_user_sgpr_queue_ptr 0
		.amdhsa_user_sgpr_kernarg_segment_ptr 1
		.amdhsa_user_sgpr_dispatch_id 0
		.amdhsa_user_sgpr_kernarg_preload_length 0
		.amdhsa_user_sgpr_kernarg_preload_offset 0
		.amdhsa_user_sgpr_private_segment_size 0
		.amdhsa_uses_dynamic_stack 0
		.amdhsa_enable_private_segment 0
		.amdhsa_system_sgpr_workgroup_id_x 1
		.amdhsa_system_sgpr_workgroup_id_y 0
		.amdhsa_system_sgpr_workgroup_id_z 0
		.amdhsa_system_sgpr_workgroup_info 0
		.amdhsa_system_vgpr_workitem_id 1
		.amdhsa_next_free_vgpr 60
		.amdhsa_next_free_sgpr 29
		.amdhsa_accum_offset 60
		.amdhsa_reserve_vcc 1
		.amdhsa_float_round_mode_32 0
		.amdhsa_float_round_mode_16_64 0
		.amdhsa_float_denorm_mode_32 3
		.amdhsa_float_denorm_mode_16_64 3
		.amdhsa_dx10_clamp 1
		.amdhsa_ieee_mode 1
		.amdhsa_fp16_overflow 0
		.amdhsa_tg_split 0
		.amdhsa_exception_fp_ieee_invalid_op 0
		.amdhsa_exception_fp_denorm_src 0
		.amdhsa_exception_fp_ieee_div_zero 0
		.amdhsa_exception_fp_ieee_overflow 0
		.amdhsa_exception_fp_ieee_underflow 0
		.amdhsa_exception_fp_ieee_inexact 0
		.amdhsa_exception_int_div_zero 0
	.end_amdhsa_kernel
	.section	.text._Z16wvSplitK_hf_sml_I6__halfLi64ELi4ELi16ELi8ELi1ELi3EEviiiiiiPKT_S3_S3_PS1_ii,"axG",@progbits,_Z16wvSplitK_hf_sml_I6__halfLi64ELi4ELi16ELi8ELi1ELi3EEviiiiiiPKT_S3_S3_PS1_ii,comdat
.Lfunc_end92:
	.size	_Z16wvSplitK_hf_sml_I6__halfLi64ELi4ELi16ELi8ELi1ELi3EEviiiiiiPKT_S3_S3_PS1_ii, .Lfunc_end92-_Z16wvSplitK_hf_sml_I6__halfLi64ELi4ELi16ELi8ELi1ELi3EEviiiiiiPKT_S3_S3_PS1_ii
                                        ; -- End function
	.section	.AMDGPU.csdata,"",@progbits
; Kernel info:
; codeLenInByte = 3504
; NumSgprs: 35
; NumVgprs: 60
; NumAgprs: 0
; TotalNumVgprs: 60
; ScratchSize: 0
; MemoryBound: 0
; FloatMode: 240
; IeeeMode: 1
; LDSByteSize: 65536 bytes/workgroup (compile time only)
; SGPRBlocks: 4
; VGPRBlocks: 7
; NumSGPRsForWavesPerEU: 35
; NumVGPRsForWavesPerEU: 60
; AccumOffset: 60
; Occupancy: 4
; WaveLimiterHint : 0
; COMPUTE_PGM_RSRC2:SCRATCH_EN: 0
; COMPUTE_PGM_RSRC2:USER_SGPR: 2
; COMPUTE_PGM_RSRC2:TRAP_HANDLER: 0
; COMPUTE_PGM_RSRC2:TGID_X_EN: 1
; COMPUTE_PGM_RSRC2:TGID_Y_EN: 0
; COMPUTE_PGM_RSRC2:TGID_Z_EN: 0
; COMPUTE_PGM_RSRC2:TIDIG_COMP_CNT: 1
; COMPUTE_PGM_RSRC3_GFX90A:ACCUM_OFFSET: 14
; COMPUTE_PGM_RSRC3_GFX90A:TG_SPLIT: 0
	.section	.text._Z12wvSplitK_hf_I6__halfLi64ELi4ELi16ELi8ELi1ELi3EEviiiiiiPKT_S3_S3_PS1_ii,"axG",@progbits,_Z12wvSplitK_hf_I6__halfLi64ELi4ELi16ELi8ELi1ELi3EEviiiiiiPKT_S3_S3_PS1_ii,comdat
	.protected	_Z12wvSplitK_hf_I6__halfLi64ELi4ELi16ELi8ELi1ELi3EEviiiiiiPKT_S3_S3_PS1_ii ; -- Begin function _Z12wvSplitK_hf_I6__halfLi64ELi4ELi16ELi8ELi1ELi3EEviiiiiiPKT_S3_S3_PS1_ii
	.globl	_Z12wvSplitK_hf_I6__halfLi64ELi4ELi16ELi8ELi1ELi3EEviiiiiiPKT_S3_S3_PS1_ii
	.p2align	8
	.type	_Z12wvSplitK_hf_I6__halfLi64ELi4ELi16ELi8ELi1ELi3EEviiiiiiPKT_S3_S3_PS1_ii,@function
_Z12wvSplitK_hf_I6__halfLi64ELi4ELi16ELi8ELi1ELi3EEviiiiiiPKT_S3_S3_PS1_ii: ; @_Z12wvSplitK_hf_I6__halfLi64ELi4ELi16ELi8ELi1ELi3EEviiiiiiPKT_S3_S3_PS1_ii
; %bb.0:
	s_load_dwordx2 s[8:9], s[0:1], 0x38
	s_load_dwordx4 s[12:15], s[0:1], 0x0
	s_load_dwordx2 s[10:11], s[0:1], 0x10
	v_bfe_u32 v7, v0, 10, 10
	s_mov_b32 s4, 1
	s_waitcnt lgkmcnt(0)
	s_mul_i32 s2, s2, s8
	v_add_lshl_u32 v34, s2, v7, 2
	v_add_u32_e32 v1, 4, v34
	s_mov_b32 s5, s4
	v_cmp_gt_u32_e32 vcc, s15, v34
	v_cmp_le_u32_e64 s[2:3], s15, v1
	s_mov_b32 s6, s4
	s_mov_b32 s7, s4
	v_mov_b64_e32 v[2:3], s[4:5]
	s_and_b64 s[16:17], vcc, s[2:3]
	v_mov_b64_e32 v[4:5], s[6:7]
	s_and_saveexec_b64 s[2:3], s[16:17]
	s_cbranch_execz .LBB93_6
; %bb.1:
	s_add_i32 s22, s15, -4
	v_mov_b64_e32 v[2:3], s[4:5]
	v_cmp_ne_u32_e32 vcc, s22, v34
	v_mov_b64_e32 v[4:5], s[6:7]
	s_and_saveexec_b64 s[16:17], vcc
	s_cbranch_execz .LBB93_5
; %bb.2:
	v_subrev_u32_e32 v1, s22, v34
	v_cmp_lt_u32_e32 vcc, 1, v1
	s_mov_b64 s[18:19], 0
	s_mov_b64 s[20:21], 0
	v_cndmask_b32_e32 v6, 1, v1, vcc
	s_mov_b32 s5, s4
	s_mov_b32 s6, s4
	;; [unrolled: 1-line block ×3, first 2 shown]
.LBB93_3:                               ; =>This Inner Loop Header: Depth=1
	s_cmp_lg_u32 s20, 3
	s_cselect_b32 s7, s7, 0
	s_cmp_lg_u32 s20, 2
	s_cselect_b32 s6, s6, 0
	;; [unrolled: 2-line block ×4, first 2 shown]
	s_add_u32 s20, s20, 1
	s_addc_u32 s21, s21, 0
	v_cmp_eq_u32_e32 vcc, s20, v6
	v_mov_b64_e32 v[2:3], s[4:5]
	s_or_b64 s[18:19], vcc, s[18:19]
	v_mov_b64_e32 v[4:5], s[6:7]
	s_andn2_b64 exec, exec, s[18:19]
	s_cbranch_execnz .LBB93_3
; %bb.4:
	s_or_b64 exec, exec, s[18:19]
	v_mov_b32_e32 v34, s22
.LBB93_5:
	s_or_b64 exec, exec, s[16:17]
.LBB93_6:
	s_or_b64 exec, exec, s[2:3]
	s_load_dwordx4 s[16:19], s[0:1], 0x20
	v_and_b32_e32 v6, 0x3ff, v0
	v_lshlrev_b32_e32 v52, 3, v6
	s_mul_i32 s2, s14, 3
	v_lshl_add_u32 v8, v7, 9, v52
	s_min_u32 s20, s2, 0x8000
	v_cmp_gt_u32_e32 vcc, s20, v8
	s_and_saveexec_b64 s[2:3], vcc
	s_cbranch_execz .LBB93_9
; %bb.7:
	v_mov_b32_e32 v11, 0
	v_lshlrev_b32_e32 v10, 10, v7
	v_lshlrev_b32_e32 v12, 4, v6
	v_mov_b32_e32 v13, v11
	v_lshl_add_u64 v[0:1], v[10:11], 0, v[12:13]
	s_waitcnt lgkmcnt(0)
	v_lshl_add_u64 v[0:1], s[16:17], 0, v[0:1]
	v_add_u32_e32 v9, v10, v12
	s_mov_b64 s[4:5], 0
	s_mov_b64 s[6:7], 0x4000
.LBB93_8:                               ; =>This Inner Loop Header: Depth=1
	global_load_dwordx4 v[10:13], v[0:1], off
	v_add_u32_e32 v8, 0x2000, v8
	v_cmp_le_u32_e32 vcc, s20, v8
	v_lshl_add_u64 v[0:1], v[0:1], 0, s[6:7]
	s_or_b64 s[4:5], vcc, s[4:5]
	s_waitcnt vmcnt(0)
	ds_write_b128 v9, v[10:13]
	v_add_u32_e32 v9, 0x4000, v9
	s_andn2_b64 exec, exec, s[4:5]
	s_cbranch_execnz .LBB93_8
.LBB93_9:
	s_or_b64 exec, exec, s[2:3]
	v_cmp_gt_u32_e32 vcc, s8, v7
	v_cmp_gt_u32_e64 s[2:3], s15, v34
	s_and_b64 s[2:3], vcc, s[2:3]
	s_waitcnt lgkmcnt(0)
	s_barrier
	s_and_saveexec_b64 s[4:5], s[2:3]
	s_cbranch_execz .LBB93_62
; %bb.10:
	s_cmp_lg_u32 s12, 0
	s_cselect_b64 s[2:3], -1, 0
	s_add_i32 s33, s12, -8
	s_add_i32 s36, s15, -1
	s_mul_i32 s4, s8, s9
	s_cmp_lg_u64 s[18:19], 0
	s_cselect_b64 s[26:27], -1, 0
	s_lshl_b32 s37, s4, 2
	s_abs_i32 s4, s11
	v_cvt_f32_u32_e32 v0, s10
	v_cvt_f32_u32_e32 v1, s4
	s_sub_i32 s5, 0, s10
	s_add_i32 s11, s15, -4
	v_rcp_iflag_f32_e32 v0, v0
	v_rcp_iflag_f32_e32 v1, v1
	s_load_dwordx2 s[20:21], s[0:1], 0x18
	s_load_dwordx2 s[22:23], s[0:1], 0x30
	v_cmp_eq_u32_e64 s[0:1], 63, v6
	v_mul_f32_e32 v0, 0x4f7ffffe, v0
	v_mul_f32_e32 v1, 0x4f7ffffe, v1
	v_cvt_u32_f32_e32 v0, v0
	v_cvt_u32_f32_e32 v8, v1
	s_mov_b64 s[24:25], 0
	v_mov_b32_e32 v1, 0
	v_mul_lo_u32 v7, s5, v0
	s_sub_i32 s5, 0, s4
	v_readfirstlane_b32 s6, v8
	s_mul_i32 s5, s5, s6
	s_mul_hi_u32 s5, s6, s5
	s_add_i32 s6, s6, s5
	s_sub_i32 s5, 1, s4
	s_cmp_lt_u32 s4, 2
	s_cselect_b32 s5, s5, 1
	s_sub_i32 s7, s5, s4
	s_cmp_ge_u32 s5, s4
	s_cselect_b32 s38, s7, s5
	s_lshr_b32 s5, s6, 31
	s_mul_i32 s5, s5, s4
	s_sub_i32 s5, 2, s5
	s_sub_i32 s6, s5, s4
	s_cmp_ge_u32 s5, s4
	s_cselect_b32 s5, s6, s5
	s_sub_i32 s6, s5, s4
	v_mul_hi_u32 v7, v0, v7
	s_cmp_ge_u32 s5, s4
	v_add_u32_e32 v53, v0, v7
	s_cselect_b32 s39, s6, s5
	s_lshl_b32 s40, s14, 1
	v_cndmask_b32_e64 v0, 0, 1, s[2:3]
	s_mul_i32 s38, s38, s10
	s_mul_i32 s39, s39, s10
	v_lshlrev_b32_e32 v54, 4, v6
	v_add_u32_e32 v55, s40, v52
	s_lshl_b32 s41, s14, 2
	v_add_u32_e32 v56, s14, v52
	v_cmp_ne_u32_e64 s[2:3], 1, v0
	s_movk_i32 s14, 0x7fff
	s_mov_b32 s28, 0
	s_branch .LBB93_13
.LBB93_11:                              ;   in Loop: Header=BB93_13 Depth=1
	s_or_b64 exec, exec, s[8:9]
	v_mov_b32_e32 v34, s11
.LBB93_12:                              ;   in Loop: Header=BB93_13 Depth=1
	s_or_b64 exec, exec, s[6:7]
	v_cmp_le_u32_e32 vcc, s15, v34
	s_or_b64 s[24:25], vcc, s[24:25]
	s_andn2_b64 exec, exec, s[24:25]
	s_cbranch_execz .LBB93_62
.LBB93_13:                              ; =>This Loop Header: Depth=1
                                        ;     Child Loop BB93_17 Depth 2
                                        ;     Child Loop BB93_49 Depth 2
	s_and_b64 vcc, exec, s[2:3]
	v_add_u32_e32 v40, 1, v34
	v_add_u32_e32 v38, 2, v34
	;; [unrolled: 1-line block ×3, first 2 shown]
	v_mov_b32_e32 v64, v1
	v_mov_b32_e32 v63, v1
	;; [unrolled: 1-line block ×4, first 2 shown]
	s_waitcnt vmcnt(11)
	v_mov_b32_e32 v35, v1
	s_waitcnt vmcnt(8)
	v_mov_b32_e32 v37, v1
	v_mov_b32_e32 v39, v1
	;; [unrolled: 1-line block ×7, first 2 shown]
	s_cbranch_vccnz .LBB93_30
; %bb.14:                               ;   in Loop: Header=BB93_13 Depth=1
	v_min_u32_e32 v0, s36, v34
	s_waitcnt vmcnt(3)
	v_mul_lo_u32 v42, v0, s13
	v_min_u32_e32 v0, s36, v40
	v_mul_lo_u32 v44, v0, s13
	v_min_u32_e32 v0, s36, v38
	;; [unrolled: 2-line block ×3, first 2 shown]
	v_mov_b32_e32 v43, v1
	v_mov_b32_e32 v45, v1
	;; [unrolled: 1-line block ×3, first 2 shown]
	v_mul_lo_u32 v48, v0, s13
	v_mov_b32_e32 v49, v1
	v_mov_b32_e32 v60, 0
	;; [unrolled: 1-line block ×14, first 2 shown]
	s_mov_b32 s8, s28
	s_branch .LBB93_17
.LBB93_15:                              ;   in Loop: Header=BB93_17 Depth=2
	s_or_b64 exec, exec, s[6:7]
.LBB93_16:                              ;   in Loop: Header=BB93_17 Depth=2
	s_or_b64 exec, exec, s[4:5]
	s_waitcnt vmcnt(0) lgkmcnt(0)
	;;#ASMSTART
	v_dot2c_f32_f16 v64, v26, v18
	;;#ASMEND
	;;#ASMSTART
	v_dot2c_f32_f16 v63, v26, v14
	;;#ASMEND
	;; [unrolled: 3-line block ×12, first 2 shown]
	s_nop 0
	;;#ASMSTART
	v_dot2c_f32_f16 v64, v27, v19
	;;#ASMEND
	;;#ASMSTART
	v_dot2c_f32_f16 v63, v27, v15
	;;#ASMEND
	;;#ASMSTART
	v_dot2c_f32_f16 v62, v27, v11
	;;#ASMEND
	;;#ASMSTART
	v_dot2c_f32_f16 v61, v27, v7
	;;#ASMEND
	;;#ASMSTART
	v_dot2c_f32_f16 v60, v23, v19
	;;#ASMEND
	;;#ASMSTART
	v_dot2c_f32_f16 v59, v23, v15
	;;#ASMEND
	;;#ASMSTART
	v_dot2c_f32_f16 v58, v23, v11
	;;#ASMEND
	;;#ASMSTART
	v_dot2c_f32_f16 v57, v23, v7
	;;#ASMEND
	;;#ASMSTART
	v_dot2c_f32_f16 v41, v31, v19
	;;#ASMEND
	;;#ASMSTART
	v_dot2c_f32_f16 v39, v31, v15
	;;#ASMEND
	;;#ASMSTART
	v_dot2c_f32_f16 v37, v31, v11
	;;#ASMEND
	;;#ASMSTART
	v_dot2c_f32_f16 v35, v31, v7
	;;#ASMEND
	s_addk_i32 s8, 0x200
	;;#ASMSTART
	v_dot2c_f32_f16 v64, v28, v20
	;;#ASMEND
	;;#ASMSTART
	v_dot2c_f32_f16 v63, v28, v16
	;;#ASMEND
	;; [unrolled: 3-line block ×12, first 2 shown]
	s_cmp_ge_u32 s8, s12
	v_add_u32_e32 v65, 0x400, v65
	;;#ASMSTART
	v_dot2c_f32_f16 v64, v29, v21
	;;#ASMEND
	;;#ASMSTART
	v_dot2c_f32_f16 v63, v29, v17
	;;#ASMEND
	;; [unrolled: 3-line block ×12, first 2 shown]
	s_cbranch_scc1 .LBB93_30
.LBB93_17:                              ;   Parent Loop BB93_13 Depth=1
                                        ; =>  This Inner Loop Header: Depth=2
	v_add_u32_e32 v50, s8, v52
	v_min_u32_e32 v0, s33, v50
	s_waitcnt lgkmcnt(0)
	v_lshl_add_u64 v[6:7], v[0:1], 1, s[20:21]
	v_lshl_add_u64 v[8:9], v[42:43], 1, v[6:7]
	;; [unrolled: 1-line block ×4, first 2 shown]
	global_load_dwordx4 v[18:21], v[8:9], off nt
	global_load_dwordx4 v[14:17], v[10:11], off nt
	v_lshl_add_u64 v[24:25], v[48:49], 1, v[6:7]
	global_load_dwordx4 v[10:13], v[22:23], off nt
	global_load_dwordx4 v[6:9], v[24:25], off nt
	s_mov_b32 s29, s28
	v_cmp_gt_u32_e32 vcc, s12, v50
	v_mov_b64_e32 v[24:25], s[28:29]
	v_mov_b32_e32 v33, 0
	s_waitcnt vmcnt(6)
	v_mov_b32_e32 v32, 0
	s_waitcnt vmcnt(5)
	;; [unrolled: 2-line block ×3, first 2 shown]
	v_mov_b32_e32 v30, 0
	v_mov_b64_e32 v[22:23], s[28:29]
	v_mov_b64_e32 v[28:29], s[28:29]
	;; [unrolled: 1-line block ×3, first 2 shown]
	s_and_saveexec_b64 s[4:5], vcc
	s_cbranch_execz .LBB93_16
; %bb.18:                               ;   in Loop: Header=BB93_17 Depth=2
	v_cmp_lt_u32_e32 vcc, s14, v50
                                        ; implicit-def: $vgpr28_vgpr29
	s_and_saveexec_b64 s[6:7], vcc
	s_xor_b64 s[6:7], exec, s[6:7]
	s_cbranch_execz .LBB93_20
; %bb.19:                               ;   in Loop: Header=BB93_17 Depth=2
	v_mov_b32_e32 v51, v1
	v_lshl_add_u64 v[22:23], v[50:51], 1, s[16:17]
	global_load_dwordx4 v[26:29], v[22:23], off
.LBB93_20:                              ;   in Loop: Header=BB93_17 Depth=2
	s_andn2_saveexec_b64 s[6:7], s[6:7]
	s_cbranch_execz .LBB93_22
; %bb.21:                               ;   in Loop: Header=BB93_17 Depth=2
	s_waitcnt vmcnt(0)
	ds_read_b128 v[26:29], v65
.LBB93_22:                              ;   in Loop: Header=BB93_17 Depth=2
	s_or_b64 exec, exec, s[6:7]
	v_add_u32_e32 v0, s8, v56
	v_cmp_lt_u32_e32 vcc, s14, v0
                                        ; implicit-def: $vgpr24_vgpr25
	s_and_saveexec_b64 s[6:7], vcc
	s_xor_b64 s[6:7], exec, s[6:7]
	s_cbranch_execz .LBB93_24
; %bb.23:                               ;   in Loop: Header=BB93_17 Depth=2
	v_lshl_add_u64 v[22:23], v[0:1], 1, s[16:17]
	global_load_dwordx4 v[22:25], v[22:23], off
.LBB93_24:                              ;   in Loop: Header=BB93_17 Depth=2
	s_andn2_saveexec_b64 s[6:7], s[6:7]
	s_cbranch_execz .LBB93_26
; %bb.25:                               ;   in Loop: Header=BB93_17 Depth=2
	v_add_u32_e32 v0, s40, v65
	s_waitcnt vmcnt(0)
	ds_read_b128 v[22:25], v0
.LBB93_26:                              ;   in Loop: Header=BB93_17 Depth=2
	s_or_b64 exec, exec, s[6:7]
	v_add_u32_e32 v0, s8, v55
	v_cmp_lt_u32_e32 vcc, s14, v0
                                        ; implicit-def: $vgpr33
	s_and_saveexec_b64 s[6:7], vcc
	s_xor_b64 s[6:7], exec, s[6:7]
	s_cbranch_execz .LBB93_28
; %bb.27:                               ;   in Loop: Header=BB93_17 Depth=2
	v_lshl_add_u64 v[30:31], v[0:1], 1, s[16:17]
	global_load_dwordx4 v[30:33], v[30:31], off
.LBB93_28:                              ;   in Loop: Header=BB93_17 Depth=2
	s_andn2_saveexec_b64 s[6:7], s[6:7]
	s_cbranch_execz .LBB93_15
; %bb.29:                               ;   in Loop: Header=BB93_17 Depth=2
	v_add_u32_e32 v0, s41, v65
	s_waitcnt vmcnt(0)
	ds_read2_b32 v[30:31], v0 offset1:1
	ds_read2_b32 v[32:33], v0 offset0:2 offset1:3
	s_branch .LBB93_15
.LBB93_30:                              ;   in Loop: Header=BB93_13 Depth=1
	v_cvt_i32_f32_e32 v0, v64
	v_cvt_i32_f32_e32 v6, v63
	;; [unrolled: 1-line block ×4, first 2 shown]
	v_cvt_f32_i32_dpp v0, v0 row_shr:8 row_mask:0xf bank_mask:0xf bound_ctrl:1
	v_cvt_f32_i32_dpp v6, v6 row_shr:8 row_mask:0xf bank_mask:0xf bound_ctrl:1
	v_cvt_f32_i32_dpp v7, v7 row_shr:8 row_mask:0xf bank_mask:0xf bound_ctrl:1
	v_cvt_f32_i32_dpp v8, v8 row_shr:8 row_mask:0xf bank_mask:0xf bound_ctrl:1
	v_add_f32_e32 v0, v64, v0
	v_cvt_i32_f32_e32 v9, v0
	v_add_f32_e32 v6, v63, v6
	v_cvt_i32_f32_e32 v11, v6
	v_add_f32_e32 v7, v62, v7
	v_cvt_f32_i32_dpp v9, v9 row_shr:4 row_mask:0xf bank_mask:0xf bound_ctrl:1
	v_cvt_i32_f32_e32 v12, v7
	v_cvt_f32_i32_dpp v11, v11 row_shr:4 row_mask:0xf bank_mask:0xf bound_ctrl:1
	v_add_f32_e32 v8, v61, v8
	v_add_f32_e32 v0, v0, v9
	v_cvt_i32_f32_e32 v9, v0
	v_add_f32_e32 v6, v6, v11
	v_cvt_i32_f32_e32 v11, v6
	v_cvt_f32_i32_dpp v12, v12 row_shr:4 row_mask:0xf bank_mask:0xf bound_ctrl:1
	v_cvt_f32_i32_dpp v9, v9 row_shr:2 row_mask:0xf bank_mask:0xf bound_ctrl:1
	v_cvt_i32_f32_e32 v13, v8
	v_cvt_f32_i32_dpp v11, v11 row_shr:2 row_mask:0xf bank_mask:0xf bound_ctrl:1
	v_add_f32_e32 v7, v7, v12
	v_add_f32_e32 v0, v0, v9
	v_cvt_i32_f32_e32 v9, v0
	v_add_f32_e32 v6, v6, v11
	v_cvt_i32_f32_e32 v11, v6
	v_cvt_i32_f32_e32 v12, v7
	v_cvt_f32_i32_dpp v9, v9 row_shr:1 row_mask:0xf bank_mask:0xf bound_ctrl:1
	v_cvt_f32_i32_dpp v13, v13 row_shr:4 row_mask:0xf bank_mask:0xf bound_ctrl:1
	;; [unrolled: 1-line block ×4, first 2 shown]
	v_add_f32_e32 v0, v0, v9
	v_cvt_i32_f32_e32 v9, v0
	v_add_f32_e32 v6, v6, v11
	v_cvt_i32_f32_e32 v11, v6
	v_add_f32_e32 v12, v7, v12
	v_cvt_f32_i32_dpp v9, v9 row_bcast:15 row_mask:0xf bank_mask:0xf bound_ctrl:1
	v_cvt_i32_f32_e32 v10, v60
	v_cvt_i32_f32_e32 v7, v12
	v_cvt_f32_i32_dpp v11, v11 row_bcast:15 row_mask:0xf bank_mask:0xf bound_ctrl:1
	v_add_f32_e32 v9, v0, v9
	v_cvt_i32_f32_e32 v0, v9
	v_add_f32_e32 v8, v8, v13
	v_cvt_f32_i32_dpp v13, v7 row_shr:1 row_mask:0xf bank_mask:0xf bound_ctrl:1
	v_add_f32_e32 v7, v6, v11
	v_mov_b32_dpp v11, v0 row_bcast:31 row_mask:0xf bank_mask:0xf bound_ctrl:1
	v_cvt_i32_f32_e32 v0, v8
	v_cvt_f32_i32_dpp v10, v10 row_shr:8 row_mask:0xf bank_mask:0xf bound_ctrl:1
	v_add_f32_e32 v12, v12, v13
	v_cvt_i32_f32_e32 v13, v12
	v_cvt_f32_i32_dpp v0, v0 row_shr:2 row_mask:0xf bank_mask:0xf bound_ctrl:1
	v_add_f32_e32 v14, v60, v10
	v_cvt_i32_f32_e32 v10, v14
	v_cvt_i32_f32_e32 v6, v7
	v_add_f32_e32 v0, v8, v0
	v_cvt_i32_f32_e32 v8, v0
	v_cvt_f32_i32_dpp v13, v13 row_bcast:15 row_mask:0xf bank_mask:0xf bound_ctrl:1
	v_cvt_f32_i32_dpp v15, v10 row_shr:4 row_mask:0xf bank_mask:0xf bound_ctrl:1
	v_mov_b32_dpp v10, v6 row_bcast:31 row_mask:0xf bank_mask:0xf bound_ctrl:1
	v_cvt_f32_i32_dpp v8, v8 row_shr:1 row_mask:0xf bank_mask:0xf bound_ctrl:1
	v_add_f32_e32 v6, v12, v13
	v_add_f32_e32 v12, v14, v15
	v_cvt_i32_f32_e32 v13, v12
	v_add_f32_e32 v0, v0, v8
	v_cvt_i32_f32_e32 v8, v59
	v_cvt_i32_f32_e32 v14, v0
	v_cvt_f32_i32_dpp v13, v13 row_shr:2 row_mask:0xf bank_mask:0xf bound_ctrl:1
	v_cvt_i32_f32_e32 v15, v6
	v_cvt_f32_i32_dpp v8, v8 row_shr:8 row_mask:0xf bank_mask:0xf bound_ctrl:1
	v_cvt_f32_i32_dpp v14, v14 row_bcast:15 row_mask:0xf bank_mask:0xf bound_ctrl:1
	v_add_f32_e32 v13, v12, v13
	v_cvt_i32_f32_e32 v16, v13
	v_add_f32_e32 v17, v59, v8
	v_cvt_i32_f32_e32 v18, v17
	v_mov_b32_dpp v12, v15 row_bcast:31 row_mask:0xf bank_mask:0xf bound_ctrl:1
	v_cvt_f32_i32_dpp v15, v16 row_shr:1 row_mask:0xf bank_mask:0xf bound_ctrl:1
	v_add_f32_e32 v8, v0, v14
	v_cvt_f32_i32_dpp v0, v18 row_shr:4 row_mask:0xf bank_mask:0xf bound_ctrl:1
	v_cvt_i32_f32_e32 v14, v8
	v_add_f32_e32 v15, v13, v15
	v_cvt_i32_f32_e32 v13, v58
	v_add_f32_e32 v0, v17, v0
	v_cvt_i32_f32_e32 v16, v0
	v_cvt_i32_f32_e32 v17, v15
	v_cvt_f32_i32_dpp v18, v13 row_shr:8 row_mask:0xf bank_mask:0xf bound_ctrl:1
	v_mov_b32_dpp v13, v14 row_bcast:31 row_mask:0xf bank_mask:0xf bound_ctrl:1
	v_cvt_f32_i32_dpp v14, v16 row_shr:2 row_mask:0xf bank_mask:0xf bound_ctrl:1
	v_cvt_f32_i32_dpp v16, v17 row_bcast:15 row_mask:0xf bank_mask:0xf bound_ctrl:1
	v_add_f32_e32 v17, v58, v18
	v_cvt_i32_f32_e32 v18, v17
	v_cvt_i32_f32_e32 v19, v57
	v_add_f32_e32 v0, v0, v14
	v_add_f32_e32 v14, v15, v16
	v_cvt_f32_i32_dpp v18, v18 row_shr:4 row_mask:0xf bank_mask:0xf bound_ctrl:1
	v_cvt_f32_i32_dpp v15, v19 row_shr:8 row_mask:0xf bank_mask:0xf bound_ctrl:1
	v_cvt_i32_f32_e32 v20, v0
	v_add_f32_e32 v17, v17, v18
	v_cvt_i32_f32_e32 v18, v17
	v_add_f32_e32 v15, v57, v15
	v_cvt_f32_i32_dpp v16, v20 row_shr:1 row_mask:0xf bank_mask:0xf bound_ctrl:1
	v_cvt_i32_f32_e32 v19, v15
	v_cvt_f32_i32_dpp v18, v18 row_shr:2 row_mask:0xf bank_mask:0xf bound_ctrl:1
	v_cvt_i32_f32_e32 v20, v14
	v_add_f32_e32 v0, v0, v16
	v_cvt_f32_i32_dpp v16, v19 row_shr:4 row_mask:0xf bank_mask:0xf bound_ctrl:1
	v_add_f32_e32 v17, v17, v18
	v_cvt_i32_f32_e32 v19, v0
	v_cvt_i32_f32_e32 v18, v17
	v_add_f32_e32 v16, v15, v16
	v_cvt_i32_f32_e32 v15, v16
	v_cvt_f32_i32_dpp v19, v19 row_bcast:15 row_mask:0xf bank_mask:0xf bound_ctrl:1
	v_cvt_f32_i32_dpp v18, v18 row_shr:1 row_mask:0xf bank_mask:0xf bound_ctrl:1
	v_mov_b32_dpp v20, v20 row_bcast:31 row_mask:0xf bank_mask:0xf bound_ctrl:1
	v_cvt_f32_i32_dpp v21, v15 row_shr:2 row_mask:0xf bank_mask:0xf bound_ctrl:1
	v_add_f32_e32 v15, v0, v19
	v_add_f32_e32 v0, v17, v18
	v_cvt_i32_f32_e32 v17, v41
	v_add_f32_e32 v16, v16, v21
	v_cvt_i32_f32_e32 v18, v16
	v_cvt_i32_f32_e32 v19, v0
	v_cvt_f32_i32_dpp v17, v17 row_shr:8 row_mask:0xf bank_mask:0xf bound_ctrl:1
	v_cvt_i32_f32_e32 v21, v15
	v_cvt_f32_i32_dpp v18, v18 row_shr:1 row_mask:0xf bank_mask:0xf bound_ctrl:1
	v_cvt_f32_i32_dpp v19, v19 row_bcast:15 row_mask:0xf bank_mask:0xf bound_ctrl:1
	v_add_f32_e32 v17, v41, v17
	v_cvt_i32_f32_e32 v23, v17
	v_add_f32_e32 v18, v16, v18
	v_mov_b32_dpp v22, v21 row_bcast:31 row_mask:0xf bank_mask:0xf bound_ctrl:1
	v_cvt_i32_f32_e32 v24, v18
	v_cvt_f32_i32_dpp v21, v23 row_shr:4 row_mask:0xf bank_mask:0xf bound_ctrl:1
	v_add_f32_e32 v16, v0, v19
	v_cvt_i32_f32_e32 v19, v39
	v_cvt_f32_i32_dpp v0, v24 row_bcast:15 row_mask:0xf bank_mask:0xf bound_ctrl:1
	v_add_f32_e32 v21, v17, v21
	v_cvt_i32_f32_e32 v23, v21
	v_cvt_f32_i32_dpp v19, v19 row_shr:8 row_mask:0xf bank_mask:0xf bound_ctrl:1
	v_add_f32_e32 v17, v18, v0
	v_cvt_i32_f32_e32 v18, v17
	v_cvt_f32_i32_dpp v0, v23 row_shr:2 row_mask:0xf bank_mask:0xf bound_ctrl:1
	v_add_f32_e32 v23, v39, v19
	v_cvt_i32_f32_e32 v19, v23
	v_cvt_i32_f32_e32 v24, v16
	v_add_f32_e32 v0, v21, v0
	v_cvt_i32_f32_e32 v21, v0
	v_cvt_f32_i32_dpp v25, v19 row_shr:4 row_mask:0xf bank_mask:0xf bound_ctrl:1
	v_mov_b32_dpp v19, v18 row_bcast:31 row_mask:0xf bank_mask:0xf bound_ctrl:1
	v_mov_b32_dpp v24, v24 row_bcast:31 row_mask:0xf bank_mask:0xf bound_ctrl:1
	v_cvt_f32_i32_dpp v18, v21 row_shr:1 row_mask:0xf bank_mask:0xf bound_ctrl:1
	v_cvt_i32_f32_e32 v21, v37
	v_add_f32_e32 v23, v23, v25
	v_cvt_i32_f32_e32 v25, v35
	v_add_f32_e32 v0, v0, v18
	v_cvt_f32_i32_dpp v21, v21 row_shr:8 row_mask:0xf bank_mask:0xf bound_ctrl:1
	v_cvt_i32_f32_e32 v26, v23
	v_cvt_f32_i32_dpp v18, v25 row_shr:8 row_mask:0xf bank_mask:0xf bound_ctrl:1
	v_cvt_i32_f32_e32 v28, v0
	v_add_f32_e32 v21, v37, v21
	v_cvt_f32_i32_dpp v25, v26 row_shr:2 row_mask:0xf bank_mask:0xf bound_ctrl:1
	v_add_f32_e32 v18, v35, v18
	v_cvt_i32_f32_e32 v26, v21
	v_cvt_i32_f32_e32 v27, v18
	v_add_f32_e32 v23, v23, v25
	v_cvt_f32_i32_dpp v28, v28 row_bcast:15 row_mask:0xf bank_mask:0xf bound_ctrl:1
	v_cvt_f32_i32_dpp v26, v26 row_shr:4 row_mask:0xf bank_mask:0xf bound_ctrl:1
	v_cvt_f32_i32_dpp v25, v27 row_shr:4 row_mask:0xf bank_mask:0xf bound_ctrl:1
	v_cvt_i32_f32_e32 v27, v23
	v_add_f32_e32 v21, v21, v26
	v_add_f32_e32 v18, v18, v25
	v_cvt_i32_f32_e32 v26, v21
	v_cvt_i32_f32_e32 v25, v18
	v_cvt_f32_i32_dpp v27, v27 row_shr:1 row_mask:0xf bank_mask:0xf bound_ctrl:1
	v_cvt_f32_i32_dpp v26, v26 row_shr:2 row_mask:0xf bank_mask:0xf bound_ctrl:1
	;; [unrolled: 1-line block ×3, first 2 shown]
	v_add_f32_e32 v23, v23, v27
	v_add_f32_e32 v27, v0, v28
	;; [unrolled: 1-line block ×4, first 2 shown]
	v_cvt_i32_f32_e32 v26, v21
	v_cvt_i32_f32_e32 v25, v18
	;; [unrolled: 1-line block ×4, first 2 shown]
	v_cvt_f32_i32_dpp v26, v26 row_shr:1 row_mask:0xf bank_mask:0xf bound_ctrl:1
	v_cvt_f32_i32_dpp v0, v25 row_shr:1 row_mask:0xf bank_mask:0xf bound_ctrl:1
	v_cvt_f32_i32_dpp v25, v29 row_bcast:15 row_mask:0xf bank_mask:0xf bound_ctrl:1
	v_add_f32_e32 v21, v21, v26
	v_add_f32_e32 v0, v18, v0
	v_cvt_i32_f32_e32 v26, v21
	v_cvt_i32_f32_e32 v18, v0
	s_nop 0
	v_cvt_f32_i32_dpp v29, v26 row_bcast:15 row_mask:0xf bank_mask:0xf bound_ctrl:1
	v_cvt_f32_i32_dpp v18, v18 row_bcast:15 row_mask:0xf bank_mask:0xf bound_ctrl:1
	v_add_f32_e32 v26, v23, v25
	v_cvt_i32_f32_e32 v25, v26
	v_add_f32_e32 v23, v21, v29
	v_add_f32_e32 v18, v0, v18
	v_cvt_i32_f32_e32 v21, v23
	v_cvt_i32_f32_e32 v0, v18
	v_mov_b32_dpp v29, v28 row_bcast:31 row_mask:0xf bank_mask:0xf bound_ctrl:1
	v_mov_b32_dpp v28, v25 row_bcast:31 row_mask:0xf bank_mask:0xf bound_ctrl:1
	;; [unrolled: 1-line block ×4, first 2 shown]
	s_and_saveexec_b64 s[30:31], s[0:1]
	s_cbranch_execz .LBB93_46
; %bb.31:                               ;   in Loop: Header=BB93_13 Depth=1
	s_andn2_b64 vcc, exec, s[26:27]
	v_mov_b32_e32 v35, 0
	v_mov_b32_e32 v41, 0
	;; [unrolled: 1-line block ×4, first 2 shown]
	s_waitcnt vmcnt(7)
	v_mov_b32_e32 v45, 0
	s_waitcnt vmcnt(6)
	v_mov_b32_e32 v44, 0
	;; [unrolled: 2-line block ×8, first 2 shown]
	s_cbranch_vccnz .LBB93_33
; %bb.32:                               ;   in Loop: Header=BB93_13 Depth=1
	v_mul_hi_u32 v0, v34, v53
	v_mul_lo_u32 v0, v0, s10
	v_sub_u32_e32 v0, v34, v0
	v_subrev_u32_e32 v30, s10, v0
	v_cmp_le_u32_e32 vcc, s10, v0
	v_mul_hi_u32 v32, v40, v53
	v_mul_lo_u32 v32, v32, s10
	v_cndmask_b32_e32 v0, v0, v30, vcc
	v_subrev_u32_e32 v30, s10, v0
	v_cmp_le_u32_e32 vcc, s10, v0
	v_sub_u32_e32 v32, v40, v32
	v_subrev_u32_e32 v33, s10, v32
	v_cndmask_b32_e32 v0, v0, v30, vcc
	v_cmp_le_u32_e32 vcc, s10, v32
	v_add_u32_e32 v44, s38, v0
	v_mov_b32_e32 v45, v1
	v_cndmask_b32_e32 v32, v32, v33, vcc
	v_subrev_u32_e32 v33, s10, v32
	v_cmp_le_u32_e32 vcc, s10, v32
	v_lshl_add_u64 v[60:61], v[44:45], 1, s[18:19]
	v_lshl_add_u64 v[30:31], v[0:1], 1, s[18:19]
	v_cndmask_b32_e32 v32, v32, v33, vcc
	v_mov_b32_e32 v33, v1
	v_lshl_add_u64 v[42:43], v[32:33], 1, s[18:19]
	v_mul_hi_u32 v33, v38, v53
	v_mul_lo_u32 v33, v33, s10
	v_sub_u32_e32 v33, v38, v33
	v_subrev_u32_e32 v35, s10, v33
	v_cmp_le_u32_e32 vcc, s10, v33
	v_add_u32_e32 v44, s38, v32
	v_lshl_add_u64 v[62:63], v[44:45], 1, s[18:19]
	v_cndmask_b32_e32 v33, v33, v35, vcc
	v_subrev_u32_e32 v35, s10, v33
	v_cmp_le_u32_e32 vcc, s10, v33
	v_mov_b32_e32 v47, v1
	v_mov_b32_e32 v51, v1
	v_cndmask_b32_e32 v46, v33, v35, vcc
	v_mul_hi_u32 v33, v36, v53
	v_mul_lo_u32 v33, v33, s10
	v_sub_u32_e32 v33, v36, v33
	v_subrev_u32_e32 v35, s10, v33
	v_cmp_le_u32_e32 vcc, s10, v33
	v_add_u32_e32 v44, s38, v46
	v_lshl_add_u64 v[64:65], v[44:45], 1, s[18:19]
	v_cndmask_b32_e32 v33, v33, v35, vcc
	v_subrev_u32_e32 v35, s10, v33
	v_cmp_le_u32_e32 vcc, s10, v33
	v_lshl_add_u64 v[48:49], v[46:47], 1, s[18:19]
	v_add_u32_e32 v0, s39, v0
	v_cndmask_b32_e32 v50, v33, v35, vcc
	v_add_u32_e32 v44, s38, v50
	v_lshl_add_u64 v[58:59], v[50:51], 1, s[18:19]
	v_lshl_add_u64 v[66:67], v[44:45], 1, s[18:19]
	global_load_ushort v35, v[30:31], off
	global_load_ushort v41, v[42:43], off
	;; [unrolled: 1-line block ×6, first 2 shown]
                                        ; kill: killed $vgpr58_vgpr59
                                        ; kill: killed $vgpr60_vgpr61
                                        ; kill: killed $vgpr62_vgpr63
                                        ; kill: killed $vgpr42_vgpr43
                                        ; kill: killed $vgpr30_vgpr31
                                        ; kill: killed $vgpr48_vgpr49
	s_nop 0
	global_load_ushort v43, v[64:65], off
	global_load_ushort v33, v[66:67], off
	v_lshl_add_u64 v[48:49], v[0:1], 1, s[18:19]
	v_add_u32_e32 v0, s39, v32
	v_lshl_add_u64 v[58:59], v[0:1], 1, s[18:19]
	v_add_u32_e32 v0, s39, v46
	;; [unrolled: 2-line block ×3, first 2 shown]
	v_lshl_add_u64 v[50:51], v[0:1], 1, s[18:19]
	global_load_ushort v42, v[48:49], off
	global_load_ushort v32, v[58:59], off
	global_load_ushort v31, v[46:47], off
	global_load_ushort v30, v[50:51], off
.LBB93_33:                              ;   in Loop: Header=BB93_13 Depth=1
	v_cmp_ne_u32_e32 vcc, 0, v2
	s_and_saveexec_b64 s[4:5], vcc
	s_cbranch_execnz .LBB93_51
; %bb.34:                               ;   in Loop: Header=BB93_13 Depth=1
	s_or_b64 exec, exec, s[4:5]
	v_cmp_ne_u32_e64 s[4:5], 0, v3
	s_and_saveexec_b64 s[6:7], s[4:5]
	s_cbranch_execnz .LBB93_52
.LBB93_35:                              ;   in Loop: Header=BB93_13 Depth=1
	s_or_b64 exec, exec, s[6:7]
	v_cmp_ne_u32_e64 s[6:7], 0, v4
	s_and_saveexec_b64 s[8:9], s[6:7]
	s_cbranch_execnz .LBB93_53
.LBB93_36:                              ;   in Loop: Header=BB93_13 Depth=1
	s_or_b64 exec, exec, s[8:9]
	v_cmp_ne_u32_e64 s[8:9], 0, v5
	s_and_saveexec_b64 s[34:35], s[8:9]
	s_cbranch_execnz .LBB93_54
.LBB93_37:                              ;   in Loop: Header=BB93_13 Depth=1
	s_or_b64 exec, exec, s[34:35]
	v_add_u32_e32 v0, s15, v34
	s_and_saveexec_b64 s[34:35], vcc
	s_cbranch_execnz .LBB93_55
.LBB93_38:                              ;   in Loop: Header=BB93_13 Depth=1
	s_or_b64 exec, exec, s[34:35]
	s_and_saveexec_b64 s[34:35], s[4:5]
	s_cbranch_execnz .LBB93_56
.LBB93_39:                              ;   in Loop: Header=BB93_13 Depth=1
	s_or_b64 exec, exec, s[34:35]
	s_and_saveexec_b64 s[34:35], s[6:7]
	s_cbranch_execnz .LBB93_57
.LBB93_40:                              ;   in Loop: Header=BB93_13 Depth=1
	s_or_b64 exec, exec, s[34:35]
	s_and_saveexec_b64 s[34:35], s[8:9]
	s_cbranch_execnz .LBB93_58
.LBB93_41:                              ;   in Loop: Header=BB93_13 Depth=1
	s_or_b64 exec, exec, s[34:35]
	v_add_u32_e32 v0, s15, v0
	s_and_saveexec_b64 s[34:35], vcc
	s_cbranch_execnz .LBB93_59
.LBB93_42:                              ;   in Loop: Header=BB93_13 Depth=1
	s_or_b64 exec, exec, s[34:35]
	s_and_saveexec_b64 s[34:35], s[4:5]
	s_cbranch_execnz .LBB93_60
.LBB93_43:                              ;   in Loop: Header=BB93_13 Depth=1
	s_or_b64 exec, exec, s[34:35]
	s_and_saveexec_b64 s[4:5], s[6:7]
	s_cbranch_execnz .LBB93_61
.LBB93_44:                              ;   in Loop: Header=BB93_13 Depth=1
	s_or_b64 exec, exec, s[4:5]
	s_and_b64 exec, exec, s[8:9]
	s_cbranch_execz .LBB93_46
.LBB93_45:                              ;   in Loop: Header=BB93_13 Depth=1
	v_cvt_f32_i32_e32 v6, v21
	s_waitcnt vmcnt(0)
	v_cvt_f32_f16_e32 v7, v30
	v_add_u32_e32 v0, 3, v0
	v_add_f32_e32 v6, v18, v6
	v_add_f32_e32 v6, v6, v7
	v_cvt_f16_f32_e32 v8, v6
	s_waitcnt lgkmcnt(0)
	v_lshl_add_u64 v[6:7], v[0:1], 1, s[22:23]
	global_store_short v[6:7], v8, off
.LBB93_46:                              ;   in Loop: Header=BB93_13 Depth=1
	s_or_b64 exec, exec, s[30:31]
	v_add_u32_e32 v34, s37, v34
	v_add_u32_e32 v0, 4, v34
	v_cmp_gt_u32_e32 vcc, s15, v34
	v_cmp_le_u32_e64 s[4:5], s15, v0
	s_and_b64 s[4:5], vcc, s[4:5]
	s_and_saveexec_b64 s[6:7], s[4:5]
	s_cbranch_execz .LBB93_12
; %bb.47:                               ;   in Loop: Header=BB93_13 Depth=1
	v_cmp_ne_u32_e32 vcc, s11, v34
	s_and_saveexec_b64 s[8:9], vcc
	s_cbranch_execz .LBB93_11
; %bb.48:                               ;   in Loop: Header=BB93_13 Depth=1
	v_subrev_u32_e32 v0, s11, v34
	v_cmp_lt_u32_e32 vcc, 1, v0
	s_mov_b64 s[30:31], 0
	s_mov_b64 s[34:35], 0
	v_cndmask_b32_e32 v0, 1, v0, vcc
.LBB93_49:                              ;   Parent Loop BB93_13 Depth=1
                                        ; =>  This Inner Loop Header: Depth=2
	s_cmp_lg_u32 s34, 3
	s_cselect_b64 vcc, -1, 0
	s_cmp_lg_u32 s34, 2
	v_cndmask_b32_e32 v5, 0, v5, vcc
	s_cselect_b64 vcc, -1, 0
	s_cmp_lg_u32 s34, 1
	v_cndmask_b32_e32 v4, 0, v4, vcc
	;; [unrolled: 3-line block ×3, first 2 shown]
	s_cselect_b64 vcc, -1, 0
	s_add_u32 s34, s34, 1
	s_addc_u32 s35, s35, 0
	v_cmp_eq_u32_e64 s[4:5], s34, v0
	s_or_b64 s[30:31], s[4:5], s[30:31]
	v_cndmask_b32_e32 v2, 0, v2, vcc
	s_andn2_b64 exec, exec, s[30:31]
	s_cbranch_execnz .LBB93_49
; %bb.50:                               ;   in Loop: Header=BB93_13 Depth=1
	s_or_b64 exec, exec, s[30:31]
	s_branch .LBB93_11
.LBB93_51:                              ;   in Loop: Header=BB93_13 Depth=1
	v_cvt_f32_i32_e32 v0, v11
	s_waitcnt vmcnt(11)
	v_cvt_f32_f16_e32 v11, v35
	v_mov_b32_e32 v35, v1
	s_waitcnt lgkmcnt(0)
	v_lshl_add_u64 v[46:47], v[34:35], 1, s[22:23]
	v_add_f32_e32 v0, v9, v0
	v_add_f32_e32 v0, v0, v11
	v_cvt_f16_f32_e32 v0, v0
	global_store_short v[46:47], v0, off
	s_or_b64 exec, exec, s[4:5]
	v_cmp_ne_u32_e64 s[4:5], 0, v3
	s_and_saveexec_b64 s[6:7], s[4:5]
	s_cbranch_execz .LBB93_35
.LBB93_52:                              ;   in Loop: Header=BB93_13 Depth=1
	v_cvt_f32_i32_e32 v0, v10
	s_waitcnt vmcnt(10)
	v_cvt_f32_f16_e32 v9, v41
	v_mov_b32_e32 v41, v1
	s_waitcnt lgkmcnt(0)
	v_lshl_add_u64 v[10:11], v[40:41], 1, s[22:23]
	v_add_f32_e32 v0, v7, v0
	v_add_f32_e32 v0, v0, v9
	v_cvt_f16_f32_e32 v0, v0
	global_store_short v[10:11], v0, off
	s_or_b64 exec, exec, s[6:7]
	v_cmp_ne_u32_e64 s[6:7], 0, v4
	s_and_saveexec_b64 s[8:9], s[6:7]
	s_cbranch_execz .LBB93_36
.LBB93_53:                              ;   in Loop: Header=BB93_13 Depth=1
	v_cvt_f32_i32_e32 v0, v12
	s_waitcnt vmcnt(9)
	v_cvt_f32_f16_e32 v7, v39
	v_mov_b32_e32 v39, v1
	v_add_f32_e32 v0, v6, v0
	v_add_f32_e32 v0, v0, v7
	v_cvt_f16_f32_e32 v0, v0
	s_waitcnt lgkmcnt(0)
	v_lshl_add_u64 v[6:7], v[38:39], 1, s[22:23]
	global_store_short v[6:7], v0, off
	s_or_b64 exec, exec, s[8:9]
	v_cmp_ne_u32_e64 s[8:9], 0, v5
	s_and_saveexec_b64 s[34:35], s[8:9]
	s_cbranch_execz .LBB93_37
.LBB93_54:                              ;   in Loop: Header=BB93_13 Depth=1
	v_cvt_f32_i32_e32 v0, v13
	s_waitcnt vmcnt(8)
	v_cvt_f32_f16_e32 v6, v37
	v_mov_b32_e32 v37, v1
	v_add_f32_e32 v0, v8, v0
	v_add_f32_e32 v0, v0, v6
	v_cvt_f16_f32_e32 v0, v0
	s_waitcnt lgkmcnt(0)
	v_lshl_add_u64 v[6:7], v[36:37], 1, s[22:23]
	global_store_short v[6:7], v0, off
	s_or_b64 exec, exec, s[34:35]
	v_add_u32_e32 v0, s15, v34
	s_and_saveexec_b64 s[34:35], vcc
	s_cbranch_execz .LBB93_38
.LBB93_55:                              ;   in Loop: Header=BB93_13 Depth=1
	v_cvt_f32_i32_e32 v6, v20
	s_waitcnt vmcnt(7)
	v_cvt_f32_f16_e32 v7, v45
	v_add_f32_e32 v6, v14, v6
	v_add_f32_e32 v6, v6, v7
	v_cvt_f16_f32_e32 v8, v6
	s_waitcnt lgkmcnt(0)
	v_lshl_add_u64 v[6:7], v[0:1], 1, s[22:23]
	global_store_short v[6:7], v8, off
	s_or_b64 exec, exec, s[34:35]
	s_and_saveexec_b64 s[34:35], s[4:5]
	s_cbranch_execz .LBB93_39
.LBB93_56:                              ;   in Loop: Header=BB93_13 Depth=1
	v_cvt_f32_i32_e32 v6, v22
	s_waitcnt vmcnt(6)
	v_cvt_f32_f16_e32 v7, v44
	v_add_f32_e32 v6, v15, v6
	v_add_f32_e32 v6, v6, v7
	v_cvt_f16_f32_e32 v8, v6
	v_add_u32_e32 v6, 1, v0
	v_mov_b32_e32 v7, v1
	s_waitcnt lgkmcnt(0)
	v_lshl_add_u64 v[6:7], v[6:7], 1, s[22:23]
	global_store_short v[6:7], v8, off
	s_or_b64 exec, exec, s[34:35]
	s_and_saveexec_b64 s[34:35], s[6:7]
	s_cbranch_execz .LBB93_40
.LBB93_57:                              ;   in Loop: Header=BB93_13 Depth=1
	v_cvt_f32_i32_e32 v6, v24
	s_waitcnt vmcnt(5)
	v_cvt_f32_f16_e32 v7, v43
	v_add_f32_e32 v6, v16, v6
	v_add_f32_e32 v6, v6, v7
	v_cvt_f16_f32_e32 v8, v6
	v_add_u32_e32 v6, 2, v0
	v_mov_b32_e32 v7, v1
	s_waitcnt lgkmcnt(0)
	v_lshl_add_u64 v[6:7], v[6:7], 1, s[22:23]
	global_store_short v[6:7], v8, off
	s_or_b64 exec, exec, s[34:35]
	s_and_saveexec_b64 s[34:35], s[8:9]
	s_cbranch_execz .LBB93_41
.LBB93_58:                              ;   in Loop: Header=BB93_13 Depth=1
	v_cvt_f32_i32_e32 v6, v19
	s_waitcnt vmcnt(4)
	v_cvt_f32_f16_e32 v7, v33
	v_add_f32_e32 v6, v17, v6
	v_add_f32_e32 v6, v6, v7
	v_cvt_f16_f32_e32 v8, v6
	v_add_u32_e32 v6, 3, v0
	v_mov_b32_e32 v7, v1
	s_waitcnt lgkmcnt(0)
	v_lshl_add_u64 v[6:7], v[6:7], 1, s[22:23]
	global_store_short v[6:7], v8, off
	s_or_b64 exec, exec, s[34:35]
	v_add_u32_e32 v0, s15, v0
	s_and_saveexec_b64 s[34:35], vcc
	s_cbranch_execz .LBB93_42
.LBB93_59:                              ;   in Loop: Header=BB93_13 Depth=1
	v_cvt_f32_i32_e32 v6, v29
	s_waitcnt vmcnt(3)
	v_cvt_f32_f16_e32 v7, v42
	v_add_f32_e32 v6, v27, v6
	v_add_f32_e32 v6, v6, v7
	v_cvt_f16_f32_e32 v8, v6
	s_waitcnt lgkmcnt(0)
	v_lshl_add_u64 v[6:7], v[0:1], 1, s[22:23]
	global_store_short v[6:7], v8, off
	s_or_b64 exec, exec, s[34:35]
	s_and_saveexec_b64 s[34:35], s[4:5]
	s_cbranch_execz .LBB93_43
.LBB93_60:                              ;   in Loop: Header=BB93_13 Depth=1
	v_cvt_f32_i32_e32 v6, v28
	s_waitcnt vmcnt(2)
	v_cvt_f32_f16_e32 v7, v32
	v_add_f32_e32 v6, v26, v6
	v_add_f32_e32 v6, v6, v7
	v_cvt_f16_f32_e32 v8, v6
	v_add_u32_e32 v6, 1, v0
	v_mov_b32_e32 v7, v1
	s_waitcnt lgkmcnt(0)
	v_lshl_add_u64 v[6:7], v[6:7], 1, s[22:23]
	global_store_short v[6:7], v8, off
	s_or_b64 exec, exec, s[34:35]
	s_and_saveexec_b64 s[4:5], s[6:7]
	s_cbranch_execz .LBB93_44
.LBB93_61:                              ;   in Loop: Header=BB93_13 Depth=1
	v_cvt_f32_i32_e32 v6, v25
	s_waitcnt vmcnt(1)
	v_cvt_f32_f16_e32 v7, v31
	v_add_f32_e32 v6, v23, v6
	v_add_f32_e32 v6, v6, v7
	v_cvt_f16_f32_e32 v8, v6
	v_add_u32_e32 v6, 2, v0
	v_mov_b32_e32 v7, v1
	s_waitcnt lgkmcnt(0)
	v_lshl_add_u64 v[6:7], v[6:7], 1, s[22:23]
	global_store_short v[6:7], v8, off
	s_or_b64 exec, exec, s[4:5]
	s_and_b64 exec, exec, s[8:9]
	s_cbranch_execnz .LBB93_45
	s_branch .LBB93_46
.LBB93_62:
	s_endpgm
	.section	.rodata,"a",@progbits
	.p2align	6, 0x0
	.amdhsa_kernel _Z12wvSplitK_hf_I6__halfLi64ELi4ELi16ELi8ELi1ELi3EEviiiiiiPKT_S3_S3_PS1_ii
		.amdhsa_group_segment_fixed_size 65536
		.amdhsa_private_segment_fixed_size 0
		.amdhsa_kernarg_size 64
		.amdhsa_user_sgpr_count 2
		.amdhsa_user_sgpr_dispatch_ptr 0
		.amdhsa_user_sgpr_queue_ptr 0
		.amdhsa_user_sgpr_kernarg_segment_ptr 1
		.amdhsa_user_sgpr_dispatch_id 0
		.amdhsa_user_sgpr_kernarg_preload_length 0
		.amdhsa_user_sgpr_kernarg_preload_offset 0
		.amdhsa_user_sgpr_private_segment_size 0
		.amdhsa_uses_dynamic_stack 0
		.amdhsa_enable_private_segment 0
		.amdhsa_system_sgpr_workgroup_id_x 1
		.amdhsa_system_sgpr_workgroup_id_y 0
		.amdhsa_system_sgpr_workgroup_id_z 0
		.amdhsa_system_sgpr_workgroup_info 0
		.amdhsa_system_vgpr_workitem_id 1
		.amdhsa_next_free_vgpr 68
		.amdhsa_next_free_sgpr 42
		.amdhsa_accum_offset 68
		.amdhsa_reserve_vcc 1
		.amdhsa_float_round_mode_32 0
		.amdhsa_float_round_mode_16_64 0
		.amdhsa_float_denorm_mode_32 3
		.amdhsa_float_denorm_mode_16_64 3
		.amdhsa_dx10_clamp 1
		.amdhsa_ieee_mode 1
		.amdhsa_fp16_overflow 0
		.amdhsa_tg_split 0
		.amdhsa_exception_fp_ieee_invalid_op 0
		.amdhsa_exception_fp_denorm_src 0
		.amdhsa_exception_fp_ieee_div_zero 0
		.amdhsa_exception_fp_ieee_overflow 0
		.amdhsa_exception_fp_ieee_underflow 0
		.amdhsa_exception_fp_ieee_inexact 0
		.amdhsa_exception_int_div_zero 0
	.end_amdhsa_kernel
	.section	.text._Z12wvSplitK_hf_I6__halfLi64ELi4ELi16ELi8ELi1ELi3EEviiiiiiPKT_S3_S3_PS1_ii,"axG",@progbits,_Z12wvSplitK_hf_I6__halfLi64ELi4ELi16ELi8ELi1ELi3EEviiiiiiPKT_S3_S3_PS1_ii,comdat
.Lfunc_end93:
	.size	_Z12wvSplitK_hf_I6__halfLi64ELi4ELi16ELi8ELi1ELi3EEviiiiiiPKT_S3_S3_PS1_ii, .Lfunc_end93-_Z12wvSplitK_hf_I6__halfLi64ELi4ELi16ELi8ELi1ELi3EEviiiiiiPKT_S3_S3_PS1_ii
                                        ; -- End function
	.section	.AMDGPU.csdata,"",@progbits
; Kernel info:
; codeLenInByte = 4412
; NumSgprs: 48
; NumVgprs: 68
; NumAgprs: 0
; TotalNumVgprs: 68
; ScratchSize: 0
; MemoryBound: 1
; FloatMode: 240
; IeeeMode: 1
; LDSByteSize: 65536 bytes/workgroup (compile time only)
; SGPRBlocks: 5
; VGPRBlocks: 8
; NumSGPRsForWavesPerEU: 48
; NumVGPRsForWavesPerEU: 68
; AccumOffset: 68
; Occupancy: 4
; WaveLimiterHint : 0
; COMPUTE_PGM_RSRC2:SCRATCH_EN: 0
; COMPUTE_PGM_RSRC2:USER_SGPR: 2
; COMPUTE_PGM_RSRC2:TRAP_HANDLER: 0
; COMPUTE_PGM_RSRC2:TGID_X_EN: 1
; COMPUTE_PGM_RSRC2:TGID_Y_EN: 0
; COMPUTE_PGM_RSRC2:TGID_Z_EN: 0
; COMPUTE_PGM_RSRC2:TIDIG_COMP_CNT: 1
; COMPUTE_PGM_RSRC3_GFX90A:ACCUM_OFFSET: 16
; COMPUTE_PGM_RSRC3_GFX90A:TG_SPLIT: 0
	.section	.text._Z16wvSplitK_hf_big_I6__halfLi64ELi4ELi16ELi8ELi1ELi3EEviiiiiiPKT_S3_S3_PS1_ii,"axG",@progbits,_Z16wvSplitK_hf_big_I6__halfLi64ELi4ELi16ELi8ELi1ELi3EEviiiiiiPKT_S3_S3_PS1_ii,comdat
	.protected	_Z16wvSplitK_hf_big_I6__halfLi64ELi4ELi16ELi8ELi1ELi3EEviiiiiiPKT_S3_S3_PS1_ii ; -- Begin function _Z16wvSplitK_hf_big_I6__halfLi64ELi4ELi16ELi8ELi1ELi3EEviiiiiiPKT_S3_S3_PS1_ii
	.globl	_Z16wvSplitK_hf_big_I6__halfLi64ELi4ELi16ELi8ELi1ELi3EEviiiiiiPKT_S3_S3_PS1_ii
	.p2align	8
	.type	_Z16wvSplitK_hf_big_I6__halfLi64ELi4ELi16ELi8ELi1ELi3EEviiiiiiPKT_S3_S3_PS1_ii,@function
_Z16wvSplitK_hf_big_I6__halfLi64ELi4ELi16ELi8ELi1ELi3EEviiiiiiPKT_S3_S3_PS1_ii: ; @_Z16wvSplitK_hf_big_I6__halfLi64ELi4ELi16ELi8ELi1ELi3EEviiiiiiPKT_S3_S3_PS1_ii
; %bb.0:
	s_load_dwordx2 s[8:9], s[0:1], 0x38
	v_bfe_u32 v7, v0, 10, 10
	s_waitcnt lgkmcnt(0)
	v_cmp_gt_u32_e32 vcc, s8, v7
	s_and_saveexec_b64 s[4:5], vcc
	s_cbranch_execz .LBB94_62
; %bb.1:
	s_load_dwordx4 s[20:23], s[0:1], 0x0
	s_mul_i32 s2, s2, s8
	v_add_lshl_u32 v34, s2, v7, 2
	s_mov_b32 s4, 1
	v_add_u32_e32 v1, 4, v34
	s_mov_b32 s5, s4
	s_waitcnt lgkmcnt(0)
	v_cmp_gt_u32_e32 vcc, s23, v34
	v_cmp_le_u32_e64 s[2:3], s23, v1
	s_mov_b32 s6, s4
	s_mov_b32 s7, s4
	v_mov_b64_e32 v[2:3], s[4:5]
	s_and_b64 s[10:11], vcc, s[2:3]
	v_mov_b64_e32 v[4:5], s[6:7]
	s_and_saveexec_b64 s[2:3], s[10:11]
	s_cbranch_execz .LBB94_7
; %bb.2:
	s_add_i32 s16, s23, -4
	v_mov_b64_e32 v[2:3], s[4:5]
	v_cmp_ne_u32_e32 vcc, s16, v34
	v_mov_b64_e32 v[4:5], s[6:7]
	s_and_saveexec_b64 s[10:11], vcc
	s_cbranch_execz .LBB94_6
; %bb.3:
	v_subrev_u32_e32 v1, s16, v34
	v_cmp_lt_u32_e32 vcc, 1, v1
	s_mov_b64 s[12:13], 0
	s_mov_b64 s[14:15], 0
	v_cndmask_b32_e32 v6, 1, v1, vcc
	s_mov_b32 s5, s4
	s_mov_b32 s6, s4
	s_mov_b32 s7, s4
.LBB94_4:                               ; =>This Inner Loop Header: Depth=1
	s_cmp_lg_u32 s14, 3
	s_cselect_b32 s7, s7, 0
	s_cmp_lg_u32 s14, 2
	s_cselect_b32 s6, s6, 0
	;; [unrolled: 2-line block ×4, first 2 shown]
	s_add_u32 s14, s14, 1
	s_addc_u32 s15, s15, 0
	v_cmp_eq_u32_e32 vcc, s14, v6
	v_mov_b64_e32 v[2:3], s[4:5]
	s_or_b64 s[12:13], vcc, s[12:13]
	v_mov_b64_e32 v[4:5], s[6:7]
	s_andn2_b64 exec, exec, s[12:13]
	s_cbranch_execnz .LBB94_4
; %bb.5:
	s_or_b64 exec, exec, s[12:13]
	v_mov_b32_e32 v34, s16
.LBB94_6:
	s_or_b64 exec, exec, s[10:11]
.LBB94_7:
	s_or_b64 exec, exec, s[2:3]
	s_lshl_b32 s2, s8, 2
	s_abs_i32 s3, s2
	v_cvt_f32_u32_e32 v1, s3
	s_sub_i32 s6, 0, s3
	s_abs_i32 s5, s23
	s_ashr_i32 s4, s23, 31
	v_rcp_iflag_f32_e32 v1, v1
	s_nop 0
	v_mul_f32_e32 v1, 0x4f7ffffe, v1
	v_cvt_u32_f32_e32 v1, v1
	s_nop 0
	v_readfirstlane_b32 s7, v1
	s_mul_i32 s6, s6, s7
	s_mul_hi_u32 s6, s7, s6
	s_add_i32 s7, s7, s6
	s_mul_hi_u32 s6, s5, s7
	s_mul_i32 s6, s6, s3
	s_sub_i32 s5, s5, s6
	s_sub_i32 s6, s5, s3
	s_cmp_ge_u32 s5, s3
	s_cselect_b32 s5, s6, s5
	s_sub_i32 s6, s5, s3
	s_cmp_ge_u32 s5, s3
	s_cselect_b32 s3, s6, s5
	s_xor_b32 s3, s3, s4
	s_sub_i32 s3, s3, s4
	s_add_i32 s2, s2, s23
	s_sub_i32 s2, s2, s3
	s_cmp_eq_u32 s3, 0
	s_cselect_b32 s33, s23, s2
	v_cmp_gt_u32_e32 vcc, s33, v34
	s_and_b64 exec, exec, vcc
	s_cbranch_execz .LBB94_62
; %bb.8:
	s_load_dwordx8 s[12:19], s[0:1], 0x10
	s_min_u32 s40, s22, 0x2a00
	s_cmp_lg_u32 s20, 0
	s_load_dwordx2 s[24:25], s[0:1], 0x30
	s_cselect_b64 s[2:3], -1, 0
	s_cmp_lg_u32 s22, 0
	s_mul_i32 s0, s9, s8
	s_cselect_b64 s[4:5], -1, 0
	s_lshl_b32 s41, s8, 9
	s_add_i32 s42, s20, -8
	s_add_i32 s43, s23, -1
	s_lshl_b32 s44, s0, 2
	s_waitcnt lgkmcnt(0)
	s_cmp_lg_u64 s[18:19], 0
	s_cselect_b64 s[28:29], -1, 0
	s_abs_i32 s6, s13
	v_cvt_f32_u32_e32 v1, s12
	v_cvt_f32_u32_e32 v6, s6
	s_sub_i32 s7, 0, s12
	s_add_i32 s13, s23, -4
	v_rcp_iflag_f32_e32 v1, v1
	v_rcp_iflag_f32_e32 v6, v6
	v_and_b32_e32 v0, 0x3ff, v0
	v_lshlrev_b32_e32 v44, 3, v0
	v_mul_f32_e32 v1, 0x4f7ffffe, v1
	v_mul_f32_e32 v6, 0x4f7ffffe, v6
	v_cvt_u32_f32_e32 v1, v1
	v_cvt_u32_f32_e32 v6, v6
	v_cmp_eq_u32_e64 s[0:1], 63, v0
	v_lshlrev_b32_e32 v0, 4, v0
	v_mul_lo_u32 v8, s7, v1
	s_sub_i32 s7, 0, s6
	v_readfirstlane_b32 s9, v6
	s_mul_i32 s7, s7, s9
	s_mul_hi_u32 s7, s9, s7
	s_add_i32 s9, s9, s7
	s_sub_i32 s7, 1, s6
	s_cmp_lt_u32 s6, 2
	s_cselect_b32 s7, s7, 1
	s_sub_i32 s10, s7, s6
	s_cmp_ge_u32 s7, s6
	s_cselect_b32 s45, s10, s7
	s_lshr_b32 s7, s9, 31
	s_mul_i32 s7, s7, s6
	s_sub_i32 s7, 2, s7
	s_sub_i32 s9, s7, s6
	s_cmp_ge_u32 s7, s6
	s_cselect_b32 s7, s9, s7
	s_sub_i32 s9, s7, s6
	s_cmp_ge_u32 s7, s6
	v_lshl_add_u32 v46, v7, 10, v0
	v_cndmask_b32_e64 v0, 0, 1, s[2:3]
	v_mul_hi_u32 v8, v1, v8
	s_cselect_b32 s46, s9, s7
	s_add_u32 s30, s24, 2
	v_lshl_add_u32 v47, v7, 9, v44
	v_cmp_ne_u32_e64 s[2:3], 1, v0
	v_cndmask_b32_e64 v0, 0, 1, s[4:5]
	s_mov_b64 s[26:27], 0
	v_add_u32_e32 v45, v1, v8
	v_mov_b32_e32 v1, 0
	s_mul_i32 s45, s45, s12
	s_mul_i32 s46, s46, s12
	s_addc_u32 s31, s25, 0
	s_lshl_b32 s47, s40, 2
	s_lshl_b32 s48, s8, 10
	;; [unrolled: 1-line block ×3, first 2 shown]
	v_lshl_add_u32 v48, s22, 1, v47
	v_add_u32_e32 v49, s22, v47
	v_cmp_ne_u32_e64 s[4:5], 1, v0
	s_branch .LBB94_12
.LBB94_9:                               ;   in Loop: Header=BB94_12 Depth=1
	s_or_b64 exec, exec, s[10:11]
	v_mov_b32_e32 v34, s13
.LBB94_10:                              ;   in Loop: Header=BB94_12 Depth=1
	s_or_b64 exec, exec, s[8:9]
.LBB94_11:                              ;   in Loop: Header=BB94_12 Depth=1
	s_or_b64 exec, exec, s[34:35]
	v_cmp_le_u32_e32 vcc, s33, v34
	s_or_b64 s[26:27], vcc, s[26:27]
	s_andn2_b64 exec, exec, s[26:27]
	s_cbranch_execz .LBB94_62
.LBB94_12:                              ; =>This Loop Header: Depth=1
                                        ;     Child Loop BB94_16 Depth 2
                                        ;       Child Loop BB94_21 Depth 3
                                        ;     Child Loop BB94_49 Depth 2
	s_mov_b32 s36, 0
	s_and_b64 vcc, exec, s[2:3]
	v_mov_b32_e32 v60, v1
	v_mov_b32_e32 v59, v1
	;; [unrolled: 1-line block ×4, first 2 shown]
	s_waitcnt vmcnt(11)
	v_mov_b32_e32 v35, v1
	s_waitcnt vmcnt(10)
	v_mov_b32_e32 v50, v1
	v_mov_b32_e32 v51, v1
	;; [unrolled: 1-line block ×7, first 2 shown]
	s_cbranch_vccnz .LBB94_27
; %bb.13:                               ;   in Loop: Header=BB94_12 Depth=1
	v_min_u32_e32 v0, s43, v34
	s_waitcnt vmcnt(2)
	v_mul_lo_u32 v36, v0, s21
	v_add_u32_e32 v0, 1, v34
	v_min_u32_e32 v0, s43, v0
	v_mul_lo_u32 v38, v0, s21
	v_add_u32_e32 v0, 2, v34
	v_min_u32_e32 v0, s43, v0
	;; [unrolled: 3-line block ×3, first 2 shown]
	v_cmp_gt_u32_e64 s[6:7], s23, v34
	v_mov_b32_e32 v37, v1
	v_mov_b32_e32 v39, v1
	;; [unrolled: 1-line block ×3, first 2 shown]
	v_mul_lo_u32 v42, v0, s21
	v_mov_b32_e32 v43, v1
	v_mov_b32_e32 v56, 0
	;; [unrolled: 1-line block ×13, first 2 shown]
	s_mov_b32 s37, 0
	s_branch .LBB94_16
.LBB94_14:                              ;   in Loop: Header=BB94_16 Depth=2
	s_or_b64 exec, exec, s[10:11]
	s_waitcnt vmcnt(3) lgkmcnt(2)
	;;#ASMSTART
	v_dot2c_f32_f16 v60, v30, v22
	;;#ASMEND
	s_waitcnt vmcnt(2)
	;;#ASMSTART
	v_dot2c_f32_f16 v59, v30, v14
	;;#ASMEND
	s_waitcnt vmcnt(1)
	;;#ASMSTART
	v_dot2c_f32_f16 v58, v30, v10
	;;#ASMEND
	s_waitcnt vmcnt(0)
	;;#ASMSTART
	v_dot2c_f32_f16 v57, v30, v6
	;;#ASMEND
	s_waitcnt lgkmcnt(1)
	;;#ASMSTART
	v_dot2c_f32_f16 v56, v26, v22
	;;#ASMEND
	;;#ASMSTART
	v_dot2c_f32_f16 v55, v26, v14
	;;#ASMEND
	;;#ASMSTART
	v_dot2c_f32_f16 v54, v26, v10
	;;#ASMEND
	;;#ASMSTART
	v_dot2c_f32_f16 v53, v26, v6
	;;#ASMEND
	s_waitcnt lgkmcnt(0)
	;;#ASMSTART
	v_dot2c_f32_f16 v52, v18, v22
	;;#ASMEND
	;;#ASMSTART
	v_dot2c_f32_f16 v51, v18, v14
	;;#ASMEND
	;;#ASMSTART
	v_dot2c_f32_f16 v50, v18, v10
	;;#ASMEND
	;;#ASMSTART
	v_dot2c_f32_f16 v35, v18, v6
	;;#ASMEND
	;;#ASMSTART
	v_dot2c_f32_f16 v60, v31, v23
	;;#ASMEND
	;;#ASMSTART
	v_dot2c_f32_f16 v59, v31, v15
	;;#ASMEND
	;;#ASMSTART
	v_dot2c_f32_f16 v58, v31, v11
	;;#ASMEND
	;;#ASMSTART
	v_dot2c_f32_f16 v57, v31, v7
	;;#ASMEND
	;;#ASMSTART
	v_dot2c_f32_f16 v56, v27, v23
	;;#ASMEND
	;;#ASMSTART
	v_dot2c_f32_f16 v55, v27, v15
	;;#ASMEND
	;;#ASMSTART
	v_dot2c_f32_f16 v54, v27, v11
	;;#ASMEND
	;;#ASMSTART
	v_dot2c_f32_f16 v53, v27, v7
	;;#ASMEND
	s_nop 0
	;;#ASMSTART
	v_dot2c_f32_f16 v52, v19, v23
	;;#ASMEND
	;;#ASMSTART
	v_dot2c_f32_f16 v51, v19, v15
	;;#ASMEND
	;;#ASMSTART
	v_dot2c_f32_f16 v50, v19, v11
	;;#ASMEND
	;;#ASMSTART
	v_dot2c_f32_f16 v35, v19, v7
	;;#ASMEND
	;;#ASMSTART
	v_dot2c_f32_f16 v60, v32, v24
	;;#ASMEND
	;;#ASMSTART
	v_dot2c_f32_f16 v59, v32, v16
	;;#ASMEND
	;;#ASMSTART
	v_dot2c_f32_f16 v58, v32, v12
	;;#ASMEND
	;;#ASMSTART
	v_dot2c_f32_f16 v57, v32, v8
	;;#ASMEND
	;;#ASMSTART
	v_dot2c_f32_f16 v56, v28, v24
	;;#ASMEND
	;;#ASMSTART
	v_dot2c_f32_f16 v55, v28, v16
	;;#ASMEND
	;;#ASMSTART
	v_dot2c_f32_f16 v54, v28, v12
	;;#ASMEND
	;;#ASMSTART
	v_dot2c_f32_f16 v53, v28, v8
	;;#ASMEND
	s_nop 0
	;; [unrolled: 37-line block ×3, first 2 shown]
	;;#ASMSTART
	v_dot2c_f32_f16 v52, v21, v25
	;;#ASMEND
	;;#ASMSTART
	v_dot2c_f32_f16 v51, v21, v17
	;;#ASMEND
	;; [unrolled: 3-line block ×4, first 2 shown]
.LBB94_15:                              ;   in Loop: Header=BB94_16 Depth=2
	s_or_b64 exec, exec, s[8:9]
	s_addk_i32 s37, 0x200
	s_cmp_ge_u32 s37, s20
	s_cbranch_scc1 .LBB94_27
.LBB94_16:                              ;   Parent Loop BB94_12 Depth=1
                                        ; =>  This Loop Header: Depth=2
                                        ;       Child Loop BB94_21 Depth 3
	s_cmp_eq_u32 s37, 0
	s_cselect_b64 s[8:9], -1, 0
	s_add_i32 s10, s36, s40
	s_cmp_eq_u32 s37, s10
	s_cselect_b64 s[34:35], -1, 0
	s_or_b64 s[34:35], s[8:9], s[34:35]
	s_andn2_b64 vcc, exec, s[34:35]
	s_cbranch_vccz .LBB94_18
; %bb.17:                               ;   in Loop: Header=BB94_16 Depth=2
	s_and_saveexec_b64 s[8:9], s[6:7]
	s_cbranch_execz .LBB94_15
	s_branch .LBB94_25
.LBB94_18:                              ;   in Loop: Header=BB94_16 Depth=2
	s_and_b64 s[8:9], s[8:9], exec
	s_cselect_b32 s36, s36, s10
	s_and_b64 vcc, exec, s[4:5]
	s_barrier
	s_cbranch_vccnz .LBB94_24
; %bb.19:                               ;   in Loop: Header=BB94_16 Depth=2
	v_add_u32_e32 v6, s36, v48
	v_add_u32_e32 v7, s36, v49
	;; [unrolled: 1-line block ×3, first 2 shown]
	s_mov_b32 s38, 0
	s_mov_b64 s[10:11], 0
	v_mov_b32_e32 v9, v46
                                        ; implicit-def: $sgpr34_sgpr35
	s_branch .LBB94_21
.LBB94_20:                              ;   in Loop: Header=BB94_21 Depth=3
	s_or_b64 exec, exec, s[8:9]
	s_and_b64 s[8:9], exec, s[34:35]
	s_or_b64 s[10:11], s[8:9], s[10:11]
	s_andn2_b64 exec, exec, s[10:11]
	s_cbranch_execz .LBB94_23
.LBB94_21:                              ;   Parent Loop BB94_12 Depth=1
                                        ;     Parent Loop BB94_16 Depth=2
                                        ; =>    This Inner Loop Header: Depth=3
	v_add_u32_e32 v10, s38, v47
	v_add_u32_e32 v0, s38, v8
	v_cmp_gt_u32_e32 vcc, s22, v0
	v_cmp_gt_u32_e64 s[8:9], s40, v10
	s_and_b64 s[50:51], s[8:9], vcc
	s_or_b64 s[34:35], s[34:35], exec
	s_and_saveexec_b64 s[8:9], s[50:51]
	s_cbranch_execz .LBB94_20
; %bb.22:                               ;   in Loop: Header=BB94_21 Depth=3
	v_lshl_add_u64 v[18:19], v[0:1], 1, s[16:17]
	v_add_u32_e32 v0, s38, v7
	v_lshl_add_u64 v[20:21], v[0:1], 1, s[16:17]
	v_add_u32_e32 v0, s38, v6
	global_load_dwordx4 v[10:13], v[18:19], off
	global_load_dwordx4 v[14:17], v[20:21], off
	v_lshl_add_u64 v[18:19], v[0:1], 1, s[16:17]
	global_load_dwordx4 v[18:21], v[18:19], off
	s_add_i32 s38, s38, s41
	s_cmp_ge_u32 s38, s40
	s_cselect_b64 s[50:51], -1, 0
	s_andn2_b64 s[34:35], s[34:35], exec
	s_and_b64 s[50:51], s[50:51], exec
	v_add_u32_e32 v0, s49, v9
	v_add_u32_e32 v22, s47, v9
	s_or_b64 s[34:35], s[34:35], s[50:51]
	s_waitcnt vmcnt(2)
	ds_write_b128 v9, v[10:13]
	v_add_u32_e32 v9, s48, v9
	s_waitcnt vmcnt(1)
	ds_write2_b64 v0, v[14:15], v[16:17] offset1:1
	s_waitcnt vmcnt(0)
	ds_write2_b32 v22, v18, v19 offset1:1
	ds_write2_b32 v22, v20, v21 offset0:2 offset1:3
	s_branch .LBB94_20
.LBB94_23:                              ;   in Loop: Header=BB94_16 Depth=2
	s_or_b64 exec, exec, s[10:11]
.LBB94_24:                              ;   in Loop: Header=BB94_16 Depth=2
	s_waitcnt lgkmcnt(0)
	s_barrier
	s_and_saveexec_b64 s[8:9], s[6:7]
	s_cbranch_execz .LBB94_15
.LBB94_25:                              ;   in Loop: Header=BB94_16 Depth=2
	v_add_u32_e32 v61, s37, v44
	v_min_u32_e32 v0, s42, v61
	v_lshl_add_u64 v[6:7], v[0:1], 1, s[14:15]
	v_lshl_add_u64 v[8:9], v[36:37], 1, v[6:7]
	;; [unrolled: 1-line block ×4, first 2 shown]
	global_load_dwordx4 v[22:25], v[8:9], off nt
	global_load_dwordx4 v[14:17], v[10:11], off nt
	v_lshl_add_u64 v[20:21], v[42:43], 1, v[6:7]
	global_load_dwordx4 v[10:13], v[18:19], off nt
	global_load_dwordx4 v[6:9], v[20:21], off nt
	v_cmp_gt_u32_e32 vcc, s20, v61
	v_mov_b32_e32 v30, 0
	v_mov_b32_e32 v31, 0
	s_waitcnt vmcnt(4)
	v_mov_b32_e32 v32, 0
	v_mov_b32_e32 v33, 0
	;; [unrolled: 1-line block ×10, first 2 shown]
	s_and_saveexec_b64 s[10:11], vcc
	s_cbranch_execz .LBB94_14
; %bb.26:                               ;   in Loop: Header=BB94_16 Depth=2
	v_subrev_u32_e32 v0, s36, v61
	v_lshlrev_b32_e32 v0, 1, v0
	v_add_u32_e32 v18, s49, v0
	ds_read_b128 v[30:33], v0
	ds_read_b128 v[26:29], v18
	v_add_u32_e32 v0, s49, v18
	ds_read_b128 v[18:21], v0
	s_branch .LBB94_14
.LBB94_27:                              ;   in Loop: Header=BB94_12 Depth=1
	v_cmp_le_u32_e32 vcc, s23, v34
	s_and_saveexec_b64 s[6:7], vcc
	s_xor_b64 s[6:7], exec, s[6:7]
; %bb.28:                               ;   in Loop: Header=BB94_12 Depth=1
	v_add_u32_e32 v34, s44, v34
                                        ; implicit-def: $vgpr60
                                        ; implicit-def: $vgpr59
                                        ; implicit-def: $vgpr58
                                        ; implicit-def: $vgpr57
                                        ; implicit-def: $vgpr35
                                        ; implicit-def: $vgpr50
                                        ; implicit-def: $vgpr51
                                        ; implicit-def: $vgpr52
                                        ; implicit-def: $vgpr53
                                        ; implicit-def: $vgpr54
                                        ; implicit-def: $vgpr55
                                        ; implicit-def: $vgpr56
; %bb.29:                               ;   in Loop: Header=BB94_12 Depth=1
	s_andn2_saveexec_b64 s[34:35], s[6:7]
	s_cbranch_execz .LBB94_11
; %bb.30:                               ;   in Loop: Header=BB94_12 Depth=1
	v_cvt_i32_f32_e32 v0, v60
	v_cvt_i32_f32_e32 v6, v59
	;; [unrolled: 1-line block ×4, first 2 shown]
	v_cvt_f32_i32_dpp v0, v0 row_shr:8 row_mask:0xf bank_mask:0xf bound_ctrl:1
	v_cvt_f32_i32_dpp v6, v6 row_shr:8 row_mask:0xf bank_mask:0xf bound_ctrl:1
	;; [unrolled: 1-line block ×4, first 2 shown]
	v_add_f32_e32 v0, v60, v0
	v_cvt_i32_f32_e32 v9, v0
	v_add_f32_e32 v6, v59, v6
	v_cvt_i32_f32_e32 v11, v6
	v_add_f32_e32 v7, v58, v7
	v_cvt_f32_i32_dpp v9, v9 row_shr:4 row_mask:0xf bank_mask:0xf bound_ctrl:1
	v_cvt_i32_f32_e32 v12, v7
	v_cvt_f32_i32_dpp v11, v11 row_shr:4 row_mask:0xf bank_mask:0xf bound_ctrl:1
	v_add_f32_e32 v8, v57, v8
	v_add_f32_e32 v0, v0, v9
	v_cvt_i32_f32_e32 v9, v0
	v_add_f32_e32 v6, v6, v11
	v_cvt_i32_f32_e32 v11, v6
	v_cvt_f32_i32_dpp v12, v12 row_shr:4 row_mask:0xf bank_mask:0xf bound_ctrl:1
	v_cvt_f32_i32_dpp v9, v9 row_shr:2 row_mask:0xf bank_mask:0xf bound_ctrl:1
	v_cvt_i32_f32_e32 v13, v8
	v_cvt_f32_i32_dpp v11, v11 row_shr:2 row_mask:0xf bank_mask:0xf bound_ctrl:1
	v_add_f32_e32 v7, v7, v12
	v_add_f32_e32 v0, v0, v9
	v_cvt_i32_f32_e32 v9, v0
	v_add_f32_e32 v6, v6, v11
	v_cvt_i32_f32_e32 v11, v6
	v_cvt_i32_f32_e32 v12, v7
	v_cvt_f32_i32_dpp v9, v9 row_shr:1 row_mask:0xf bank_mask:0xf bound_ctrl:1
	v_cvt_f32_i32_dpp v13, v13 row_shr:4 row_mask:0xf bank_mask:0xf bound_ctrl:1
	;; [unrolled: 1-line block ×4, first 2 shown]
	v_add_f32_e32 v0, v0, v9
	v_cvt_i32_f32_e32 v9, v0
	v_add_f32_e32 v6, v6, v11
	v_cvt_i32_f32_e32 v11, v6
	v_cvt_i32_f32_e32 v10, v56
	v_cvt_f32_i32_dpp v9, v9 row_bcast:15 row_mask:0xf bank_mask:0xf bound_ctrl:1
	v_add_f32_e32 v7, v7, v12
	v_cvt_f32_i32_dpp v14, v11 row_bcast:15 row_mask:0xf bank_mask:0xf bound_ctrl:1
	v_add_f32_e32 v8, v8, v13
	v_add_f32_e32 v11, v0, v9
	v_cvt_i32_f32_e32 v0, v11
	v_cvt_i32_f32_e32 v12, v7
	v_cvt_f32_i32_dpp v10, v10 row_shr:8 row_mask:0xf bank_mask:0xf bound_ctrl:1
	v_add_f32_e32 v9, v6, v14
	v_mov_b32_dpp v13, v0 row_bcast:31 row_mask:0xf bank_mask:0xf bound_ctrl:1
	v_cvt_i32_f32_e32 v0, v8
	v_cvt_f32_i32_dpp v12, v12 row_shr:1 row_mask:0xf bank_mask:0xf bound_ctrl:1
	v_add_f32_e32 v10, v56, v10
	v_cvt_i32_f32_e32 v14, v10
	v_cvt_f32_i32_dpp v0, v0 row_shr:2 row_mask:0xf bank_mask:0xf bound_ctrl:1
	v_add_f32_e32 v7, v7, v12
	v_cvt_i32_f32_e32 v6, v9
	v_cvt_i32_f32_e32 v12, v7
	v_add_f32_e32 v0, v8, v0
	v_cvt_i32_f32_e32 v8, v0
	v_cvt_f32_i32_dpp v14, v14 row_shr:4 row_mask:0xf bank_mask:0xf bound_ctrl:1
	v_cvt_f32_i32_dpp v15, v12 row_bcast:15 row_mask:0xf bank_mask:0xf bound_ctrl:1
	v_mov_b32_dpp v12, v6 row_bcast:31 row_mask:0xf bank_mask:0xf bound_ctrl:1
	v_cvt_f32_i32_dpp v6, v8 row_shr:1 row_mask:0xf bank_mask:0xf bound_ctrl:1
	v_add_f32_e32 v8, v10, v14
	v_cvt_i32_f32_e32 v10, v8
	v_add_f32_e32 v7, v7, v15
	v_add_f32_e32 v0, v0, v6
	v_cvt_i32_f32_e32 v6, v55
	v_cvt_f32_i32_dpp v10, v10 row_shr:2 row_mask:0xf bank_mask:0xf bound_ctrl:1
	v_cvt_i32_f32_e32 v14, v0
	v_cvt_i32_f32_e32 v15, v7
	v_cvt_f32_i32_dpp v6, v6 row_shr:8 row_mask:0xf bank_mask:0xf bound_ctrl:1
	v_add_f32_e32 v8, v8, v10
	v_cvt_f32_i32_dpp v16, v14 row_bcast:15 row_mask:0xf bank_mask:0xf bound_ctrl:1
	v_cvt_i32_f32_e32 v10, v8
	v_add_f32_e32 v6, v55, v6
	v_cvt_i32_f32_e32 v17, v6
	v_mov_b32_dpp v14, v15 row_bcast:31 row_mask:0xf bank_mask:0xf bound_ctrl:1
	v_cvt_f32_i32_dpp v15, v10 row_shr:1 row_mask:0xf bank_mask:0xf bound_ctrl:1
	v_add_f32_e32 v10, v0, v16
	v_cvt_f32_i32_dpp v0, v17 row_shr:4 row_mask:0xf bank_mask:0xf bound_ctrl:1
	v_cvt_i32_f32_e32 v16, v10
	v_add_f32_e32 v8, v8, v15
	v_cvt_i32_f32_e32 v15, v54
	v_add_f32_e32 v0, v6, v0
	v_cvt_i32_f32_e32 v6, v0
	v_cvt_i32_f32_e32 v17, v8
	v_cvt_f32_i32_dpp v18, v15 row_shr:8 row_mask:0xf bank_mask:0xf bound_ctrl:1
	v_mov_b32_dpp v15, v16 row_bcast:31 row_mask:0xf bank_mask:0xf bound_ctrl:1
	v_cvt_f32_i32_dpp v6, v6 row_shr:2 row_mask:0xf bank_mask:0xf bound_ctrl:1
	v_cvt_f32_i32_dpp v16, v17 row_bcast:15 row_mask:0xf bank_mask:0xf bound_ctrl:1
	v_add_f32_e32 v17, v54, v18
	v_cvt_i32_f32_e32 v18, v17
	v_add_f32_e32 v0, v0, v6
	v_cvt_i32_f32_e32 v6, v53
	v_cvt_i32_f32_e32 v19, v0
	v_cvt_f32_i32_dpp v18, v18 row_shr:4 row_mask:0xf bank_mask:0xf bound_ctrl:1
	v_add_f32_e32 v16, v8, v16
	v_cvt_f32_i32_dpp v6, v6 row_shr:8 row_mask:0xf bank_mask:0xf bound_ctrl:1
	v_cvt_f32_i32_dpp v8, v19 row_shr:1 row_mask:0xf bank_mask:0xf bound_ctrl:1
	v_add_f32_e32 v17, v17, v18
	v_cvt_i32_f32_e32 v18, v17
	v_add_f32_e32 v6, v53, v6
	v_cvt_i32_f32_e32 v19, v6
	v_add_f32_e32 v0, v0, v8
	v_cvt_f32_i32_dpp v18, v18 row_shr:2 row_mask:0xf bank_mask:0xf bound_ctrl:1
	v_cvt_i32_f32_e32 v20, v16
	v_cvt_f32_i32_dpp v8, v19 row_shr:4 row_mask:0xf bank_mask:0xf bound_ctrl:1
	v_cvt_i32_f32_e32 v19, v0
	v_add_f32_e32 v18, v17, v18
	v_cvt_i32_f32_e32 v17, v18
	v_add_f32_e32 v6, v6, v8
	v_cvt_i32_f32_e32 v8, v6
	v_cvt_f32_i32_dpp v19, v19 row_bcast:15 row_mask:0xf bank_mask:0xf bound_ctrl:1
	v_cvt_f32_i32_dpp v21, v17 row_shr:1 row_mask:0xf bank_mask:0xf bound_ctrl:1
	v_mov_b32_dpp v22, v20 row_bcast:31 row_mask:0xf bank_mask:0xf bound_ctrl:1
	v_cvt_f32_i32_dpp v8, v8 row_shr:2 row_mask:0xf bank_mask:0xf bound_ctrl:1
	v_add_f32_e32 v17, v0, v19
	v_add_f32_e32 v0, v18, v21
	v_cvt_i32_f32_e32 v18, v52
	v_add_f32_e32 v6, v6, v8
	v_cvt_i32_f32_e32 v8, v6
	v_cvt_i32_f32_e32 v19, v0
	v_cvt_f32_i32_dpp v18, v18 row_shr:8 row_mask:0xf bank_mask:0xf bound_ctrl:1
	v_cvt_i32_f32_e32 v20, v17
	v_cvt_f32_i32_dpp v8, v8 row_shr:1 row_mask:0xf bank_mask:0xf bound_ctrl:1
	v_cvt_f32_i32_dpp v19, v19 row_bcast:15 row_mask:0xf bank_mask:0xf bound_ctrl:1
	v_add_f32_e32 v21, v52, v18
	v_cvt_i32_f32_e32 v18, v21
	v_add_f32_e32 v6, v6, v8
	v_cvt_i32_f32_e32 v8, v6
	v_mov_b32_dpp v24, v20 row_bcast:31 row_mask:0xf bank_mask:0xf bound_ctrl:1
	v_cvt_f32_i32_dpp v20, v18 row_shr:4 row_mask:0xf bank_mask:0xf bound_ctrl:1
	v_add_f32_e32 v18, v0, v19
	v_cvt_f32_i32_dpp v0, v8 row_bcast:15 row_mask:0xf bank_mask:0xf bound_ctrl:1
	v_cvt_i32_f32_e32 v8, v51
	v_add_f32_e32 v20, v21, v20
	v_cvt_i32_f32_e32 v21, v20
	v_add_f32_e32 v19, v6, v0
	v_cvt_f32_i32_dpp v8, v8 row_shr:8 row_mask:0xf bank_mask:0xf bound_ctrl:1
	v_cvt_i32_f32_e32 v23, v18
	v_cvt_f32_i32_dpp v0, v21 row_shr:2 row_mask:0xf bank_mask:0xf bound_ctrl:1
	v_cvt_i32_f32_e32 v6, v19
	v_add_f32_e32 v8, v51, v8
	v_cvt_i32_f32_e32 v21, v8
	v_add_f32_e32 v0, v20, v0
	v_cvt_i32_f32_e32 v20, v0
	v_mov_b32_dpp v26, v23 row_bcast:31 row_mask:0xf bank_mask:0xf bound_ctrl:1
	v_cvt_f32_i32_dpp v23, v21 row_shr:4 row_mask:0xf bank_mask:0xf bound_ctrl:1
	v_mov_b32_dpp v21, v6 row_bcast:31 row_mask:0xf bank_mask:0xf bound_ctrl:1
	v_cvt_f32_i32_dpp v6, v20 row_shr:1 row_mask:0xf bank_mask:0xf bound_ctrl:1
	v_cvt_i32_f32_e32 v20, v50
	v_add_f32_e32 v8, v8, v23
	v_cvt_i32_f32_e32 v23, v35
	v_add_f32_e32 v0, v0, v6
	v_cvt_f32_i32_dpp v20, v20 row_shr:8 row_mask:0xf bank_mask:0xf bound_ctrl:1
	v_cvt_i32_f32_e32 v25, v8
	v_cvt_f32_i32_dpp v6, v23 row_shr:8 row_mask:0xf bank_mask:0xf bound_ctrl:1
	v_cvt_i32_f32_e32 v28, v0
	v_add_f32_e32 v20, v50, v20
	v_cvt_f32_i32_dpp v23, v25 row_shr:2 row_mask:0xf bank_mask:0xf bound_ctrl:1
	v_add_f32_e32 v6, v35, v6
	v_cvt_i32_f32_e32 v25, v20
	v_cvt_i32_f32_e32 v27, v6
	v_add_f32_e32 v8, v8, v23
	v_cvt_f32_i32_dpp v28, v28 row_bcast:15 row_mask:0xf bank_mask:0xf bound_ctrl:1
	v_cvt_f32_i32_dpp v25, v25 row_shr:4 row_mask:0xf bank_mask:0xf bound_ctrl:1
	v_cvt_f32_i32_dpp v23, v27 row_shr:4 row_mask:0xf bank_mask:0xf bound_ctrl:1
	v_cvt_i32_f32_e32 v27, v8
	v_add_f32_e32 v29, v0, v28
	v_add_f32_e32 v20, v20, v25
	;; [unrolled: 1-line block ×3, first 2 shown]
	v_cvt_i32_f32_e32 v25, v20
	v_cvt_i32_f32_e32 v23, v6
	v_cvt_f32_i32_dpp v27, v27 row_shr:1 row_mask:0xf bank_mask:0xf bound_ctrl:1
	v_cvt_f32_i32_dpp v25, v25 row_shr:2 row_mask:0xf bank_mask:0xf bound_ctrl:1
	;; [unrolled: 1-line block ×3, first 2 shown]
	v_add_f32_e32 v8, v8, v27
	v_cvt_i32_f32_e32 v27, v8
	v_add_f32_e32 v20, v20, v25
	v_add_f32_e32 v6, v6, v23
	v_cvt_i32_f32_e32 v25, v20
	v_cvt_i32_f32_e32 v23, v6
	s_nop 0
	v_cvt_f32_i32_dpp v25, v25 row_shr:1 row_mask:0xf bank_mask:0xf bound_ctrl:1
	v_cvt_f32_i32_dpp v0, v23 row_shr:1 row_mask:0xf bank_mask:0xf bound_ctrl:1
	v_cvt_f32_i32_dpp v23, v27 row_bcast:15 row_mask:0xf bank_mask:0xf bound_ctrl:1
	v_cvt_i32_f32_e32 v27, v29
	v_add_f32_e32 v20, v20, v25
	v_add_f32_e32 v0, v6, v0
	v_cvt_i32_f32_e32 v25, v20
	v_cvt_i32_f32_e32 v6, v0
	v_add_f32_e32 v28, v8, v23
	v_cvt_i32_f32_e32 v8, v28
	v_cvt_f32_i32_dpp v25, v25 row_bcast:15 row_mask:0xf bank_mask:0xf bound_ctrl:1
	v_cvt_f32_i32_dpp v6, v6 row_bcast:15 row_mask:0xf bank_mask:0xf bound_ctrl:1
	v_mov_b32_dpp v31, v27 row_bcast:31 row_mask:0xf bank_mask:0xf bound_ctrl:1
	v_mov_b32_dpp v30, v8 row_bcast:31 row_mask:0xf bank_mask:0xf bound_ctrl:1
	v_add_f32_e32 v25, v20, v25
	v_add_f32_e32 v20, v0, v6
	v_cvt_i32_f32_e32 v23, v25
	v_cvt_i32_f32_e32 v0, v20
	s_nop 0
	v_mov_b32_dpp v27, v23 row_bcast:31 row_mask:0xf bank_mask:0xf bound_ctrl:1
	v_mov_b32_dpp v23, v0 row_bcast:31 row_mask:0xf bank_mask:0xf bound_ctrl:1
	s_and_saveexec_b64 s[36:37], s[0:1]
	s_cbranch_execz .LBB94_46
; %bb.31:                               ;   in Loop: Header=BB94_12 Depth=1
	s_andn2_b64 vcc, exec, s[28:29]
	v_mov_b32_e32 v35, 0
	v_add_u32_e32 v8, 2, v34
	v_add_u32_e32 v6, 3, v34
	v_mov_b32_e32 v50, 0
	s_waitcnt vmcnt(9)
	v_mov_b32_e32 v43, 0
	s_waitcnt vmcnt(8)
	;; [unrolled: 2-line block ×10, first 2 shown]
	v_mov_b32_e32 v32, 0
	s_cbranch_vccnz .LBB94_33
; %bb.32:                               ;   in Loop: Header=BB94_12 Depth=1
	v_mul_hi_u32 v0, v34, v45
	v_mul_lo_u32 v0, v0, s12
	v_sub_u32_e32 v0, v34, v0
	v_add_u32_e32 v35, 1, v34
	v_subrev_u32_e32 v32, s12, v0
	v_cmp_le_u32_e32 vcc, s12, v0
	v_mul_hi_u32 v36, v35, v45
	v_mul_lo_u32 v36, v36, s12
	v_cndmask_b32_e32 v0, v0, v32, vcc
	v_subrev_u32_e32 v32, s12, v0
	v_cmp_le_u32_e32 vcc, s12, v0
	v_sub_u32_e32 v35, v35, v36
	v_subrev_u32_e32 v36, s12, v35
	v_cndmask_b32_e32 v0, v0, v32, vcc
	v_cmp_le_u32_e32 vcc, s12, v35
	v_mov_b32_e32 v37, v1
	v_add_u32_e32 v40, s45, v0
	v_cndmask_b32_e32 v35, v35, v36, vcc
	v_subrev_u32_e32 v36, s12, v35
	v_cmp_le_u32_e32 vcc, s12, v35
	v_mov_b32_e32 v41, v1
	v_lshl_add_u64 v[60:61], v[40:41], 1, s[18:19]
	v_cndmask_b32_e32 v36, v35, v36, vcc
	v_mul_hi_u32 v35, v8, v45
	v_mul_lo_u32 v35, v35, s12
	v_sub_u32_e32 v35, v8, v35
	v_lshl_add_u64 v[38:39], v[36:37], 1, s[18:19]
	v_subrev_u32_e32 v37, s12, v35
	v_cmp_le_u32_e32 vcc, s12, v35
	v_add_u32_e32 v40, s45, v36
	v_lshl_add_u64 v[62:63], v[40:41], 1, s[18:19]
	v_cndmask_b32_e32 v35, v35, v37, vcc
	v_subrev_u32_e32 v37, s12, v35
	v_cmp_le_u32_e32 vcc, s12, v35
	v_lshl_add_u64 v[32:33], v[0:1], 1, s[18:19]
	v_mov_b32_e32 v53, v1
	v_cndmask_b32_e32 v52, v35, v37, vcc
	v_mul_hi_u32 v35, v6, v45
	v_mul_lo_u32 v35, v35, s12
	v_sub_u32_e32 v35, v6, v35
	v_subrev_u32_e32 v37, s12, v35
	v_cmp_le_u32_e32 vcc, s12, v35
	v_add_u32_e32 v40, s45, v52
	v_mov_b32_e32 v57, v1
	v_cndmask_b32_e32 v35, v35, v37, vcc
	v_subrev_u32_e32 v37, s12, v35
	v_cmp_le_u32_e32 vcc, s12, v35
	v_lshl_add_u64 v[64:65], v[40:41], 1, s[18:19]
	v_lshl_add_u64 v[54:55], v[52:53], 1, s[18:19]
	v_cndmask_b32_e32 v56, v35, v37, vcc
	v_add_u32_e32 v40, s45, v56
	v_lshl_add_u64 v[58:59], v[56:57], 1, s[18:19]
	v_lshl_add_u64 v[66:67], v[40:41], 1, s[18:19]
	global_load_ushort v35, v[32:33], off
	global_load_ushort v50, v[38:39], off
	;; [unrolled: 1-line block ×6, first 2 shown]
                                        ; kill: killed $vgpr62_vgpr63
                                        ; kill: killed $vgpr38_vgpr39
                                        ; kill: killed $vgpr32_vgpr33
                                        ; kill: killed $vgpr54_vgpr55
                                        ; kill: killed $vgpr58_vgpr59
                                        ; kill: killed $vgpr60_vgpr61
	s_nop 0
	global_load_ushort v39, v[64:65], off
	global_load_ushort v37, v[66:67], off
	v_add_u32_e32 v0, s46, v0
	v_lshl_add_u64 v[54:55], v[0:1], 1, s[18:19]
	v_add_u32_e32 v0, s46, v36
	v_lshl_add_u64 v[58:59], v[0:1], 1, s[18:19]
	;; [unrolled: 2-line block ×4, first 2 shown]
	global_load_ushort v38, v[54:55], off
	global_load_ushort v36, v[58:59], off
	;; [unrolled: 1-line block ×4, first 2 shown]
.LBB94_33:                              ;   in Loop: Header=BB94_12 Depth=1
	v_cmp_ne_u32_e32 vcc, 0, v2
	s_and_saveexec_b64 s[6:7], vcc
	s_cbranch_execnz .LBB94_51
; %bb.34:                               ;   in Loop: Header=BB94_12 Depth=1
	s_or_b64 exec, exec, s[6:7]
	v_cmp_ne_u32_e64 s[6:7], 0, v3
	s_and_saveexec_b64 s[8:9], s[6:7]
	s_cbranch_execnz .LBB94_52
.LBB94_35:                              ;   in Loop: Header=BB94_12 Depth=1
	s_or_b64 exec, exec, s[8:9]
	v_cmp_ne_u32_e64 s[8:9], 0, v4
	s_and_saveexec_b64 s[10:11], s[8:9]
	s_cbranch_execnz .LBB94_53
.LBB94_36:                              ;   in Loop: Header=BB94_12 Depth=1
	s_or_b64 exec, exec, s[10:11]
	v_cmp_ne_u32_e64 s[10:11], 0, v5
	s_and_saveexec_b64 s[38:39], s[10:11]
	s_cbranch_execnz .LBB94_54
.LBB94_37:                              ;   in Loop: Header=BB94_12 Depth=1
	s_or_b64 exec, exec, s[38:39]
	v_add_u32_e32 v0, s23, v34
	s_and_saveexec_b64 s[38:39], vcc
	s_cbranch_execnz .LBB94_55
.LBB94_38:                              ;   in Loop: Header=BB94_12 Depth=1
	s_or_b64 exec, exec, s[38:39]
	s_and_saveexec_b64 s[38:39], s[6:7]
	s_cbranch_execnz .LBB94_56
.LBB94_39:                              ;   in Loop: Header=BB94_12 Depth=1
	s_or_b64 exec, exec, s[38:39]
	s_and_saveexec_b64 s[38:39], s[8:9]
	s_cbranch_execnz .LBB94_57
.LBB94_40:                              ;   in Loop: Header=BB94_12 Depth=1
	s_or_b64 exec, exec, s[38:39]
	s_and_saveexec_b64 s[38:39], s[10:11]
	s_cbranch_execnz .LBB94_58
.LBB94_41:                              ;   in Loop: Header=BB94_12 Depth=1
	s_or_b64 exec, exec, s[38:39]
	v_add_u32_e32 v0, s23, v0
	s_and_saveexec_b64 s[38:39], vcc
	s_cbranch_execnz .LBB94_59
.LBB94_42:                              ;   in Loop: Header=BB94_12 Depth=1
	s_or_b64 exec, exec, s[38:39]
	s_and_saveexec_b64 s[38:39], s[6:7]
	s_cbranch_execnz .LBB94_60
.LBB94_43:                              ;   in Loop: Header=BB94_12 Depth=1
	s_or_b64 exec, exec, s[38:39]
	s_and_saveexec_b64 s[6:7], s[8:9]
	s_cbranch_execnz .LBB94_61
.LBB94_44:                              ;   in Loop: Header=BB94_12 Depth=1
	s_or_b64 exec, exec, s[6:7]
	s_and_b64 exec, exec, s[10:11]
	s_cbranch_execz .LBB94_46
.LBB94_45:                              ;   in Loop: Header=BB94_12 Depth=1
	v_cvt_f32_i32_e32 v6, v23
	s_waitcnt vmcnt(0)
	v_cvt_f32_f16_e32 v7, v32
	v_add_u32_e32 v0, 3, v0
	v_add_f32_e32 v6, v20, v6
	v_add_f32_e32 v6, v6, v7
	v_cvt_f16_f32_e32 v8, v6
	v_lshl_add_u64 v[6:7], v[0:1], 1, s[24:25]
	global_store_short v[6:7], v8, off
.LBB94_46:                              ;   in Loop: Header=BB94_12 Depth=1
	s_or_b64 exec, exec, s[36:37]
	v_add_u32_e32 v34, s44, v34
	v_add_u32_e32 v0, 4, v34
	v_cmp_gt_u32_e32 vcc, s23, v34
	v_cmp_le_u32_e64 s[6:7], s23, v0
	s_and_b64 s[6:7], vcc, s[6:7]
	s_and_saveexec_b64 s[8:9], s[6:7]
	s_cbranch_execz .LBB94_10
; %bb.47:                               ;   in Loop: Header=BB94_12 Depth=1
	v_cmp_ne_u32_e32 vcc, s13, v34
	s_and_saveexec_b64 s[10:11], vcc
	s_cbranch_execz .LBB94_9
; %bb.48:                               ;   in Loop: Header=BB94_12 Depth=1
	v_subrev_u32_e32 v0, s13, v34
	v_cmp_lt_u32_e32 vcc, 1, v0
	s_mov_b64 s[36:37], 0
	s_mov_b64 s[38:39], 0
	v_cndmask_b32_e32 v0, 1, v0, vcc
.LBB94_49:                              ;   Parent Loop BB94_12 Depth=1
                                        ; =>  This Inner Loop Header: Depth=2
	s_cmp_lg_u32 s38, 3
	s_cselect_b64 vcc, -1, 0
	s_cmp_lg_u32 s38, 2
	v_cndmask_b32_e32 v5, 0, v5, vcc
	s_cselect_b64 vcc, -1, 0
	s_cmp_lg_u32 s38, 1
	v_cndmask_b32_e32 v4, 0, v4, vcc
	s_cselect_b64 vcc, -1, 0
	s_cmp_lg_u32 s38, 0
	v_cndmask_b32_e32 v3, 0, v3, vcc
	s_cselect_b64 vcc, -1, 0
	s_add_u32 s38, s38, 1
	s_addc_u32 s39, s39, 0
	v_cmp_eq_u32_e64 s[6:7], s38, v0
	s_or_b64 s[36:37], s[6:7], s[36:37]
	v_cndmask_b32_e32 v2, 0, v2, vcc
	s_andn2_b64 exec, exec, s[36:37]
	s_cbranch_execnz .LBB94_49
; %bb.50:                               ;   in Loop: Header=BB94_12 Depth=1
	s_or_b64 exec, exec, s[36:37]
	s_branch .LBB94_9
.LBB94_51:                              ;   in Loop: Header=BB94_12 Depth=1
	v_cvt_f32_i32_e32 v0, v13
	s_waitcnt vmcnt(11)
	v_cvt_f32_f16_e32 v13, v35
	v_mov_b32_e32 v35, v1
	v_lshl_add_u64 v[52:53], v[34:35], 1, s[24:25]
	v_add_f32_e32 v0, v11, v0
	v_add_f32_e32 v0, v0, v13
	v_cvt_f16_f32_e32 v0, v0
	global_store_short v[52:53], v0, off
	s_or_b64 exec, exec, s[6:7]
	v_cmp_ne_u32_e64 s[6:7], 0, v3
	s_and_saveexec_b64 s[8:9], s[6:7]
	s_cbranch_execz .LBB94_35
.LBB94_52:                              ;   in Loop: Header=BB94_12 Depth=1
	v_cvt_f32_i32_e32 v0, v12
	s_waitcnt vmcnt(10)
	v_cvt_f32_f16_e32 v11, v50
	v_mov_b32_e32 v35, v1
	v_lshl_add_u64 v[12:13], v[34:35], 1, s[30:31]
	v_add_f32_e32 v0, v9, v0
	v_add_f32_e32 v0, v0, v11
	v_cvt_f16_f32_e32 v0, v0
	global_store_short v[12:13], v0, off
	s_or_b64 exec, exec, s[8:9]
	v_cmp_ne_u32_e64 s[8:9], 0, v4
	s_and_saveexec_b64 s[10:11], s[8:9]
	s_cbranch_execz .LBB94_36
.LBB94_53:                              ;   in Loop: Header=BB94_12 Depth=1
	v_cvt_f32_i32_e32 v0, v14
	s_waitcnt vmcnt(9)
	v_cvt_f32_f16_e32 v9, v43
	v_add_f32_e32 v0, v7, v0
	v_add_f32_e32 v0, v0, v9
	v_cvt_f16_f32_e32 v0, v0
	v_mov_b32_e32 v9, v1
	v_lshl_add_u64 v[8:9], v[8:9], 1, s[24:25]
	global_store_short v[8:9], v0, off
	s_or_b64 exec, exec, s[10:11]
	v_cmp_ne_u32_e64 s[10:11], 0, v5
	s_and_saveexec_b64 s[38:39], s[10:11]
	s_cbranch_execz .LBB94_37
.LBB94_54:                              ;   in Loop: Header=BB94_12 Depth=1
	v_cvt_f32_i32_e32 v0, v15
	s_waitcnt vmcnt(8)
	v_cvt_f32_f16_e32 v7, v42
	v_add_f32_e32 v0, v10, v0
	v_add_f32_e32 v0, v0, v7
	v_cvt_f16_f32_e32 v0, v0
	v_mov_b32_e32 v7, v1
	v_lshl_add_u64 v[6:7], v[6:7], 1, s[24:25]
	global_store_short v[6:7], v0, off
	s_or_b64 exec, exec, s[38:39]
	v_add_u32_e32 v0, s23, v34
	s_and_saveexec_b64 s[38:39], vcc
	s_cbranch_execz .LBB94_38
.LBB94_55:                              ;   in Loop: Header=BB94_12 Depth=1
	v_cvt_f32_i32_e32 v6, v22
	s_waitcnt vmcnt(7)
	v_cvt_f32_f16_e32 v7, v41
	v_add_f32_e32 v6, v16, v6
	v_add_f32_e32 v6, v6, v7
	v_cvt_f16_f32_e32 v8, v6
	v_lshl_add_u64 v[6:7], v[0:1], 1, s[24:25]
	global_store_short v[6:7], v8, off
	s_or_b64 exec, exec, s[38:39]
	s_and_saveexec_b64 s[38:39], s[6:7]
	s_cbranch_execz .LBB94_39
.LBB94_56:                              ;   in Loop: Header=BB94_12 Depth=1
	v_cvt_f32_i32_e32 v6, v24
	s_waitcnt vmcnt(6)
	v_cvt_f32_f16_e32 v7, v40
	v_add_f32_e32 v6, v17, v6
	v_add_f32_e32 v6, v6, v7
	v_cvt_f16_f32_e32 v8, v6
	v_add_u32_e32 v6, 1, v0
	v_mov_b32_e32 v7, v1
	v_lshl_add_u64 v[6:7], v[6:7], 1, s[24:25]
	global_store_short v[6:7], v8, off
	s_or_b64 exec, exec, s[38:39]
	s_and_saveexec_b64 s[38:39], s[8:9]
	s_cbranch_execz .LBB94_40
.LBB94_57:                              ;   in Loop: Header=BB94_12 Depth=1
	v_cvt_f32_i32_e32 v6, v26
	s_waitcnt vmcnt(5)
	v_cvt_f32_f16_e32 v7, v39
	v_add_f32_e32 v6, v18, v6
	v_add_f32_e32 v6, v6, v7
	v_cvt_f16_f32_e32 v8, v6
	v_add_u32_e32 v6, 2, v0
	v_mov_b32_e32 v7, v1
	v_lshl_add_u64 v[6:7], v[6:7], 1, s[24:25]
	global_store_short v[6:7], v8, off
	s_or_b64 exec, exec, s[38:39]
	s_and_saveexec_b64 s[38:39], s[10:11]
	s_cbranch_execz .LBB94_41
.LBB94_58:                              ;   in Loop: Header=BB94_12 Depth=1
	v_cvt_f32_i32_e32 v6, v21
	s_waitcnt vmcnt(4)
	v_cvt_f32_f16_e32 v7, v37
	v_add_f32_e32 v6, v19, v6
	v_add_f32_e32 v6, v6, v7
	v_cvt_f16_f32_e32 v8, v6
	v_add_u32_e32 v6, 3, v0
	v_mov_b32_e32 v7, v1
	v_lshl_add_u64 v[6:7], v[6:7], 1, s[24:25]
	global_store_short v[6:7], v8, off
	s_or_b64 exec, exec, s[38:39]
	v_add_u32_e32 v0, s23, v0
	s_and_saveexec_b64 s[38:39], vcc
	s_cbranch_execz .LBB94_42
.LBB94_59:                              ;   in Loop: Header=BB94_12 Depth=1
	v_cvt_f32_i32_e32 v6, v31
	s_waitcnt vmcnt(3)
	v_cvt_f32_f16_e32 v7, v38
	v_add_f32_e32 v6, v29, v6
	v_add_f32_e32 v6, v6, v7
	v_cvt_f16_f32_e32 v8, v6
	v_lshl_add_u64 v[6:7], v[0:1], 1, s[24:25]
	global_store_short v[6:7], v8, off
	s_or_b64 exec, exec, s[38:39]
	s_and_saveexec_b64 s[38:39], s[6:7]
	s_cbranch_execz .LBB94_43
.LBB94_60:                              ;   in Loop: Header=BB94_12 Depth=1
	v_cvt_f32_i32_e32 v6, v30
	s_waitcnt vmcnt(2)
	v_cvt_f32_f16_e32 v7, v36
	v_add_f32_e32 v6, v28, v6
	v_add_f32_e32 v6, v6, v7
	v_cvt_f16_f32_e32 v8, v6
	v_add_u32_e32 v6, 1, v0
	v_mov_b32_e32 v7, v1
	v_lshl_add_u64 v[6:7], v[6:7], 1, s[24:25]
	global_store_short v[6:7], v8, off
	s_or_b64 exec, exec, s[38:39]
	s_and_saveexec_b64 s[6:7], s[8:9]
	s_cbranch_execz .LBB94_44
.LBB94_61:                              ;   in Loop: Header=BB94_12 Depth=1
	v_cvt_f32_i32_e32 v6, v27
	s_waitcnt vmcnt(1)
	v_cvt_f32_f16_e32 v7, v33
	v_add_f32_e32 v6, v25, v6
	v_add_f32_e32 v6, v6, v7
	v_cvt_f16_f32_e32 v8, v6
	v_add_u32_e32 v6, 2, v0
	v_mov_b32_e32 v7, v1
	v_lshl_add_u64 v[6:7], v[6:7], 1, s[24:25]
	global_store_short v[6:7], v8, off
	s_or_b64 exec, exec, s[6:7]
	s_and_b64 exec, exec, s[10:11]
	s_cbranch_execnz .LBB94_45
	s_branch .LBB94_46
.LBB94_62:
	s_endpgm
	.section	.rodata,"a",@progbits
	.p2align	6, 0x0
	.amdhsa_kernel _Z16wvSplitK_hf_big_I6__halfLi64ELi4ELi16ELi8ELi1ELi3EEviiiiiiPKT_S3_S3_PS1_ii
		.amdhsa_group_segment_fixed_size 65536
		.amdhsa_private_segment_fixed_size 0
		.amdhsa_kernarg_size 64
		.amdhsa_user_sgpr_count 2
		.amdhsa_user_sgpr_dispatch_ptr 0
		.amdhsa_user_sgpr_queue_ptr 0
		.amdhsa_user_sgpr_kernarg_segment_ptr 1
		.amdhsa_user_sgpr_dispatch_id 0
		.amdhsa_user_sgpr_kernarg_preload_length 0
		.amdhsa_user_sgpr_kernarg_preload_offset 0
		.amdhsa_user_sgpr_private_segment_size 0
		.amdhsa_uses_dynamic_stack 0
		.amdhsa_enable_private_segment 0
		.amdhsa_system_sgpr_workgroup_id_x 1
		.amdhsa_system_sgpr_workgroup_id_y 0
		.amdhsa_system_sgpr_workgroup_id_z 0
		.amdhsa_system_sgpr_workgroup_info 0
		.amdhsa_system_vgpr_workitem_id 1
		.amdhsa_next_free_vgpr 68
		.amdhsa_next_free_sgpr 52
		.amdhsa_accum_offset 68
		.amdhsa_reserve_vcc 1
		.amdhsa_float_round_mode_32 0
		.amdhsa_float_round_mode_16_64 0
		.amdhsa_float_denorm_mode_32 3
		.amdhsa_float_denorm_mode_16_64 3
		.amdhsa_dx10_clamp 1
		.amdhsa_ieee_mode 1
		.amdhsa_fp16_overflow 0
		.amdhsa_tg_split 0
		.amdhsa_exception_fp_ieee_invalid_op 0
		.amdhsa_exception_fp_denorm_src 0
		.amdhsa_exception_fp_ieee_div_zero 0
		.amdhsa_exception_fp_ieee_overflow 0
		.amdhsa_exception_fp_ieee_underflow 0
		.amdhsa_exception_fp_ieee_inexact 0
		.amdhsa_exception_int_div_zero 0
	.end_amdhsa_kernel
	.section	.text._Z16wvSplitK_hf_big_I6__halfLi64ELi4ELi16ELi8ELi1ELi3EEviiiiiiPKT_S3_S3_PS1_ii,"axG",@progbits,_Z16wvSplitK_hf_big_I6__halfLi64ELi4ELi16ELi8ELi1ELi3EEviiiiiiPKT_S3_S3_PS1_ii,comdat
.Lfunc_end94:
	.size	_Z16wvSplitK_hf_big_I6__halfLi64ELi4ELi16ELi8ELi1ELi3EEviiiiiiPKT_S3_S3_PS1_ii, .Lfunc_end94-_Z16wvSplitK_hf_big_I6__halfLi64ELi4ELi16ELi8ELi1ELi3EEviiiiiiPKT_S3_S3_PS1_ii
                                        ; -- End function
	.section	.AMDGPU.csdata,"",@progbits
; Kernel info:
; codeLenInByte = 4620
; NumSgprs: 58
; NumVgprs: 68
; NumAgprs: 0
; TotalNumVgprs: 68
; ScratchSize: 0
; MemoryBound: 0
; FloatMode: 240
; IeeeMode: 1
; LDSByteSize: 65536 bytes/workgroup (compile time only)
; SGPRBlocks: 7
; VGPRBlocks: 8
; NumSGPRsForWavesPerEU: 58
; NumVGPRsForWavesPerEU: 68
; AccumOffset: 68
; Occupancy: 4
; WaveLimiterHint : 0
; COMPUTE_PGM_RSRC2:SCRATCH_EN: 0
; COMPUTE_PGM_RSRC2:USER_SGPR: 2
; COMPUTE_PGM_RSRC2:TRAP_HANDLER: 0
; COMPUTE_PGM_RSRC2:TGID_X_EN: 1
; COMPUTE_PGM_RSRC2:TGID_Y_EN: 0
; COMPUTE_PGM_RSRC2:TGID_Z_EN: 0
; COMPUTE_PGM_RSRC2:TIDIG_COMP_CNT: 1
; COMPUTE_PGM_RSRC3_GFX90A:ACCUM_OFFSET: 16
; COMPUTE_PGM_RSRC3_GFX90A:TG_SPLIT: 0
	.section	.text._Z16wvSplitK_hf_sml_I6__halfLi64ELi4ELi16ELi8ELi2ELi3EEviiiiiiPKT_S3_S3_PS1_ii,"axG",@progbits,_Z16wvSplitK_hf_sml_I6__halfLi64ELi4ELi16ELi8ELi2ELi3EEviiiiiiPKT_S3_S3_PS1_ii,comdat
	.protected	_Z16wvSplitK_hf_sml_I6__halfLi64ELi4ELi16ELi8ELi2ELi3EEviiiiiiPKT_S3_S3_PS1_ii ; -- Begin function _Z16wvSplitK_hf_sml_I6__halfLi64ELi4ELi16ELi8ELi2ELi3EEviiiiiiPKT_S3_S3_PS1_ii
	.globl	_Z16wvSplitK_hf_sml_I6__halfLi64ELi4ELi16ELi8ELi2ELi3EEviiiiiiPKT_S3_S3_PS1_ii
	.p2align	8
	.type	_Z16wvSplitK_hf_sml_I6__halfLi64ELi4ELi16ELi8ELi2ELi3EEviiiiiiPKT_S3_S3_PS1_ii,@function
_Z16wvSplitK_hf_sml_I6__halfLi64ELi4ELi16ELi8ELi2ELi3EEviiiiiiPKT_S3_S3_PS1_ii: ; @_Z16wvSplitK_hf_sml_I6__halfLi64ELi4ELi16ELi8ELi2ELi3EEviiiiiiPKT_S3_S3_PS1_ii
; %bb.0:
	s_load_dwordx4 s[4:7], s[0:1], 0x0
	s_load_dwordx2 s[8:9], s[0:1], 0x10
	s_load_dwordx2 s[10:11], s[0:1], 0x28
	v_and_b32_e32 v2, 0x3ff, v0
	v_bfe_u32 v3, v0, 10, 10
	v_lshlrev_b32_e32 v68, 3, v2
	s_waitcnt lgkmcnt(0)
	s_mul_i32 s3, s6, 3
	v_lshl_add_u32 v4, v3, 9, v68
	s_min_u32 s3, s3, 0x8000
	v_cmp_gt_u32_e32 vcc, s3, v4
	s_and_saveexec_b64 s[12:13], vcc
	s_cbranch_execz .LBB95_3
; %bb.1:
	s_load_dwordx2 s[14:15], s[0:1], 0x20
	v_mov_b32_e32 v7, 0
	v_lshlrev_b32_e32 v6, 10, v3
	v_lshlrev_b32_e32 v8, 4, v2
	v_mov_b32_e32 v9, v7
	v_lshl_add_u64 v[0:1], v[6:7], 0, v[8:9]
	s_waitcnt lgkmcnt(0)
	v_lshl_add_u64 v[0:1], s[14:15], 0, v[0:1]
	v_add_u32_e32 v5, v6, v8
	s_mov_b64 s[14:15], 0
	s_mov_b64 s[16:17], 0x4000
.LBB95_2:                               ; =>This Inner Loop Header: Depth=1
	global_load_dwordx4 v[6:9], v[0:1], off
	v_add_u32_e32 v4, 0x2000, v4
	v_cmp_le_u32_e32 vcc, s3, v4
	v_lshl_add_u64 v[0:1], v[0:1], 0, s[16:17]
	s_or_b64 s[14:15], vcc, s[14:15]
	s_waitcnt vmcnt(0)
	ds_write_b128 v5, v[6:9]
	v_add_u32_e32 v5, 0x4000, v5
	s_andn2_b64 exec, exec, s[14:15]
	s_cbranch_execnz .LBB95_2
.LBB95_3:
	s_or_b64 exec, exec, s[12:13]
	s_load_dwordx2 s[16:17], s[0:1], 0x38
	s_waitcnt lgkmcnt(0)
	s_barrier
	v_cmp_gt_u32_e32 vcc, s16, v3
	s_and_saveexec_b64 s[12:13], vcc
	s_cbranch_execz .LBB95_20
; %bb.4:
	s_mul_i32 s2, s2, s16
	v_add_lshl_u32 v48, s2, v3, 2
	v_cmp_gt_u32_e32 vcc, s7, v48
	s_and_b64 exec, exec, vcc
	s_cbranch_execz .LBB95_20
; %bb.5:
	s_cmp_lg_u32 s4, 0
	s_cselect_b64 s[2:3], -1, 0
	s_add_i32 s24, s4, -8
	s_add_i32 s25, s7, -1
	s_cmp_lg_u64 s[10:11], 0
	s_cselect_b64 s[18:19], -1, 0
	s_abs_i32 s21, s9
	v_cvt_f32_u32_e32 v0, s8
	v_cvt_f32_u32_e32 v1, s21
	s_mul_i32 s20, s16, s17
	s_lshl_b32 s9, s20, 2
	v_rcp_iflag_f32_e32 v0, v0
	v_rcp_iflag_f32_e32 v1, v1
	s_sub_i32 s20, 0, s8
	s_load_dwordx2 s[12:13], s[0:1], 0x18
	s_load_dwordx2 s[14:15], s[0:1], 0x30
	v_mul_f32_e32 v0, 0x4f7ffffe, v0
	v_mul_f32_e32 v1, 0x4f7ffffe, v1
	v_cvt_u32_f32_e32 v0, v0
	v_cvt_u32_f32_e32 v1, v1
	v_cmp_eq_u32_e64 s[0:1], 63, v2
	s_mov_b64 s[16:17], 0
	v_mul_lo_u32 v3, s20, v0
	s_sub_i32 s20, 0, s21
	v_readfirstlane_b32 s22, v1
	s_mul_i32 s20, s20, s22
	s_mul_hi_u32 s20, s22, s20
	s_add_i32 s22, s22, s20
	s_sub_i32 s20, 1, s21
	s_cmp_lt_u32 s21, 2
	s_cselect_b32 s20, s20, 1
	s_sub_i32 s23, s20, s21
	s_cmp_ge_u32 s20, s21
	s_cselect_b32 s26, s23, s20
	s_lshr_b32 s20, s22, 31
	s_mul_i32 s20, s20, s21
	s_sub_i32 s20, 2, s20
	s_sub_i32 s22, s20, s21
	s_cmp_ge_u32 s20, s21
	s_cselect_b32 s20, s22, s20
	s_sub_i32 s22, s20, s21
	v_mul_hi_u32 v3, v0, v3
	s_cmp_ge_u32 s20, s21
	v_add_u32_e32 v69, v0, v3
	s_cselect_b32 s27, s22, s20
	v_cndmask_b32_e64 v0, 0, 1, s[2:3]
	v_mov_b32_e32 v51, 0
	s_mul_i32 s26, s26, s8
	s_mul_i32 s27, s27, s8
	s_lshl_b32 s28, s6, 2
	v_lshlrev_b32_e32 v70, 4, v2
	s_lshl_b32 s6, s6, 1
	v_cmp_ne_u32_e64 s[2:3], 1, v0
	s_branch .LBB95_8
.LBB95_6:                               ;   in Loop: Header=BB95_8 Depth=1
	v_cvt_f32_i32_e32 v2, v2
	v_cvt_f32_i32_e32 v4, v4
	;; [unrolled: 1-line block ×4, first 2 shown]
	v_add_f32_e32 v0, v0, v2
	v_cvt_f32_i32_e32 v2, v10
	v_add_f32_e32 v1, v1, v4
	v_add_f32_e32 v4, v5, v7
	v_cvt_f32_i32_e32 v7, v15
	v_add_f32_e32 v5, v8, v2
	v_cvt_f32_i32_e32 v2, v12
	s_waitcnt vmcnt(11)
	v_cvt_f32_f16_e32 v12, v35
	v_add_f32_e32 v3, v3, v6
	v_cvt_f32_i32_e32 v6, v14
	v_add_f32_e32 v9, v9, v2
	v_cvt_f32_i32_e32 v2, v22
	v_add_f32_e32 v0, v0, v12
	v_add_f32_e32 v7, v13, v7
	s_waitcnt vmcnt(9)
	v_cvt_f32_f16_e32 v12, v33
	v_add_f32_e32 v13, v17, v2
	v_cvt_f32_f16_e32 v2, v34
	v_cvt_f16_f32_e32 v14, v0
	s_waitcnt vmcnt(8)
	v_cvt_f32_f16_e32 v0, v32
	v_add_u32_e32 v50, s7, v48
	v_add_f32_e32 v1, v1, v2
	v_add_f32_e32 v2, v3, v12
	;; [unrolled: 1-line block ×3, first 2 shown]
	v_cvt_f16_f32_e32 v2, v2
	v_cvt_f16_f32_e32 v3, v0
	v_cvt_f16_f32_e32 v4, v1
	s_waitcnt vmcnt(7)
	v_cvt_f32_f16_e32 v12, v31
	s_waitcnt lgkmcnt(0)
	v_lshl_add_u64 v[0:1], v[48:49], 1, s[14:15]
	v_pack_b32_f16 v3, v2, v3
	v_pack_b32_f16 v2, v14, v4
	global_store_dwordx2 v[0:1], v[2:3], off
	v_add_f32_e32 v0, v5, v12
	v_cvt_f16_f32_e32 v2, v0
	s_waitcnt vmcnt(7)
	v_cvt_f32_f16_e32 v3, v30
	v_lshl_add_u64 v[0:1], v[50:51], 1, s[14:15]
	v_add_f32_e32 v6, v11, v6
	global_store_short v[0:1], v2, off
	v_add_f32_e32 v0, v9, v3
	v_cvt_f16_f32_e32 v2, v0
	s_waitcnt vmcnt(7)
	v_cvt_f32_f16_e32 v3, v27
	v_add_u32_e32 v0, 1, v50
	v_mov_b32_e32 v1, v51
	v_lshl_add_u64 v[0:1], v[0:1], 1, s[14:15]
	global_store_short v[0:1], v2, off
	v_add_f32_e32 v0, v6, v3
	v_cvt_f16_f32_e32 v2, v0
	s_waitcnt vmcnt(7)
	v_cvt_f32_f16_e32 v3, v25
	v_add_u32_e32 v0, 2, v50
	v_mov_b32_e32 v1, v51
	v_lshl_add_u64 v[0:1], v[0:1], 1, s[14:15]
	v_cvt_f32_i32_e32 v8, v23
	global_store_short v[0:1], v2, off
	v_add_f32_e32 v0, v7, v3
	v_cvt_f16_f32_e32 v2, v0
	s_waitcnt vmcnt(7)
	v_cvt_f32_f16_e32 v3, v29
	s_waitcnt vmcnt(6)
	v_cvt_f32_f16_e32 v4, v28
	v_add_u32_e32 v0, 3, v50
	v_mov_b32_e32 v1, v51
	v_add_f32_e32 v8, v16, v8
	v_lshl_add_u64 v[0:1], v[0:1], 1, s[14:15]
	global_store_short v[0:1], v2, off
	v_add_f32_e32 v0, v8, v3
	v_cvt_f16_f32_e32 v2, v0
	v_add_f32_e32 v0, v13, v4
	v_cvt_f16_f32_e32 v3, v0
	v_cvt_f32_i32_e32 v10, v21
	v_cvt_f32_i32_e32 v11, v20
	s_waitcnt vmcnt(6)
	v_cvt_f32_f16_e32 v4, v26
	v_pack_b32_f16 v2, v2, v3
	s_waitcnt vmcnt(5)
	v_cvt_f32_f16_e32 v3, v24
	v_add_u32_e32 v50, s7, v50
	v_add_f32_e32 v10, v18, v10
	v_lshl_add_u64 v[0:1], v[50:51], 1, s[14:15]
	v_add_f32_e32 v11, v19, v11
	global_store_dword v[0:1], v2, off
	v_add_f32_e32 v0, v10, v4
	v_cvt_f16_f32_e32 v2, v0
	v_add_f32_e32 v3, v11, v3
	v_cvt_f16_f32_e32 v3, v3
	v_add_u32_e32 v0, 2, v50
	v_mov_b32_e32 v1, v51
	v_lshl_add_u64 v[0:1], v[0:1], 1, s[14:15]
	v_add_u32_e32 v50, 3, v50
	global_store_short v[0:1], v2, off
	v_lshl_add_u64 v[0:1], v[50:51], 1, s[14:15]
	global_store_short v[0:1], v3, off
.LBB95_7:                               ;   in Loop: Header=BB95_8 Depth=1
	s_or_b64 exec, exec, s[20:21]
	v_add_u32_e32 v48, s9, v48
	v_cmp_le_u32_e32 vcc, s7, v48
	s_or_b64 s[16:17], vcc, s[16:17]
	s_andn2_b64 exec, exec, s[16:17]
	s_cbranch_execz .LBB95_20
.LBB95_8:                               ; =>This Loop Header: Depth=1
                                        ;     Child Loop BB95_12 Depth 2
	s_mov_b32 s29, 0
	s_and_b64 vcc, exec, s[2:3]
	v_mov_b32_e32 v81, v51
	v_mov_b32_e32 v80, v51
	;; [unrolled: 1-line block ×12, first 2 shown]
	s_cbranch_vccnz .LBB95_15
; %bb.9:                                ;   in Loop: Header=BB95_8 Depth=1
	v_min_u32_e32 v0, s25, v48
	v_mul_lo_u32 v50, v0, s5
	v_or_b32_e32 v0, 1, v48
	v_or_b32_e32 v2, 2, v48
	v_or_b32_e32 v4, 3, v48
	v_min_u32_e32 v0, s25, v0
	v_min_u32_e32 v2, s25, v2
	v_min_u32_e32 v4, s25, v4
	v_mul_lo_u32 v0, v0, s5
	v_mov_b32_e32 v1, v51
	v_mul_lo_u32 v2, v2, s5
	v_mov_b32_e32 v3, v51
	;; [unrolled: 2-line block ×3, first 2 shown]
	v_mov_b32_e32 v73, 0
	v_lshlrev_b64 v[52:53], 1, v[50:51]
	v_lshlrev_b64 v[54:55], 1, v[0:1]
	;; [unrolled: 1-line block ×4, first 2 shown]
	v_mov_b32_e32 v82, v70
	v_mov_b32_e32 v72, 0
	;; [unrolled: 1-line block ×12, first 2 shown]
	s_branch .LBB95_12
.LBB95_10:                              ;   in Loop: Header=BB95_12 Depth=2
	s_or_b64 exec, exec, s[22:23]
.LBB95_11:                              ;   in Loop: Header=BB95_12 Depth=2
	s_or_b64 exec, exec, s[20:21]
	s_waitcnt vmcnt(7) lgkmcnt(1)
	;;#ASMSTART
	v_dot2c_f32_f16 v81, v44, v36
	;;#ASMEND
	s_waitcnt vmcnt(6)
	;;#ASMSTART
	v_dot2c_f32_f16 v80, v44, v28
	;;#ASMEND
	s_waitcnt vmcnt(5)
	;; [unrolled: 4-line block ×3, first 2 shown]
	;;#ASMSTART
	v_dot2c_f32_f16 v78, v44, v20
	;;#ASMEND
	;;#ASMSTART
	v_dot2c_f32_f16 v77, v40, v36
	;;#ASMEND
	;; [unrolled: 3-line block ×12, first 2 shown]
	s_nop 0
	;;#ASMSTART
	v_dot2c_f32_f16 v78, v45, v21
	;;#ASMEND
	;;#ASMSTART
	v_dot2c_f32_f16 v77, v41, v37
	;;#ASMEND
	;; [unrolled: 3-line block ×12, first 2 shown]
	s_nop 0
	;;#ASMSTART
	v_dot2c_f32_f16 v78, v46, v22
	;;#ASMEND
	;;#ASMSTART
	v_dot2c_f32_f16 v77, v42, v38
	;;#ASMEND
	;; [unrolled: 3-line block ×5, first 2 shown]
	s_waitcnt lgkmcnt(0)
	;;#ASMSTART
	v_dot2c_f32_f16 v73, v66, v38
	;;#ASMEND
	;;#ASMSTART
	v_dot2c_f32_f16 v72, v66, v30
	;;#ASMEND
	;; [unrolled: 3-line block ×12, first 2 shown]
	s_nop 0
	;;#ASMSTART
	v_dot2c_f32_f16 v73, v67, v39
	;;#ASMEND
	;;#ASMSTART
	v_dot2c_f32_f16 v72, v67, v31
	;;#ASMEND
	;; [unrolled: 3-line block ×4, first 2 shown]
	s_waitcnt vmcnt(3)
	;;#ASMSTART
	v_dot2c_f32_f16 v81, v32, v12
	;;#ASMEND
	s_waitcnt vmcnt(2)
	;;#ASMSTART
	v_dot2c_f32_f16 v80, v32, v8
	;;#ASMEND
	;; [unrolled: 4-line block ×4, first 2 shown]
	;;#ASMSTART
	v_dot2c_f32_f16 v77, v16, v12
	;;#ASMEND
	;;#ASMSTART
	v_dot2c_f32_f16 v76, v16, v8
	;;#ASMEND
	;; [unrolled: 3-line block ×11, first 2 shown]
	s_nop 0
	;;#ASMSTART
	v_dot2c_f32_f16 v78, v33, v1
	;;#ASMEND
	;;#ASMSTART
	v_dot2c_f32_f16 v77, v17, v13
	;;#ASMEND
	;;#ASMSTART
	v_dot2c_f32_f16 v76, v17, v9
	;;#ASMEND
	;;#ASMSTART
	v_dot2c_f32_f16 v75, v17, v5
	;;#ASMEND
	;;#ASMSTART
	v_dot2c_f32_f16 v74, v17, v1
	;;#ASMEND
	;;#ASMSTART
	v_dot2c_f32_f16 v73, v63, v13
	;;#ASMEND
	;;#ASMSTART
	v_dot2c_f32_f16 v72, v63, v9
	;;#ASMEND
	;;#ASMSTART
	v_dot2c_f32_f16 v71, v63, v5
	;;#ASMEND
	;;#ASMSTART
	v_dot2c_f32_f16 v49, v63, v1
	;;#ASMEND
	s_addk_i32 s29, 0x400
	;;#ASMSTART
	v_dot2c_f32_f16 v81, v34, v14
	;;#ASMEND
	;;#ASMSTART
	v_dot2c_f32_f16 v80, v34, v10
	;;#ASMEND
	;; [unrolled: 3-line block ×12, first 2 shown]
	s_cmp_ge_u32 s29, s4
	v_add_u32_e32 v82, 0x800, v82
	;;#ASMSTART
	v_dot2c_f32_f16 v81, v35, v15
	;;#ASMEND
	;;#ASMSTART
	v_dot2c_f32_f16 v80, v35, v11
	;;#ASMEND
	;; [unrolled: 3-line block ×12, first 2 shown]
	s_cbranch_scc1 .LBB95_15
.LBB95_12:                              ;   Parent Loop BB95_8 Depth=1
                                        ; =>  This Inner Loop Header: Depth=2
	v_add_u32_e32 v32, s29, v68
	v_min_u32_e32 v50, s24, v32
	s_waitcnt lgkmcnt(0)
	v_lshl_add_u64 v[0:1], v[50:51], 1, s[12:13]
	v_lshl_add_u64 v[2:3], v[0:1], 0, v[52:53]
	v_add_u32_e32 v83, 0x200, v32
	v_lshl_add_u64 v[4:5], v[0:1], 0, v[54:55]
	global_load_dwordx4 v[36:39], v[2:3], off nt
	global_load_dwordx4 v[28:31], v[4:5], off nt
	v_lshl_add_u64 v[2:3], v[0:1], 0, v[56:57]
	v_lshl_add_u64 v[0:1], v[0:1], 0, v[58:59]
	v_min_u32_e32 v50, s24, v83
	global_load_dwordx4 v[24:27], v[2:3], off nt
	global_load_dwordx4 v[20:23], v[0:1], off nt
	v_lshl_add_u64 v[0:1], v[50:51], 1, s[12:13]
	v_lshl_add_u64 v[2:3], v[0:1], 0, v[52:53]
	;; [unrolled: 1-line block ×4, first 2 shown]
	global_load_dwordx4 v[12:15], v[2:3], off nt
	global_load_dwordx4 v[8:11], v[4:5], off nt
	v_lshl_add_u64 v[18:19], v[0:1], 0, v[58:59]
	global_load_dwordx4 v[4:7], v[16:17], off nt
	global_load_dwordx4 v[0:3], v[18:19], off nt
	v_cmp_gt_u32_e32 vcc, s4, v32
	v_mov_b32_e32 v44, 0
	v_mov_b32_e32 v45, 0
	;; [unrolled: 1-line block ×24, first 2 shown]
	s_and_saveexec_b64 s[20:21], vcc
	s_cbranch_execz .LBB95_11
; %bb.13:                               ;   in Loop: Header=BB95_12 Depth=2
	v_add_u32_e32 v50, s6, v82
	v_add_u32_e32 v84, s28, v82
	ds_read_b128 v[40:43], v50
	ds_read2_b32 v[64:65], v84 offset1:1
	ds_read_b128 v[44:47], v82
	ds_read2_b32 v[66:67], v84 offset0:2 offset1:3
	v_cmp_gt_u32_e32 vcc, s4, v83
	v_mov_b32_e32 v61, 0
	v_mov_b32_e32 v60, 0
	;; [unrolled: 1-line block ×12, first 2 shown]
	s_and_saveexec_b64 s[22:23], vcc
	s_cbranch_execz .LBB95_10
; %bb.14:                               ;   in Loop: Header=BB95_12 Depth=2
	v_add_u32_e32 v32, 0x400, v84
	ds_read_b128 v[16:19], v50 offset:1024
	ds_read2_b32 v[62:63], v32 offset1:1
	v_add_u32_e32 v50, 0x408, v84
	ds_read_b128 v[32:35], v82 offset:1024
	ds_read2_b32 v[60:61], v50 offset1:1
	s_branch .LBB95_10
.LBB95_15:                              ;   in Loop: Header=BB95_8 Depth=1
	; sched_barrier mask(0x00000000)
	v_cvt_i32_f32_e32 v0, v81
	v_cvt_i32_f32_e32 v1, v80
	;; [unrolled: 1-line block ×4, first 2 shown]
	v_cvt_f32_i32_dpp v0, v0 row_shr:8 row_mask:0xf bank_mask:0xf bound_ctrl:1
	v_cvt_f32_i32_dpp v1, v1 row_shr:8 row_mask:0xf bank_mask:0xf bound_ctrl:1
	;; [unrolled: 1-line block ×4, first 2 shown]
	v_add_f32_e32 v0, v81, v0
	v_cvt_i32_f32_e32 v5, v0
	v_add_f32_e32 v1, v80, v1
	v_cvt_i32_f32_e32 v6, v1
	v_add_f32_e32 v2, v79, v2
	v_cvt_f32_i32_dpp v5, v5 row_shr:4 row_mask:0xf bank_mask:0xf bound_ctrl:1
	v_cvt_i32_f32_e32 v7, v2
	v_cvt_f32_i32_dpp v6, v6 row_shr:4 row_mask:0xf bank_mask:0xf bound_ctrl:1
	v_add_f32_e32 v3, v78, v3
	v_add_f32_e32 v0, v0, v5
	v_cvt_i32_f32_e32 v5, v0
	v_add_f32_e32 v1, v1, v6
	v_cvt_i32_f32_e32 v6, v1
	v_cvt_f32_i32_dpp v7, v7 row_shr:4 row_mask:0xf bank_mask:0xf bound_ctrl:1
	v_cvt_f32_i32_dpp v5, v5 row_shr:2 row_mask:0xf bank_mask:0xf bound_ctrl:1
	v_cvt_i32_f32_e32 v8, v3
	v_cvt_f32_i32_dpp v6, v6 row_shr:2 row_mask:0xf bank_mask:0xf bound_ctrl:1
	v_add_f32_e32 v2, v2, v7
	v_add_f32_e32 v0, v0, v5
	v_cvt_i32_f32_e32 v5, v0
	v_cvt_i32_f32_e32 v7, v2
	v_add_f32_e32 v1, v1, v6
	v_cvt_i32_f32_e32 v6, v1
	v_cvt_f32_i32_dpp v5, v5 row_shr:1 row_mask:0xf bank_mask:0xf bound_ctrl:1
	v_cvt_f32_i32_dpp v7, v7 row_shr:2 row_mask:0xf bank_mask:0xf bound_ctrl:1
	;; [unrolled: 1-line block ×4, first 2 shown]
	v_add_f32_e32 v0, v0, v5
	v_cvt_i32_f32_e32 v5, v0
	v_add_f32_e32 v7, v2, v7
	v_cvt_i32_f32_e32 v4, v77
	v_cvt_i32_f32_e32 v2, v7
	v_cvt_f32_i32_dpp v5, v5 row_bcast:15 row_mask:0xf bank_mask:0xf bound_ctrl:1
	v_add_f32_e32 v1, v1, v6
	v_add_f32_e32 v3, v3, v8
	v_cvt_i32_f32_e32 v6, v1
	v_add_f32_e32 v0, v0, v5
	v_cvt_i32_f32_e32 v5, v0
	v_cvt_f32_i32_dpp v8, v2 row_shr:1 row_mask:0xf bank_mask:0xf bound_ctrl:1
	v_cvt_f32_i32_dpp v4, v4 row_shr:8 row_mask:0xf bank_mask:0xf bound_ctrl:1
	v_cvt_f32_i32_dpp v6, v6 row_bcast:15 row_mask:0xf bank_mask:0xf bound_ctrl:1
	v_mov_b32_dpp v2, v5 row_bcast:31 row_mask:0xf bank_mask:0xf bound_ctrl:1
	v_cvt_i32_f32_e32 v5, v3
	v_add_f32_e32 v7, v7, v8
	v_add_f32_e32 v9, v77, v4
	v_cvt_i32_f32_e32 v8, v7
	v_cvt_f32_i32_dpp v5, v5 row_shr:2 row_mask:0xf bank_mask:0xf bound_ctrl:1
	v_cvt_i32_f32_e32 v4, v9
	v_add_f32_e32 v1, v1, v6
	v_cvt_i32_f32_e32 v6, v1
	v_add_f32_e32 v5, v3, v5
	v_cvt_i32_f32_e32 v3, v5
	v_cvt_f32_i32_dpp v8, v8 row_bcast:15 row_mask:0xf bank_mask:0xf bound_ctrl:1
	v_cvt_f32_i32_dpp v10, v4 row_shr:4 row_mask:0xf bank_mask:0xf bound_ctrl:1
	v_mov_b32_dpp v4, v6 row_bcast:31 row_mask:0xf bank_mask:0xf bound_ctrl:1
	v_cvt_f32_i32_dpp v6, v3 row_shr:1 row_mask:0xf bank_mask:0xf bound_ctrl:1
	v_add_f32_e32 v3, v7, v8
	v_add_f32_e32 v7, v9, v10
	v_cvt_i32_f32_e32 v8, v7
	v_add_f32_e32 v5, v5, v6
	v_cvt_i32_f32_e32 v6, v76
	v_cvt_i32_f32_e32 v9, v5
	v_cvt_f32_i32_dpp v8, v8 row_shr:2 row_mask:0xf bank_mask:0xf bound_ctrl:1
	v_cvt_i32_f32_e32 v10, v3
	v_cvt_f32_i32_dpp v6, v6 row_shr:8 row_mask:0xf bank_mask:0xf bound_ctrl:1
	v_cvt_f32_i32_dpp v9, v9 row_bcast:15 row_mask:0xf bank_mask:0xf bound_ctrl:1
	v_add_f32_e32 v7, v7, v8
	v_cvt_i32_f32_e32 v8, v7
	v_add_f32_e32 v11, v76, v6
	v_cvt_i32_f32_e32 v12, v11
	v_add_f32_e32 v5, v5, v9
	v_cvt_f32_i32_dpp v8, v8 row_shr:1 row_mask:0xf bank_mask:0xf bound_ctrl:1
	v_mov_b32_dpp v6, v10 row_bcast:31 row_mask:0xf bank_mask:0xf bound_ctrl:1
	v_cvt_f32_i32_dpp v9, v12 row_shr:4 row_mask:0xf bank_mask:0xf bound_ctrl:1
	v_cvt_i32_f32_e32 v10, v5
	v_add_f32_e32 v8, v7, v8
	v_cvt_i32_f32_e32 v7, v75
	v_add_f32_e32 v9, v11, v9
	v_cvt_i32_f32_e32 v11, v9
	v_cvt_i32_f32_e32 v12, v8
	v_cvt_f32_i32_dpp v13, v7 row_shr:8 row_mask:0xf bank_mask:0xf bound_ctrl:1
	v_mov_b32_dpp v7, v10 row_bcast:31 row_mask:0xf bank_mask:0xf bound_ctrl:1
	v_cvt_f32_i32_dpp v10, v11 row_shr:2 row_mask:0xf bank_mask:0xf bound_ctrl:1
	v_cvt_f32_i32_dpp v11, v12 row_bcast:15 row_mask:0xf bank_mask:0xf bound_ctrl:1
	v_add_f32_e32 v12, v75, v13
	v_cvt_i32_f32_e32 v13, v12
	v_add_f32_e32 v9, v9, v10
	v_cvt_i32_f32_e32 v10, v74
	v_cvt_i32_f32_e32 v14, v9
	v_cvt_f32_i32_dpp v13, v13 row_shr:4 row_mask:0xf bank_mask:0xf bound_ctrl:1
	v_add_f32_e32 v8, v8, v11
	v_cvt_f32_i32_dpp v10, v10 row_shr:8 row_mask:0xf bank_mask:0xf bound_ctrl:1
	v_cvt_f32_i32_dpp v11, v14 row_shr:1 row_mask:0xf bank_mask:0xf bound_ctrl:1
	v_add_f32_e32 v12, v12, v13
	v_cvt_i32_f32_e32 v13, v12
	v_add_f32_e32 v10, v74, v10
	v_cvt_i32_f32_e32 v14, v10
	v_add_f32_e32 v9, v9, v11
	v_cvt_f32_i32_dpp v13, v13 row_shr:2 row_mask:0xf bank_mask:0xf bound_ctrl:1
	v_cvt_i32_f32_e32 v15, v8
	v_cvt_f32_i32_dpp v11, v14 row_shr:4 row_mask:0xf bank_mask:0xf bound_ctrl:1
	v_cvt_i32_f32_e32 v14, v9
	v_add_f32_e32 v12, v12, v13
	v_cvt_i32_f32_e32 v13, v12
	v_add_f32_e32 v11, v10, v11
	v_cvt_i32_f32_e32 v16, v11
	v_mov_b32_dpp v10, v15 row_bcast:31 row_mask:0xf bank_mask:0xf bound_ctrl:1
	v_cvt_f32_i32_dpp v13, v13 row_shr:1 row_mask:0xf bank_mask:0xf bound_ctrl:1
	v_cvt_f32_i32_dpp v14, v14 row_bcast:15 row_mask:0xf bank_mask:0xf bound_ctrl:1
	v_cvt_f32_i32_dpp v15, v16 row_shr:2 row_mask:0xf bank_mask:0xf bound_ctrl:1
	v_add_f32_e32 v13, v12, v13
	v_cvt_i32_f32_e32 v12, v73
	v_add_f32_e32 v11, v11, v15
	v_add_f32_e32 v9, v9, v14
	v_cvt_i32_f32_e32 v14, v11
	v_cvt_f32_i32_dpp v12, v12 row_shr:8 row_mask:0xf bank_mask:0xf bound_ctrl:1
	v_cvt_i32_f32_e32 v15, v13
	v_cvt_i32_f32_e32 v16, v9
	v_cvt_f32_i32_dpp v14, v14 row_shr:1 row_mask:0xf bank_mask:0xf bound_ctrl:1
	v_add_f32_e32 v17, v73, v12
	v_cvt_i32_f32_e32 v18, v17
	v_cvt_f32_i32_dpp v15, v15 row_bcast:15 row_mask:0xf bank_mask:0xf bound_ctrl:1
	v_add_f32_e32 v14, v11, v14
	v_mov_b32_dpp v12, v16 row_bcast:31 row_mask:0xf bank_mask:0xf bound_ctrl:1
	v_cvt_f32_i32_dpp v16, v18 row_shr:4 row_mask:0xf bank_mask:0xf bound_ctrl:1
	v_cvt_i32_f32_e32 v19, v14
	v_add_f32_e32 v11, v13, v15
	v_cvt_i32_f32_e32 v15, v72
	v_add_f32_e32 v16, v17, v16
	v_cvt_f32_i32_dpp v13, v19 row_bcast:15 row_mask:0xf bank_mask:0xf bound_ctrl:1
	v_cvt_i32_f32_e32 v17, v16
	v_cvt_f32_i32_dpp v15, v15 row_shr:8 row_mask:0xf bank_mask:0xf bound_ctrl:1
	v_cvt_i32_f32_e32 v18, v11
	v_add_f32_e32 v13, v14, v13
	v_cvt_f32_i32_dpp v14, v17 row_shr:2 row_mask:0xf bank_mask:0xf bound_ctrl:1
	v_add_f32_e32 v19, v72, v15
	v_cvt_i32_f32_e32 v15, v19
	v_cvt_i32_f32_e32 v17, v13
	v_add_f32_e32 v16, v16, v14
	v_cvt_i32_f32_e32 v20, v16
	v_mov_b32_dpp v14, v18 row_bcast:31 row_mask:0xf bank_mask:0xf bound_ctrl:1
	v_cvt_f32_i32_dpp v18, v15 row_shr:4 row_mask:0xf bank_mask:0xf bound_ctrl:1
	v_mov_b32_dpp v15, v17 row_bcast:31 row_mask:0xf bank_mask:0xf bound_ctrl:1
	v_cvt_f32_i32_dpp v17, v20 row_shr:1 row_mask:0xf bank_mask:0xf bound_ctrl:1
	v_cvt_i32_f32_e32 v20, v71
	v_add_f32_e32 v18, v19, v18
	v_cvt_i32_f32_e32 v19, v49
	v_add_f32_e32 v16, v16, v17
	v_cvt_f32_i32_dpp v20, v20 row_shr:8 row_mask:0xf bank_mask:0xf bound_ctrl:1
	v_cvt_i32_f32_e32 v21, v18
	v_cvt_f32_i32_dpp v17, v19 row_shr:8 row_mask:0xf bank_mask:0xf bound_ctrl:1
	v_cvt_i32_f32_e32 v23, v16
	v_add_f32_e32 v20, v71, v20
	v_cvt_f32_i32_dpp v19, v21 row_shr:2 row_mask:0xf bank_mask:0xf bound_ctrl:1
	v_add_f32_e32 v17, v49, v17
	v_cvt_i32_f32_e32 v21, v20
	v_cvt_i32_f32_e32 v22, v17
	v_add_f32_e32 v18, v18, v19
	v_cvt_f32_i32_dpp v23, v23 row_bcast:15 row_mask:0xf bank_mask:0xf bound_ctrl:1
	v_cvt_f32_i32_dpp v21, v21 row_shr:4 row_mask:0xf bank_mask:0xf bound_ctrl:1
	v_cvt_f32_i32_dpp v19, v22 row_shr:4 row_mask:0xf bank_mask:0xf bound_ctrl:1
	v_cvt_i32_f32_e32 v22, v18
	v_add_f32_e32 v16, v16, v23
	v_add_f32_e32 v20, v20, v21
	;; [unrolled: 1-line block ×3, first 2 shown]
	v_cvt_i32_f32_e32 v21, v20
	v_cvt_i32_f32_e32 v19, v17
	v_cvt_f32_i32_dpp v22, v22 row_shr:1 row_mask:0xf bank_mask:0xf bound_ctrl:1
	v_cvt_i32_f32_e32 v24, v16
	v_cvt_f32_i32_dpp v21, v21 row_shr:2 row_mask:0xf bank_mask:0xf bound_ctrl:1
	v_cvt_f32_i32_dpp v19, v19 row_shr:2 row_mask:0xf bank_mask:0xf bound_ctrl:1
	v_add_f32_e32 v18, v18, v22
	v_cvt_i32_f32_e32 v22, v18
	v_add_f32_e32 v20, v20, v21
	v_add_f32_e32 v17, v17, v19
	v_cvt_i32_f32_e32 v21, v20
	v_cvt_i32_f32_e32 v19, v17
	v_cvt_f32_i32_dpp v22, v22 row_bcast:15 row_mask:0xf bank_mask:0xf bound_ctrl:1
	v_cvt_f32_i32_dpp v21, v21 row_shr:1 row_mask:0xf bank_mask:0xf bound_ctrl:1
	v_cvt_f32_i32_dpp v19, v19 row_shr:1 row_mask:0xf bank_mask:0xf bound_ctrl:1
	v_add_f32_e32 v20, v20, v21
	v_add_f32_e32 v19, v17, v19
	v_cvt_i32_f32_e32 v21, v20
	v_cvt_i32_f32_e32 v23, v19
	v_add_f32_e32 v17, v18, v22
	v_cvt_i32_f32_e32 v25, v17
	v_cvt_f32_i32_dpp v21, v21 row_bcast:15 row_mask:0xf bank_mask:0xf bound_ctrl:1
	v_cvt_f32_i32_dpp v22, v23 row_bcast:15 row_mask:0xf bank_mask:0xf bound_ctrl:1
	v_mov_b32_dpp v23, v24 row_bcast:31 row_mask:0xf bank_mask:0xf bound_ctrl:1
	v_add_f32_e32 v18, v20, v21
	v_add_f32_e32 v19, v19, v22
	v_cvt_i32_f32_e32 v20, v18
	v_cvt_i32_f32_e32 v26, v19
	v_mov_b32_dpp v22, v25 row_bcast:31 row_mask:0xf bank_mask:0xf bound_ctrl:1
	v_mov_b32_dpp v21, v20 row_bcast:31 row_mask:0xf bank_mask:0xf bound_ctrl:1
	v_mov_b32_dpp v20, v26 row_bcast:31 row_mask:0xf bank_mask:0xf bound_ctrl:1
	s_and_saveexec_b64 s[20:21], s[0:1]
	s_cbranch_execz .LBB95_7
; %bb.16:                               ;   in Loop: Header=BB95_8 Depth=1
	s_and_b64 vcc, exec, s[18:19]
	s_cbranch_vccz .LBB95_18
; %bb.17:                               ;   in Loop: Header=BB95_8 Depth=1
	v_mul_hi_u32 v24, v48, v69
	v_mul_lo_u32 v24, v24, s8
	v_sub_u32_e32 v24, v48, v24
	v_subrev_u32_e32 v25, s8, v24
	v_cmp_le_u32_e32 vcc, s8, v24
	v_mov_b32_e32 v27, v51
	v_mov_b32_e32 v31, v51
	v_cndmask_b32_e32 v24, v24, v25, vcc
	v_subrev_u32_e32 v25, s8, v24
	v_cmp_le_u32_e32 vcc, s8, v24
	v_mov_b32_e32 v41, v51
	v_mov_b32_e32 v49, v51
	v_cndmask_b32_e32 v50, v24, v25, vcc
	v_or_b32_e32 v24, 1, v48
	v_mul_hi_u32 v25, v24, v69
	v_mul_lo_u32 v25, v25, s8
	v_sub_u32_e32 v24, v24, v25
	v_subrev_u32_e32 v25, s8, v24
	v_cmp_le_u32_e32 vcc, s8, v24
	v_add_u32_e32 v30, s26, v50
	v_lshl_add_u64 v[44:45], v[30:31], 1, s[10:11]
	v_cndmask_b32_e32 v24, v24, v25, vcc
	v_subrev_u32_e32 v25, s8, v24
	v_cmp_le_u32_e32 vcc, s8, v24
	v_lshl_add_u64 v[28:29], v[50:51], 1, s[10:11]
	v_add_u32_e32 v50, s27, v50
	v_cndmask_b32_e32 v24, v24, v25, vcc
	v_mov_b32_e32 v25, v51
	v_lshl_add_u64 v[36:37], v[24:25], 1, s[10:11]
	v_or_b32_e32 v25, 2, v48
	v_mul_hi_u32 v26, v25, v69
	v_mul_lo_u32 v26, v26, s8
	v_sub_u32_e32 v25, v25, v26
	v_subrev_u32_e32 v26, s8, v25
	v_cmp_le_u32_e32 vcc, s8, v25
	v_add_u32_e32 v30, s26, v24
	v_lshl_add_u64 v[46:47], v[30:31], 1, s[10:11]
	v_cndmask_b32_e32 v25, v25, v26, vcc
	v_subrev_u32_e32 v26, s8, v25
	v_cmp_le_u32_e32 vcc, s8, v25
	s_nop 1
	v_cndmask_b32_e32 v26, v25, v26, vcc
	v_or_b32_e32 v25, 3, v48
	v_lshl_add_u64 v[38:39], v[26:27], 1, s[10:11]
	v_mul_hi_u32 v27, v25, v69
	v_mul_lo_u32 v27, v27, s8
	v_sub_u32_e32 v25, v25, v27
	v_subrev_u32_e32 v27, s8, v25
	v_cmp_le_u32_e32 vcc, s8, v25
	v_add_u32_e32 v30, s26, v26
	v_lshl_add_u64 v[52:53], v[30:31], 1, s[10:11]
	v_cndmask_b32_e32 v25, v25, v27, vcc
	v_subrev_u32_e32 v27, s8, v25
	v_cmp_le_u32_e32 vcc, s8, v25
	s_nop 1
	v_cndmask_b32_e32 v40, v25, v27, vcc
	v_add_u32_e32 v30, s26, v40
	v_lshl_add_u64 v[42:43], v[40:41], 1, s[10:11]
	v_lshl_add_u64 v[54:55], v[30:31], 1, s[10:11]
	global_load_ushort v35, v[28:29], off
	global_load_ushort v34, v[36:37], off
	;; [unrolled: 1-line block ×8, first 2 shown]
	v_lshl_add_u64 v[36:37], v[50:51], 1, s[10:11]
	v_add_u32_e32 v50, s27, v24
	v_lshl_add_u64 v[38:39], v[50:51], 1, s[10:11]
	v_add_u32_e32 v50, s27, v26
	;; [unrolled: 2-line block ×3, first 2 shown]
	v_lshl_add_u64 v[40:41], v[50:51], 1, s[10:11]
	global_load_ushort v29, v[36:37], off
	global_load_ushort v28, v[38:39], off
	;; [unrolled: 1-line block ×4, first 2 shown]
	s_cbranch_execnz .LBB95_6
	s_branch .LBB95_19
.LBB95_18:                              ;   in Loop: Header=BB95_8 Depth=1
                                        ; implicit-def: $vgpr24
                                        ; implicit-def: $vgpr26
                                        ; implicit-def: $vgpr28
                                        ; implicit-def: $vgpr29
                                        ; implicit-def: $vgpr25
                                        ; implicit-def: $vgpr27
                                        ; implicit-def: $vgpr30
                                        ; implicit-def: $vgpr31
                                        ; implicit-def: $vgpr32
                                        ; implicit-def: $vgpr33
                                        ; implicit-def: $vgpr34
                                        ; implicit-def: $vgpr35
.LBB95_19:                              ;   in Loop: Header=BB95_8 Depth=1
	v_mov_b32_e32 v49, v51
	s_waitcnt vmcnt(11)
	v_mov_b32_e32 v35, 0
	s_waitcnt vmcnt(10)
	;; [unrolled: 2-line block ×12, first 2 shown]
	v_mov_b32_e32 v24, 0
	s_branch .LBB95_6
.LBB95_20:
	s_endpgm
	.section	.rodata,"a",@progbits
	.p2align	6, 0x0
	.amdhsa_kernel _Z16wvSplitK_hf_sml_I6__halfLi64ELi4ELi16ELi8ELi2ELi3EEviiiiiiPKT_S3_S3_PS1_ii
		.amdhsa_group_segment_fixed_size 65536
		.amdhsa_private_segment_fixed_size 0
		.amdhsa_kernarg_size 64
		.amdhsa_user_sgpr_count 2
		.amdhsa_user_sgpr_dispatch_ptr 0
		.amdhsa_user_sgpr_queue_ptr 0
		.amdhsa_user_sgpr_kernarg_segment_ptr 1
		.amdhsa_user_sgpr_dispatch_id 0
		.amdhsa_user_sgpr_kernarg_preload_length 0
		.amdhsa_user_sgpr_kernarg_preload_offset 0
		.amdhsa_user_sgpr_private_segment_size 0
		.amdhsa_uses_dynamic_stack 0
		.amdhsa_enable_private_segment 0
		.amdhsa_system_sgpr_workgroup_id_x 1
		.amdhsa_system_sgpr_workgroup_id_y 0
		.amdhsa_system_sgpr_workgroup_id_z 0
		.amdhsa_system_sgpr_workgroup_info 0
		.amdhsa_system_vgpr_workitem_id 1
		.amdhsa_next_free_vgpr 85
		.amdhsa_next_free_sgpr 30
		.amdhsa_accum_offset 88
		.amdhsa_reserve_vcc 1
		.amdhsa_float_round_mode_32 0
		.amdhsa_float_round_mode_16_64 0
		.amdhsa_float_denorm_mode_32 3
		.amdhsa_float_denorm_mode_16_64 3
		.amdhsa_dx10_clamp 1
		.amdhsa_ieee_mode 1
		.amdhsa_fp16_overflow 0
		.amdhsa_tg_split 0
		.amdhsa_exception_fp_ieee_invalid_op 0
		.amdhsa_exception_fp_denorm_src 0
		.amdhsa_exception_fp_ieee_div_zero 0
		.amdhsa_exception_fp_ieee_overflow 0
		.amdhsa_exception_fp_ieee_underflow 0
		.amdhsa_exception_fp_ieee_inexact 0
		.amdhsa_exception_int_div_zero 0
	.end_amdhsa_kernel
	.section	.text._Z16wvSplitK_hf_sml_I6__halfLi64ELi4ELi16ELi8ELi2ELi3EEviiiiiiPKT_S3_S3_PS1_ii,"axG",@progbits,_Z16wvSplitK_hf_sml_I6__halfLi64ELi4ELi16ELi8ELi2ELi3EEviiiiiiPKT_S3_S3_PS1_ii,comdat
.Lfunc_end95:
	.size	_Z16wvSplitK_hf_sml_I6__halfLi64ELi4ELi16ELi8ELi2ELi3EEviiiiiiPKT_S3_S3_PS1_ii, .Lfunc_end95-_Z16wvSplitK_hf_sml_I6__halfLi64ELi4ELi16ELi8ELi2ELi3EEviiiiiiPKT_S3_S3_PS1_ii
                                        ; -- End function
	.section	.AMDGPU.csdata,"",@progbits
; Kernel info:
; codeLenInByte = 4188
; NumSgprs: 36
; NumVgprs: 85
; NumAgprs: 0
; TotalNumVgprs: 85
; ScratchSize: 0
; MemoryBound: 0
; FloatMode: 240
; IeeeMode: 1
; LDSByteSize: 65536 bytes/workgroup (compile time only)
; SGPRBlocks: 4
; VGPRBlocks: 10
; NumSGPRsForWavesPerEU: 36
; NumVGPRsForWavesPerEU: 85
; AccumOffset: 88
; Occupancy: 4
; WaveLimiterHint : 0
; COMPUTE_PGM_RSRC2:SCRATCH_EN: 0
; COMPUTE_PGM_RSRC2:USER_SGPR: 2
; COMPUTE_PGM_RSRC2:TRAP_HANDLER: 0
; COMPUTE_PGM_RSRC2:TGID_X_EN: 1
; COMPUTE_PGM_RSRC2:TGID_Y_EN: 0
; COMPUTE_PGM_RSRC2:TGID_Z_EN: 0
; COMPUTE_PGM_RSRC2:TIDIG_COMP_CNT: 1
; COMPUTE_PGM_RSRC3_GFX90A:ACCUM_OFFSET: 21
; COMPUTE_PGM_RSRC3_GFX90A:TG_SPLIT: 0
	.section	.text._Z12wvSplitK_hf_I6__halfLi64ELi4ELi16ELi8ELi2ELi3EEviiiiiiPKT_S3_S3_PS1_ii,"axG",@progbits,_Z12wvSplitK_hf_I6__halfLi64ELi4ELi16ELi8ELi2ELi3EEviiiiiiPKT_S3_S3_PS1_ii,comdat
	.protected	_Z12wvSplitK_hf_I6__halfLi64ELi4ELi16ELi8ELi2ELi3EEviiiiiiPKT_S3_S3_PS1_ii ; -- Begin function _Z12wvSplitK_hf_I6__halfLi64ELi4ELi16ELi8ELi2ELi3EEviiiiiiPKT_S3_S3_PS1_ii
	.globl	_Z12wvSplitK_hf_I6__halfLi64ELi4ELi16ELi8ELi2ELi3EEviiiiiiPKT_S3_S3_PS1_ii
	.p2align	8
	.type	_Z12wvSplitK_hf_I6__halfLi64ELi4ELi16ELi8ELi2ELi3EEviiiiiiPKT_S3_S3_PS1_ii,@function
_Z12wvSplitK_hf_I6__halfLi64ELi4ELi16ELi8ELi2ELi3EEviiiiiiPKT_S3_S3_PS1_ii: ; @_Z12wvSplitK_hf_I6__halfLi64ELi4ELi16ELi8ELi2ELi3EEviiiiiiPKT_S3_S3_PS1_ii
; %bb.0:
	s_load_dwordx2 s[8:9], s[0:1], 0x38
	s_load_dwordx4 s[12:15], s[0:1], 0x0
	s_load_dwordx2 s[10:11], s[0:1], 0x10
	v_bfe_u32 v7, v0, 10, 10
	s_mov_b32 s4, 1
	s_waitcnt lgkmcnt(0)
	s_mul_i32 s2, s2, s8
	v_add_lshl_u32 v62, s2, v7, 2
	v_add_u32_e32 v1, 4, v62
	s_mov_b32 s5, s4
	v_cmp_gt_u32_e32 vcc, s15, v62
	v_cmp_le_u32_e64 s[2:3], s15, v1
	s_mov_b32 s6, s4
	s_mov_b32 s7, s4
	v_mov_b64_e32 v[2:3], s[4:5]
	s_and_b64 s[16:17], vcc, s[2:3]
	v_mov_b64_e32 v[4:5], s[6:7]
	s_and_saveexec_b64 s[2:3], s[16:17]
	s_cbranch_execz .LBB96_6
; %bb.1:
	s_add_i32 s22, s15, -4
	v_mov_b64_e32 v[2:3], s[4:5]
	v_cmp_ne_u32_e32 vcc, s22, v62
	v_mov_b64_e32 v[4:5], s[6:7]
	s_and_saveexec_b64 s[16:17], vcc
	s_cbranch_execz .LBB96_5
; %bb.2:
	v_subrev_u32_e32 v1, s22, v62
	v_cmp_lt_u32_e32 vcc, 1, v1
	s_mov_b64 s[18:19], 0
	s_mov_b64 s[20:21], 0
	v_cndmask_b32_e32 v6, 1, v1, vcc
	s_mov_b32 s5, s4
	s_mov_b32 s6, s4
	;; [unrolled: 1-line block ×3, first 2 shown]
.LBB96_3:                               ; =>This Inner Loop Header: Depth=1
	s_cmp_lg_u32 s20, 3
	s_cselect_b32 s7, s7, 0
	s_cmp_lg_u32 s20, 2
	s_cselect_b32 s6, s6, 0
	;; [unrolled: 2-line block ×4, first 2 shown]
	s_add_u32 s20, s20, 1
	s_addc_u32 s21, s21, 0
	v_cmp_eq_u32_e32 vcc, s20, v6
	v_mov_b64_e32 v[2:3], s[4:5]
	s_or_b64 s[18:19], vcc, s[18:19]
	v_mov_b64_e32 v[4:5], s[6:7]
	s_andn2_b64 exec, exec, s[18:19]
	s_cbranch_execnz .LBB96_3
; %bb.4:
	s_or_b64 exec, exec, s[18:19]
	v_mov_b32_e32 v62, s22
.LBB96_5:
	s_or_b64 exec, exec, s[16:17]
.LBB96_6:
	s_or_b64 exec, exec, s[2:3]
	s_load_dwordx4 s[16:19], s[0:1], 0x20
	v_and_b32_e32 v6, 0x3ff, v0
	v_lshlrev_b32_e32 v82, 3, v6
	s_mul_i32 s2, s14, 3
	v_lshl_add_u32 v8, v7, 9, v82
	s_min_u32 s20, s2, 0x8000
	v_cmp_gt_u32_e32 vcc, s20, v8
	s_and_saveexec_b64 s[2:3], vcc
	s_cbranch_execz .LBB96_9
; %bb.7:
	v_mov_b32_e32 v11, 0
	v_lshlrev_b32_e32 v10, 10, v7
	v_lshlrev_b32_e32 v12, 4, v6
	v_mov_b32_e32 v13, v11
	v_lshl_add_u64 v[0:1], v[10:11], 0, v[12:13]
	s_waitcnt lgkmcnt(0)
	v_lshl_add_u64 v[0:1], s[16:17], 0, v[0:1]
	v_add_u32_e32 v9, v10, v12
	s_mov_b64 s[4:5], 0
	s_mov_b64 s[6:7], 0x4000
.LBB96_8:                               ; =>This Inner Loop Header: Depth=1
	global_load_dwordx4 v[10:13], v[0:1], off
	v_add_u32_e32 v8, 0x2000, v8
	v_cmp_le_u32_e32 vcc, s20, v8
	v_lshl_add_u64 v[0:1], v[0:1], 0, s[6:7]
	s_or_b64 s[4:5], vcc, s[4:5]
	s_waitcnt vmcnt(0)
	ds_write_b128 v9, v[10:13]
	v_add_u32_e32 v9, 0x4000, v9
	s_andn2_b64 exec, exec, s[4:5]
	s_cbranch_execnz .LBB96_8
.LBB96_9:
	s_or_b64 exec, exec, s[2:3]
	v_cmp_gt_u32_e32 vcc, s8, v7
	v_cmp_gt_u32_e64 s[2:3], s15, v62
	s_and_b64 s[2:3], vcc, s[2:3]
	s_waitcnt lgkmcnt(0)
	s_barrier
	s_and_saveexec_b64 s[4:5], s[2:3]
	s_cbranch_execz .LBB96_76
; %bb.10:
	s_cmp_lg_u32 s12, 0
	s_cselect_b64 s[2:3], -1, 0
	s_add_i32 s33, s12, -8
	s_add_i32 s36, s15, -1
	s_mul_i32 s4, s8, s9
	s_cmp_lg_u64 s[18:19], 0
	s_cselect_b64 s[26:27], -1, 0
	s_lshl_b32 s37, s4, 2
	s_abs_i32 s4, s11
	v_cvt_f32_u32_e32 v0, s10
	v_cvt_f32_u32_e32 v1, s4
	s_sub_i32 s5, 0, s10
	s_add_i32 s11, s15, -4
	v_rcp_iflag_f32_e32 v0, v0
	v_rcp_iflag_f32_e32 v1, v1
	s_load_dwordx2 s[20:21], s[0:1], 0x18
	s_load_dwordx2 s[22:23], s[0:1], 0x30
	v_cmp_eq_u32_e64 s[0:1], 63, v6
	v_mul_f32_e32 v0, 0x4f7ffffe, v0
	v_mul_f32_e32 v1, 0x4f7ffffe, v1
	v_cvt_u32_f32_e32 v0, v0
	v_cvt_u32_f32_e32 v8, v1
	s_mov_b64 s[24:25], 0
	v_mov_b32_e32 v1, 0
	v_mul_lo_u32 v7, s5, v0
	s_sub_i32 s5, 0, s4
	v_readfirstlane_b32 s6, v8
	s_mul_i32 s5, s5, s6
	s_mul_hi_u32 s5, s6, s5
	s_add_i32 s6, s6, s5
	s_sub_i32 s5, 1, s4
	s_cmp_lt_u32 s4, 2
	s_cselect_b32 s5, s5, 1
	s_sub_i32 s7, s5, s4
	s_cmp_ge_u32 s5, s4
	s_cselect_b32 s38, s7, s5
	s_lshr_b32 s5, s6, 31
	s_mul_i32 s5, s5, s4
	s_sub_i32 s5, 2, s5
	s_sub_i32 s6, s5, s4
	s_cmp_ge_u32 s5, s4
	s_cselect_b32 s5, s6, s5
	s_sub_i32 s6, s5, s4
	v_mul_hi_u32 v7, v0, v7
	s_cmp_ge_u32 s5, s4
	v_add_u32_e32 v83, v0, v7
	s_cselect_b32 s39, s6, s5
	s_lshl_b32 s40, s14, 1
	v_cndmask_b32_e64 v0, 0, 1, s[2:3]
	s_mul_i32 s38, s38, s10
	s_mul_i32 s39, s39, s10
	v_lshlrev_b32_e32 v84, 4, v6
	s_lshl_b32 s41, s14, 2
	v_add_u32_e32 v85, s40, v82
	v_add_u32_e32 v86, s14, v82
	v_cmp_ne_u32_e64 s[2:3], 1, v0
	s_movk_i32 s14, 0x7fff
	s_mov_b32 s28, 0
	s_branch .LBB96_13
.LBB96_11:                              ;   in Loop: Header=BB96_13 Depth=1
	s_or_b64 exec, exec, s[8:9]
	v_mov_b32_e32 v62, s11
.LBB96_12:                              ;   in Loop: Header=BB96_13 Depth=1
	s_or_b64 exec, exec, s[6:7]
	v_cmp_le_u32_e32 vcc, s15, v62
	s_or_b64 s[24:25], vcc, s[24:25]
	s_andn2_b64 exec, exec, s[24:25]
	s_cbranch_execz .LBB96_76
.LBB96_13:                              ; =>This Loop Header: Depth=1
                                        ;     Child Loop BB96_18 Depth 2
                                        ;     Child Loop BB96_63 Depth 2
	s_and_b64 vcc, exec, s[2:3]
	v_add_u32_e32 v68, 1, v62
	v_add_u32_e32 v66, 2, v62
	;; [unrolled: 1-line block ×3, first 2 shown]
	v_mov_b32_e32 v94, v1
	v_mov_b32_e32 v93, v1
	v_mov_b32_e32 v92, v1
	v_mov_b32_e32 v91, v1
	v_mov_b32_e32 v90, v1
	v_mov_b32_e32 v89, v1
	v_mov_b32_e32 v88, v1
	v_mov_b32_e32 v87, v1
	v_mov_b32_e32 v63, v1
	v_mov_b32_e32 v65, v1
	v_mov_b32_e32 v67, v1
	v_mov_b32_e32 v69, v1
	s_cbranch_vccnz .LBB96_44
; %bb.14:                               ;   in Loop: Header=BB96_13 Depth=1
	v_min_u32_e32 v0, s36, v62
	v_min_u32_e32 v6, s36, v68
	;; [unrolled: 1-line block ×4, first 2 shown]
	v_mul_lo_u32 v0, v0, s13
	v_mul_lo_u32 v6, v6, s13
	v_mov_b32_e32 v7, v1
	v_mul_lo_u32 v8, v8, s13
	v_mov_b32_e32 v9, v1
	;; [unrolled: 2-line block ×3, first 2 shown]
	v_mov_b32_e32 v69, 0
	v_lshlrev_b64 v[70:71], 1, v[0:1]
	v_lshlrev_b64 v[72:73], 1, v[6:7]
	;; [unrolled: 1-line block ×4, first 2 shown]
	v_mov_b32_e32 v95, v84
	v_mov_b32_e32 v67, 0
	;; [unrolled: 1-line block ×12, first 2 shown]
	s_mov_b32 s30, s28
	s_branch .LBB96_18
.LBB96_15:                              ;   in Loop: Header=BB96_18 Depth=2
	s_or_b64 exec, exec, s[8:9]
.LBB96_16:                              ;   in Loop: Header=BB96_18 Depth=2
	s_or_b64 exec, exec, s[6:7]
.LBB96_17:                              ;   in Loop: Header=BB96_18 Depth=2
	s_or_b64 exec, exec, s[4:5]
	s_waitcnt vmcnt(0) lgkmcnt(0)
	;;#ASMSTART
	v_dot2c_f32_f16 v94, v46, v34
	;;#ASMEND
	;;#ASMSTART
	v_dot2c_f32_f16 v93, v46, v30
	;;#ASMEND
	;;#ASMSTART
	v_dot2c_f32_f16 v92, v46, v26
	;;#ASMEND
	;;#ASMSTART
	v_dot2c_f32_f16 v91, v46, v22
	;;#ASMEND
	;;#ASMSTART
	v_dot2c_f32_f16 v90, v42, v34
	;;#ASMEND
	;;#ASMSTART
	v_dot2c_f32_f16 v89, v42, v30
	;;#ASMEND
	;;#ASMSTART
	v_dot2c_f32_f16 v88, v42, v26
	;;#ASMEND
	;;#ASMSTART
	v_dot2c_f32_f16 v87, v42, v22
	;;#ASMEND
	;;#ASMSTART
	v_dot2c_f32_f16 v69, v38, v34
	;;#ASMEND
	;;#ASMSTART
	v_dot2c_f32_f16 v67, v38, v30
	;;#ASMEND
	;;#ASMSTART
	v_dot2c_f32_f16 v65, v38, v26
	;;#ASMEND
	;;#ASMSTART
	v_dot2c_f32_f16 v63, v38, v22
	;;#ASMEND
	s_nop 0
	;;#ASMSTART
	v_dot2c_f32_f16 v94, v47, v35
	;;#ASMEND
	;;#ASMSTART
	v_dot2c_f32_f16 v93, v47, v31
	;;#ASMEND
	;;#ASMSTART
	v_dot2c_f32_f16 v92, v47, v27
	;;#ASMEND
	;;#ASMSTART
	v_dot2c_f32_f16 v91, v47, v23
	;;#ASMEND
	;;#ASMSTART
	v_dot2c_f32_f16 v90, v43, v35
	;;#ASMEND
	;;#ASMSTART
	v_dot2c_f32_f16 v89, v43, v31
	;;#ASMEND
	;;#ASMSTART
	v_dot2c_f32_f16 v88, v43, v27
	;;#ASMEND
	;;#ASMSTART
	v_dot2c_f32_f16 v87, v43, v23
	;;#ASMEND
	;;#ASMSTART
	v_dot2c_f32_f16 v69, v39, v35
	;;#ASMEND
	;;#ASMSTART
	v_dot2c_f32_f16 v67, v39, v31
	;;#ASMEND
	;;#ASMSTART
	v_dot2c_f32_f16 v65, v39, v27
	;;#ASMEND
	;;#ASMSTART
	v_dot2c_f32_f16 v63, v39, v23
	;;#ASMEND
	s_nop 0
	;; [unrolled: 37-line block ×5, first 2 shown]
	;;#ASMSTART
	v_dot2c_f32_f16 v94, v59, v19
	;;#ASMEND
	;;#ASMSTART
	v_dot2c_f32_f16 v93, v59, v15
	;;#ASMEND
	;; [unrolled: 3-line block ×12, first 2 shown]
	s_addk_i32 s30, 0x400
	;;#ASMSTART
	v_dot2c_f32_f16 v94, v60, v20
	;;#ASMEND
	;;#ASMSTART
	v_dot2c_f32_f16 v93, v60, v16
	;;#ASMEND
	;;#ASMSTART
	v_dot2c_f32_f16 v92, v60, v12
	;;#ASMEND
	;;#ASMSTART
	v_dot2c_f32_f16 v91, v60, v8
	;;#ASMEND
	;;#ASMSTART
	v_dot2c_f32_f16 v90, v56, v20
	;;#ASMEND
	;;#ASMSTART
	v_dot2c_f32_f16 v89, v56, v16
	;;#ASMEND
	;;#ASMSTART
	v_dot2c_f32_f16 v88, v56, v12
	;;#ASMEND
	;;#ASMSTART
	v_dot2c_f32_f16 v87, v56, v8
	;;#ASMEND
	;;#ASMSTART
	v_dot2c_f32_f16 v69, v52, v20
	;;#ASMEND
	;;#ASMSTART
	v_dot2c_f32_f16 v67, v52, v16
	;;#ASMEND
	;;#ASMSTART
	v_dot2c_f32_f16 v65, v52, v12
	;;#ASMEND
	;;#ASMSTART
	v_dot2c_f32_f16 v63, v52, v8
	;;#ASMEND
	s_cmp_ge_u32 s30, s12
	v_add_u32_e32 v95, 0x800, v95
	;;#ASMSTART
	v_dot2c_f32_f16 v94, v61, v21
	;;#ASMEND
	;;#ASMSTART
	v_dot2c_f32_f16 v93, v61, v17
	;;#ASMEND
	;; [unrolled: 3-line block ×12, first 2 shown]
	s_cbranch_scc1 .LBB96_44
.LBB96_18:                              ;   Parent Loop BB96_13 Depth=1
                                        ; =>  This Inner Loop Header: Depth=2
	v_add_u32_e32 v80, s30, v82
	v_min_u32_e32 v0, s33, v80
	s_waitcnt lgkmcnt(0)
	v_lshl_add_u64 v[6:7], v[0:1], 1, s[20:21]
	v_lshl_add_u64 v[8:9], v[6:7], 0, v[70:71]
	v_add_u32_e32 v78, 0x200, v80
	v_lshl_add_u64 v[10:11], v[6:7], 0, v[72:73]
	global_load_dwordx4 v[34:37], v[8:9], off nt
	global_load_dwordx4 v[30:33], v[10:11], off nt
	v_lshl_add_u64 v[8:9], v[6:7], 0, v[74:75]
	v_lshl_add_u64 v[6:7], v[6:7], 0, v[76:77]
	v_min_u32_e32 v0, s33, v78
	global_load_dwordx4 v[26:29], v[8:9], off nt
	global_load_dwordx4 v[22:25], v[6:7], off nt
	v_lshl_add_u64 v[6:7], v[0:1], 1, s[20:21]
	v_lshl_add_u64 v[8:9], v[6:7], 0, v[70:71]
	;; [unrolled: 1-line block ×3, first 2 shown]
	global_load_dwordx4 v[18:21], v[8:9], off nt
	global_load_dwordx4 v[14:17], v[10:11], off nt
	v_lshl_add_u64 v[8:9], v[6:7], 0, v[74:75]
	v_lshl_add_u64 v[6:7], v[6:7], 0, v[76:77]
	global_load_dwordx4 v[10:13], v[8:9], off nt
	s_nop 0
	global_load_dwordx4 v[6:9], v[6:7], off nt
	s_mov_b32 s29, s28
	v_cmp_gt_u32_e32 vcc, s12, v80
	v_mov_b64_e32 v[56:57], s[28:29]
	v_mov_b32_e32 v53, 0
	v_mov_b32_e32 v52, 0
	;; [unrolled: 1-line block ×4, first 2 shown]
	v_mov_b64_e32 v[54:55], s[28:29]
	v_mov_b64_e32 v[60:61], s[28:29]
	;; [unrolled: 1-line block ×3, first 2 shown]
	s_waitcnt vmcnt(18)
	v_mov_b64_e32 v[40:41], s[28:29]
	s_waitcnt vmcnt(16)
	v_mov_b64_e32 v[38:39], s[28:29]
	v_mov_b64_e32 v[44:45], s[28:29]
	;; [unrolled: 1-line block ×5, first 2 shown]
	s_and_saveexec_b64 s[4:5], vcc
	s_cbranch_execz .LBB96_17
; %bb.19:                               ;   in Loop: Header=BB96_18 Depth=2
	v_cmp_lt_u32_e32 vcc, s14, v80
                                        ; implicit-def: $vgpr48_vgpr49
	s_and_saveexec_b64 s[6:7], vcc
	s_xor_b64 s[6:7], exec, s[6:7]
	s_cbranch_execz .LBB96_21
; %bb.20:                               ;   in Loop: Header=BB96_18 Depth=2
	v_mov_b32_e32 v81, v1
	v_lshl_add_u64 v[38:39], v[80:81], 1, s[16:17]
	global_load_dwordx4 v[46:49], v[38:39], off
.LBB96_21:                              ;   in Loop: Header=BB96_18 Depth=2
	s_andn2_saveexec_b64 s[6:7], s[6:7]
	s_cbranch_execz .LBB96_23
; %bb.22:                               ;   in Loop: Header=BB96_18 Depth=2
	s_waitcnt vmcnt(0)
	ds_read_b128 v[46:49], v95
.LBB96_23:                              ;   in Loop: Header=BB96_18 Depth=2
	s_or_b64 exec, exec, s[6:7]
	v_add_u32_e32 v0, s30, v86
	v_cmp_lt_u32_e32 vcc, s14, v0
                                        ; implicit-def: $vgpr44_vgpr45
	s_and_saveexec_b64 s[6:7], vcc
	s_xor_b64 s[6:7], exec, s[6:7]
	s_cbranch_execz .LBB96_25
; %bb.24:                               ;   in Loop: Header=BB96_18 Depth=2
	v_lshl_add_u64 v[38:39], v[0:1], 1, s[16:17]
	global_load_dwordx4 v[42:45], v[38:39], off
.LBB96_25:                              ;   in Loop: Header=BB96_18 Depth=2
	s_andn2_saveexec_b64 s[6:7], s[6:7]
	s_cbranch_execz .LBB96_27
; %bb.26:                               ;   in Loop: Header=BB96_18 Depth=2
	v_add_u32_e32 v38, s40, v95
	s_waitcnt vmcnt(0)
	ds_read_b128 v[42:45], v38
.LBB96_27:                              ;   in Loop: Header=BB96_18 Depth=2
	s_or_b64 exec, exec, s[6:7]
	v_add_u32_e32 v80, s30, v85
	v_cmp_lt_u32_e32 vcc, s14, v80
                                        ; implicit-def: $vgpr40_vgpr41
	s_and_saveexec_b64 s[6:7], vcc
	s_xor_b64 s[6:7], exec, s[6:7]
	s_cbranch_execz .LBB96_29
; %bb.28:                               ;   in Loop: Header=BB96_18 Depth=2
	v_mov_b32_e32 v81, v1
	v_lshl_add_u64 v[38:39], v[80:81], 1, s[16:17]
	global_load_dwordx4 v[38:41], v[38:39], off
.LBB96_29:                              ;   in Loop: Header=BB96_18 Depth=2
	s_andn2_saveexec_b64 s[6:7], s[6:7]
	s_cbranch_execz .LBB96_31
; %bb.30:                               ;   in Loop: Header=BB96_18 Depth=2
	s_waitcnt vmcnt(0)
	v_add_u32_e32 v40, s41, v95
	ds_read2_b32 v[38:39], v40 offset1:1
	ds_read2_b32 v[40:41], v40 offset0:2 offset1:3
.LBB96_31:                              ;   in Loop: Header=BB96_18 Depth=2
	s_or_b64 exec, exec, s[6:7]
	s_mov_b32 s29, s28
	v_cmp_gt_u32_e32 vcc, s12, v78
	v_mov_b32_e32 v53, 0
	v_mov_b64_e32 v[56:57], s[28:29]
	v_mov_b32_e32 v52, 0
	v_mov_b32_e32 v51, 0
	;; [unrolled: 1-line block ×3, first 2 shown]
	v_mov_b64_e32 v[54:55], s[28:29]
	v_mov_b64_e32 v[60:61], s[28:29]
	;; [unrolled: 1-line block ×3, first 2 shown]
	s_and_saveexec_b64 s[6:7], vcc
	s_cbranch_execz .LBB96_16
; %bb.32:                               ;   in Loop: Header=BB96_18 Depth=2
	v_cmp_lt_u32_e32 vcc, s14, v78
                                        ; implicit-def: $vgpr60_vgpr61
	s_and_saveexec_b64 s[8:9], vcc
	s_xor_b64 s[8:9], exec, s[8:9]
	s_cbranch_execz .LBB96_34
; %bb.33:                               ;   in Loop: Header=BB96_18 Depth=2
	v_mov_b32_e32 v79, v1
	v_lshl_add_u64 v[50:51], v[78:79], 1, s[16:17]
	global_load_dwordx4 v[58:61], v[50:51], off
.LBB96_34:                              ;   in Loop: Header=BB96_18 Depth=2
	s_andn2_saveexec_b64 s[8:9], s[8:9]
	s_cbranch_execz .LBB96_36
; %bb.35:                               ;   in Loop: Header=BB96_18 Depth=2
	s_waitcnt vmcnt(0)
	ds_read_b128 v[58:61], v95 offset:1024
.LBB96_36:                              ;   in Loop: Header=BB96_18 Depth=2
	s_or_b64 exec, exec, s[8:9]
	v_add_u32_e32 v0, 0x200, v0
	v_cmp_lt_u32_e32 vcc, s14, v0
                                        ; implicit-def: $vgpr56_vgpr57
	s_and_saveexec_b64 s[8:9], vcc
	s_xor_b64 s[8:9], exec, s[8:9]
	s_cbranch_execz .LBB96_38
; %bb.37:                               ;   in Loop: Header=BB96_18 Depth=2
	v_lshl_add_u64 v[50:51], v[0:1], 1, s[16:17]
	global_load_dwordx4 v[54:57], v[50:51], off
.LBB96_38:                              ;   in Loop: Header=BB96_18 Depth=2
	s_andn2_saveexec_b64 s[8:9], s[8:9]
	s_cbranch_execz .LBB96_40
; %bb.39:                               ;   in Loop: Header=BB96_18 Depth=2
	v_add_u32_e32 v0, s40, v95
	s_waitcnt vmcnt(0)
	ds_read_b128 v[54:57], v0 offset:1024
.LBB96_40:                              ;   in Loop: Header=BB96_18 Depth=2
	s_or_b64 exec, exec, s[8:9]
	v_add_u32_e32 v0, 0x200, v80
	v_cmp_lt_u32_e32 vcc, s14, v0
                                        ; implicit-def: $vgpr53
	s_and_saveexec_b64 s[8:9], vcc
	s_xor_b64 s[8:9], exec, s[8:9]
	s_cbranch_execz .LBB96_42
; %bb.41:                               ;   in Loop: Header=BB96_18 Depth=2
	v_lshl_add_u64 v[50:51], v[0:1], 1, s[16:17]
	global_load_dwordx4 v[50:53], v[50:51], off
.LBB96_42:                              ;   in Loop: Header=BB96_18 Depth=2
	s_andn2_saveexec_b64 s[8:9], s[8:9]
	s_cbranch_execz .LBB96_15
; %bb.43:                               ;   in Loop: Header=BB96_18 Depth=2
	v_add_u32_e32 v0, s41, v95
	s_waitcnt vmcnt(0)
	v_add_u32_e32 v50, 0x400, v0
	v_add_u32_e32 v0, 0x408, v0
	ds_read2_b32 v[50:51], v50 offset1:1
	ds_read2_b32 v[52:53], v0 offset1:1
	s_branch .LBB96_15
.LBB96_44:                              ;   in Loop: Header=BB96_13 Depth=1
	v_cvt_i32_f32_e32 v0, v94
	v_cvt_i32_f32_e32 v6, v93
	;; [unrolled: 1-line block ×4, first 2 shown]
	v_cvt_f32_i32_dpp v0, v0 row_shr:8 row_mask:0xf bank_mask:0xf bound_ctrl:1
	v_cvt_f32_i32_dpp v6, v6 row_shr:8 row_mask:0xf bank_mask:0xf bound_ctrl:1
	;; [unrolled: 1-line block ×4, first 2 shown]
	v_add_f32_e32 v0, v94, v0
	v_cvt_i32_f32_e32 v9, v0
	v_add_f32_e32 v6, v93, v6
	v_cvt_i32_f32_e32 v11, v6
	v_add_f32_e32 v7, v92, v7
	v_cvt_f32_i32_dpp v9, v9 row_shr:4 row_mask:0xf bank_mask:0xf bound_ctrl:1
	v_cvt_i32_f32_e32 v12, v7
	v_cvt_f32_i32_dpp v11, v11 row_shr:4 row_mask:0xf bank_mask:0xf bound_ctrl:1
	v_add_f32_e32 v8, v91, v8
	v_add_f32_e32 v0, v0, v9
	v_cvt_i32_f32_e32 v9, v0
	v_add_f32_e32 v6, v6, v11
	v_cvt_i32_f32_e32 v11, v6
	v_cvt_f32_i32_dpp v12, v12 row_shr:4 row_mask:0xf bank_mask:0xf bound_ctrl:1
	v_cvt_f32_i32_dpp v9, v9 row_shr:2 row_mask:0xf bank_mask:0xf bound_ctrl:1
	v_cvt_i32_f32_e32 v13, v8
	v_cvt_f32_i32_dpp v11, v11 row_shr:2 row_mask:0xf bank_mask:0xf bound_ctrl:1
	v_add_f32_e32 v7, v7, v12
	v_add_f32_e32 v0, v0, v9
	v_cvt_i32_f32_e32 v9, v0
	v_add_f32_e32 v6, v6, v11
	v_cvt_i32_f32_e32 v11, v6
	v_cvt_i32_f32_e32 v12, v7
	v_cvt_f32_i32_dpp v9, v9 row_shr:1 row_mask:0xf bank_mask:0xf bound_ctrl:1
	v_cvt_f32_i32_dpp v13, v13 row_shr:4 row_mask:0xf bank_mask:0xf bound_ctrl:1
	;; [unrolled: 1-line block ×4, first 2 shown]
	v_add_f32_e32 v0, v0, v9
	v_cvt_i32_f32_e32 v9, v0
	v_add_f32_e32 v6, v6, v11
	v_cvt_i32_f32_e32 v11, v6
	v_add_f32_e32 v12, v7, v12
	v_cvt_f32_i32_dpp v9, v9 row_bcast:15 row_mask:0xf bank_mask:0xf bound_ctrl:1
	v_cvt_i32_f32_e32 v10, v90
	v_cvt_i32_f32_e32 v7, v12
	v_cvt_f32_i32_dpp v11, v11 row_bcast:15 row_mask:0xf bank_mask:0xf bound_ctrl:1
	v_add_f32_e32 v9, v0, v9
	v_cvt_i32_f32_e32 v0, v9
	v_add_f32_e32 v8, v8, v13
	v_cvt_f32_i32_dpp v13, v7 row_shr:1 row_mask:0xf bank_mask:0xf bound_ctrl:1
	v_add_f32_e32 v7, v6, v11
	v_mov_b32_dpp v11, v0 row_bcast:31 row_mask:0xf bank_mask:0xf bound_ctrl:1
	v_cvt_i32_f32_e32 v0, v8
	v_cvt_f32_i32_dpp v10, v10 row_shr:8 row_mask:0xf bank_mask:0xf bound_ctrl:1
	v_add_f32_e32 v12, v12, v13
	v_cvt_i32_f32_e32 v13, v12
	v_cvt_f32_i32_dpp v0, v0 row_shr:2 row_mask:0xf bank_mask:0xf bound_ctrl:1
	v_add_f32_e32 v14, v90, v10
	v_cvt_i32_f32_e32 v10, v14
	v_cvt_i32_f32_e32 v6, v7
	v_add_f32_e32 v0, v8, v0
	v_cvt_i32_f32_e32 v8, v0
	v_cvt_f32_i32_dpp v13, v13 row_bcast:15 row_mask:0xf bank_mask:0xf bound_ctrl:1
	v_cvt_f32_i32_dpp v15, v10 row_shr:4 row_mask:0xf bank_mask:0xf bound_ctrl:1
	v_mov_b32_dpp v10, v6 row_bcast:31 row_mask:0xf bank_mask:0xf bound_ctrl:1
	v_cvt_f32_i32_dpp v8, v8 row_shr:1 row_mask:0xf bank_mask:0xf bound_ctrl:1
	v_add_f32_e32 v6, v12, v13
	v_add_f32_e32 v12, v14, v15
	v_cvt_i32_f32_e32 v13, v12
	v_add_f32_e32 v0, v0, v8
	v_cvt_i32_f32_e32 v8, v89
	v_cvt_i32_f32_e32 v14, v0
	v_cvt_f32_i32_dpp v13, v13 row_shr:2 row_mask:0xf bank_mask:0xf bound_ctrl:1
	v_cvt_i32_f32_e32 v15, v6
	v_cvt_f32_i32_dpp v8, v8 row_shr:8 row_mask:0xf bank_mask:0xf bound_ctrl:1
	v_cvt_f32_i32_dpp v14, v14 row_bcast:15 row_mask:0xf bank_mask:0xf bound_ctrl:1
	v_add_f32_e32 v13, v12, v13
	v_cvt_i32_f32_e32 v16, v13
	v_add_f32_e32 v17, v89, v8
	v_cvt_i32_f32_e32 v18, v17
	v_mov_b32_dpp v12, v15 row_bcast:31 row_mask:0xf bank_mask:0xf bound_ctrl:1
	v_cvt_f32_i32_dpp v15, v16 row_shr:1 row_mask:0xf bank_mask:0xf bound_ctrl:1
	v_add_f32_e32 v8, v0, v14
	v_cvt_f32_i32_dpp v0, v18 row_shr:4 row_mask:0xf bank_mask:0xf bound_ctrl:1
	v_cvt_i32_f32_e32 v14, v8
	v_add_f32_e32 v15, v13, v15
	v_cvt_i32_f32_e32 v13, v88
	v_add_f32_e32 v0, v17, v0
	v_cvt_i32_f32_e32 v16, v0
	v_cvt_i32_f32_e32 v17, v15
	v_cvt_f32_i32_dpp v18, v13 row_shr:8 row_mask:0xf bank_mask:0xf bound_ctrl:1
	v_mov_b32_dpp v13, v14 row_bcast:31 row_mask:0xf bank_mask:0xf bound_ctrl:1
	v_cvt_f32_i32_dpp v14, v16 row_shr:2 row_mask:0xf bank_mask:0xf bound_ctrl:1
	v_cvt_f32_i32_dpp v16, v17 row_bcast:15 row_mask:0xf bank_mask:0xf bound_ctrl:1
	v_add_f32_e32 v17, v88, v18
	v_cvt_i32_f32_e32 v18, v17
	v_cvt_i32_f32_e32 v19, v87
	v_add_f32_e32 v0, v0, v14
	v_add_f32_e32 v14, v15, v16
	v_cvt_f32_i32_dpp v18, v18 row_shr:4 row_mask:0xf bank_mask:0xf bound_ctrl:1
	v_cvt_f32_i32_dpp v15, v19 row_shr:8 row_mask:0xf bank_mask:0xf bound_ctrl:1
	v_cvt_i32_f32_e32 v20, v0
	v_add_f32_e32 v17, v17, v18
	v_cvt_i32_f32_e32 v18, v17
	v_add_f32_e32 v15, v87, v15
	v_cvt_f32_i32_dpp v16, v20 row_shr:1 row_mask:0xf bank_mask:0xf bound_ctrl:1
	v_cvt_i32_f32_e32 v19, v15
	v_cvt_f32_i32_dpp v18, v18 row_shr:2 row_mask:0xf bank_mask:0xf bound_ctrl:1
	v_cvt_i32_f32_e32 v20, v14
	v_add_f32_e32 v0, v0, v16
	v_cvt_f32_i32_dpp v16, v19 row_shr:4 row_mask:0xf bank_mask:0xf bound_ctrl:1
	v_add_f32_e32 v17, v17, v18
	v_cvt_i32_f32_e32 v19, v0
	v_cvt_i32_f32_e32 v18, v17
	v_add_f32_e32 v16, v15, v16
	v_cvt_i32_f32_e32 v15, v16
	v_cvt_f32_i32_dpp v19, v19 row_bcast:15 row_mask:0xf bank_mask:0xf bound_ctrl:1
	v_cvt_f32_i32_dpp v18, v18 row_shr:1 row_mask:0xf bank_mask:0xf bound_ctrl:1
	v_mov_b32_dpp v20, v20 row_bcast:31 row_mask:0xf bank_mask:0xf bound_ctrl:1
	v_cvt_f32_i32_dpp v21, v15 row_shr:2 row_mask:0xf bank_mask:0xf bound_ctrl:1
	v_add_f32_e32 v15, v0, v19
	v_add_f32_e32 v0, v17, v18
	v_cvt_i32_f32_e32 v17, v69
	v_add_f32_e32 v16, v16, v21
	v_cvt_i32_f32_e32 v18, v16
	v_cvt_i32_f32_e32 v19, v0
	v_cvt_f32_i32_dpp v17, v17 row_shr:8 row_mask:0xf bank_mask:0xf bound_ctrl:1
	v_cvt_i32_f32_e32 v21, v15
	v_cvt_f32_i32_dpp v18, v18 row_shr:1 row_mask:0xf bank_mask:0xf bound_ctrl:1
	v_cvt_f32_i32_dpp v19, v19 row_bcast:15 row_mask:0xf bank_mask:0xf bound_ctrl:1
	v_add_f32_e32 v17, v69, v17
	v_cvt_i32_f32_e32 v23, v17
	v_add_f32_e32 v18, v16, v18
	v_mov_b32_dpp v22, v21 row_bcast:31 row_mask:0xf bank_mask:0xf bound_ctrl:1
	v_cvt_i32_f32_e32 v24, v18
	v_cvt_f32_i32_dpp v21, v23 row_shr:4 row_mask:0xf bank_mask:0xf bound_ctrl:1
	v_add_f32_e32 v16, v0, v19
	v_cvt_i32_f32_e32 v19, v67
	v_cvt_f32_i32_dpp v0, v24 row_bcast:15 row_mask:0xf bank_mask:0xf bound_ctrl:1
	v_add_f32_e32 v21, v17, v21
	v_cvt_i32_f32_e32 v23, v21
	v_cvt_f32_i32_dpp v19, v19 row_shr:8 row_mask:0xf bank_mask:0xf bound_ctrl:1
	v_add_f32_e32 v17, v18, v0
	v_cvt_i32_f32_e32 v18, v17
	v_cvt_f32_i32_dpp v0, v23 row_shr:2 row_mask:0xf bank_mask:0xf bound_ctrl:1
	v_add_f32_e32 v23, v67, v19
	v_cvt_i32_f32_e32 v19, v23
	v_cvt_i32_f32_e32 v24, v16
	v_add_f32_e32 v0, v21, v0
	v_cvt_i32_f32_e32 v21, v0
	v_cvt_f32_i32_dpp v25, v19 row_shr:4 row_mask:0xf bank_mask:0xf bound_ctrl:1
	v_mov_b32_dpp v19, v18 row_bcast:31 row_mask:0xf bank_mask:0xf bound_ctrl:1
	v_mov_b32_dpp v24, v24 row_bcast:31 row_mask:0xf bank_mask:0xf bound_ctrl:1
	v_cvt_f32_i32_dpp v18, v21 row_shr:1 row_mask:0xf bank_mask:0xf bound_ctrl:1
	v_cvt_i32_f32_e32 v21, v65
	v_add_f32_e32 v23, v23, v25
	v_cvt_i32_f32_e32 v25, v63
	v_add_f32_e32 v0, v0, v18
	v_cvt_f32_i32_dpp v21, v21 row_shr:8 row_mask:0xf bank_mask:0xf bound_ctrl:1
	v_cvt_i32_f32_e32 v26, v23
	v_cvt_f32_i32_dpp v18, v25 row_shr:8 row_mask:0xf bank_mask:0xf bound_ctrl:1
	v_cvt_i32_f32_e32 v28, v0
	v_add_f32_e32 v21, v65, v21
	v_cvt_f32_i32_dpp v25, v26 row_shr:2 row_mask:0xf bank_mask:0xf bound_ctrl:1
	v_add_f32_e32 v18, v63, v18
	v_cvt_i32_f32_e32 v26, v21
	v_cvt_i32_f32_e32 v27, v18
	v_add_f32_e32 v23, v23, v25
	v_cvt_f32_i32_dpp v28, v28 row_bcast:15 row_mask:0xf bank_mask:0xf bound_ctrl:1
	v_cvt_f32_i32_dpp v26, v26 row_shr:4 row_mask:0xf bank_mask:0xf bound_ctrl:1
	v_cvt_f32_i32_dpp v25, v27 row_shr:4 row_mask:0xf bank_mask:0xf bound_ctrl:1
	v_cvt_i32_f32_e32 v27, v23
	v_add_f32_e32 v21, v21, v26
	v_add_f32_e32 v18, v18, v25
	v_cvt_i32_f32_e32 v26, v21
	v_cvt_i32_f32_e32 v25, v18
	v_cvt_f32_i32_dpp v27, v27 row_shr:1 row_mask:0xf bank_mask:0xf bound_ctrl:1
	v_cvt_f32_i32_dpp v26, v26 row_shr:2 row_mask:0xf bank_mask:0xf bound_ctrl:1
	;; [unrolled: 1-line block ×3, first 2 shown]
	v_add_f32_e32 v23, v23, v27
	v_add_f32_e32 v27, v0, v28
	;; [unrolled: 1-line block ×4, first 2 shown]
	v_cvt_i32_f32_e32 v26, v21
	v_cvt_i32_f32_e32 v25, v18
	;; [unrolled: 1-line block ×4, first 2 shown]
	v_cvt_f32_i32_dpp v26, v26 row_shr:1 row_mask:0xf bank_mask:0xf bound_ctrl:1
	v_cvt_f32_i32_dpp v0, v25 row_shr:1 row_mask:0xf bank_mask:0xf bound_ctrl:1
	v_cvt_f32_i32_dpp v25, v29 row_bcast:15 row_mask:0xf bank_mask:0xf bound_ctrl:1
	v_add_f32_e32 v21, v21, v26
	v_add_f32_e32 v0, v18, v0
	v_cvt_i32_f32_e32 v26, v21
	v_cvt_i32_f32_e32 v18, v0
	s_nop 0
	v_cvt_f32_i32_dpp v29, v26 row_bcast:15 row_mask:0xf bank_mask:0xf bound_ctrl:1
	v_cvt_f32_i32_dpp v18, v18 row_bcast:15 row_mask:0xf bank_mask:0xf bound_ctrl:1
	v_add_f32_e32 v26, v23, v25
	v_cvt_i32_f32_e32 v25, v26
	v_add_f32_e32 v23, v21, v29
	v_add_f32_e32 v18, v0, v18
	v_cvt_i32_f32_e32 v21, v23
	v_cvt_i32_f32_e32 v0, v18
	v_mov_b32_dpp v29, v28 row_bcast:31 row_mask:0xf bank_mask:0xf bound_ctrl:1
	v_mov_b32_dpp v28, v25 row_bcast:31 row_mask:0xf bank_mask:0xf bound_ctrl:1
	;; [unrolled: 1-line block ×4, first 2 shown]
	s_and_saveexec_b64 s[30:31], s[0:1]
	s_cbranch_execz .LBB96_60
; %bb.45:                               ;   in Loop: Header=BB96_13 Depth=1
	s_andn2_b64 vcc, exec, s[26:27]
	s_waitcnt vmcnt(11)
	v_mov_b32_e32 v41, 0
	s_waitcnt vmcnt(10)
	v_mov_b32_e32 v40, 0
	;; [unrolled: 2-line block ×12, first 2 shown]
	s_cbranch_vccnz .LBB96_47
; %bb.46:                               ;   in Loop: Header=BB96_13 Depth=1
	v_mul_hi_u32 v0, v62, v83
	v_mul_lo_u32 v0, v0, s10
	v_sub_u32_e32 v0, v62, v0
	v_subrev_u32_e32 v30, s10, v0
	v_cmp_le_u32_e32 vcc, s10, v0
	v_mul_hi_u32 v32, v68, v83
	v_mul_lo_u32 v32, v32, s10
	v_cndmask_b32_e32 v0, v0, v30, vcc
	v_subrev_u32_e32 v30, s10, v0
	v_cmp_le_u32_e32 vcc, s10, v0
	v_sub_u32_e32 v32, v68, v32
	v_subrev_u32_e32 v33, s10, v32
	v_cndmask_b32_e32 v0, v0, v30, vcc
	v_cmp_le_u32_e32 vcc, s10, v32
	v_mov_b32_e32 v37, v1
	v_lshl_add_u64 v[30:31], v[0:1], 1, s[18:19]
	v_cndmask_b32_e32 v32, v32, v33, vcc
	v_subrev_u32_e32 v33, s10, v32
	v_cmp_le_u32_e32 vcc, s10, v32
	v_mov_b32_e32 v43, v1
	v_mov_b32_e32 v47, v1
	v_cndmask_b32_e32 v32, v32, v33, vcc
	v_mov_b32_e32 v33, v1
	v_lshl_add_u64 v[34:35], v[32:33], 1, s[18:19]
	v_mul_hi_u32 v33, v66, v83
	v_mul_lo_u32 v33, v33, s10
	v_sub_u32_e32 v33, v66, v33
	v_subrev_u32_e32 v36, s10, v33
	v_cmp_le_u32_e32 vcc, s10, v33
	s_nop 1
	v_cndmask_b32_e32 v33, v33, v36, vcc
	v_subrev_u32_e32 v36, s10, v33
	v_cmp_le_u32_e32 vcc, s10, v33
	s_nop 1
	v_cndmask_b32_e32 v42, v33, v36, vcc
	v_mul_hi_u32 v33, v64, v83
	v_mul_lo_u32 v33, v33, s10
	v_sub_u32_e32 v33, v64, v33
	v_subrev_u32_e32 v36, s10, v33
	v_cmp_le_u32_e32 vcc, s10, v33
	v_lshl_add_u64 v[44:45], v[42:43], 1, s[18:19]
	s_nop 0
	v_cndmask_b32_e32 v33, v33, v36, vcc
	v_subrev_u32_e32 v36, s10, v33
	v_cmp_le_u32_e32 vcc, s10, v33
	s_nop 1
	v_cndmask_b32_e32 v46, v33, v36, vcc
	v_add_u32_e32 v36, s38, v0
	v_lshl_add_u64 v[50:51], v[36:37], 1, s[18:19]
	v_add_u32_e32 v36, s38, v32
	v_lshl_add_u64 v[52:53], v[36:37], 1, s[18:19]
	;; [unrolled: 2-line block ×4, first 2 shown]
	v_lshl_add_u64 v[56:57], v[36:37], 1, s[18:19]
	global_load_ushort v41, v[30:31], off
	global_load_ushort v40, v[34:35], off
	;; [unrolled: 1-line block ×6, first 2 shown]
                                        ; kill: killed $vgpr50_vgpr51
                                        ; kill: killed $vgpr52_vgpr53
                                        ; kill: killed $vgpr34_vgpr35
                                        ; kill: killed $vgpr30_vgpr31
                                        ; kill: killed $vgpr44_vgpr45
                                        ; kill: killed $vgpr48_vgpr49
	s_nop 0
	global_load_ushort v35, v[54:55], off
	global_load_ushort v33, v[56:57], off
	v_add_u32_e32 v0, s39, v0
	v_lshl_add_u64 v[44:45], v[0:1], 1, s[18:19]
	v_add_u32_e32 v0, s39, v32
	v_lshl_add_u64 v[48:49], v[0:1], 1, s[18:19]
	;; [unrolled: 2-line block ×4, first 2 shown]
	global_load_ushort v34, v[44:45], off
	global_load_ushort v32, v[48:49], off
	;; [unrolled: 1-line block ×4, first 2 shown]
.LBB96_47:                              ;   in Loop: Header=BB96_13 Depth=1
	v_cmp_ne_u32_e32 vcc, 0, v2
	s_and_saveexec_b64 s[4:5], vcc
	s_cbranch_execnz .LBB96_65
; %bb.48:                               ;   in Loop: Header=BB96_13 Depth=1
	s_or_b64 exec, exec, s[4:5]
	v_cmp_ne_u32_e64 s[4:5], 0, v3
	s_and_saveexec_b64 s[6:7], s[4:5]
	s_cbranch_execnz .LBB96_66
.LBB96_49:                              ;   in Loop: Header=BB96_13 Depth=1
	s_or_b64 exec, exec, s[6:7]
	v_cmp_ne_u32_e64 s[6:7], 0, v4
	s_and_saveexec_b64 s[8:9], s[6:7]
	s_cbranch_execnz .LBB96_67
.LBB96_50:                              ;   in Loop: Header=BB96_13 Depth=1
	s_or_b64 exec, exec, s[8:9]
	v_cmp_ne_u32_e64 s[8:9], 0, v5
	s_and_saveexec_b64 s[34:35], s[8:9]
	s_cbranch_execnz .LBB96_68
.LBB96_51:                              ;   in Loop: Header=BB96_13 Depth=1
	s_or_b64 exec, exec, s[34:35]
	v_add_u32_e32 v0, s15, v62
	s_and_saveexec_b64 s[34:35], vcc
	s_cbranch_execnz .LBB96_69
.LBB96_52:                              ;   in Loop: Header=BB96_13 Depth=1
	s_or_b64 exec, exec, s[34:35]
	s_and_saveexec_b64 s[34:35], s[4:5]
	s_cbranch_execnz .LBB96_70
.LBB96_53:                              ;   in Loop: Header=BB96_13 Depth=1
	s_or_b64 exec, exec, s[34:35]
	s_and_saveexec_b64 s[34:35], s[6:7]
	s_cbranch_execnz .LBB96_71
.LBB96_54:                              ;   in Loop: Header=BB96_13 Depth=1
	s_or_b64 exec, exec, s[34:35]
	s_and_saveexec_b64 s[34:35], s[8:9]
	s_cbranch_execnz .LBB96_72
.LBB96_55:                              ;   in Loop: Header=BB96_13 Depth=1
	s_or_b64 exec, exec, s[34:35]
	v_add_u32_e32 v0, s15, v0
	s_and_saveexec_b64 s[34:35], vcc
	s_cbranch_execnz .LBB96_73
.LBB96_56:                              ;   in Loop: Header=BB96_13 Depth=1
	s_or_b64 exec, exec, s[34:35]
	s_and_saveexec_b64 s[34:35], s[4:5]
	s_cbranch_execnz .LBB96_74
.LBB96_57:                              ;   in Loop: Header=BB96_13 Depth=1
	s_or_b64 exec, exec, s[34:35]
	s_and_saveexec_b64 s[4:5], s[6:7]
	s_cbranch_execnz .LBB96_75
.LBB96_58:                              ;   in Loop: Header=BB96_13 Depth=1
	s_or_b64 exec, exec, s[4:5]
	s_and_b64 exec, exec, s[8:9]
	s_cbranch_execz .LBB96_60
.LBB96_59:                              ;   in Loop: Header=BB96_13 Depth=1
	v_cvt_f32_i32_e32 v6, v21
	s_waitcnt vmcnt(0)
	v_cvt_f32_f16_e32 v7, v30
	v_add_u32_e32 v0, 3, v0
	v_add_f32_e32 v6, v18, v6
	v_add_f32_e32 v6, v6, v7
	v_cvt_f16_f32_e32 v8, v6
	s_waitcnt lgkmcnt(0)
	v_lshl_add_u64 v[6:7], v[0:1], 1, s[22:23]
	global_store_short v[6:7], v8, off
.LBB96_60:                              ;   in Loop: Header=BB96_13 Depth=1
	s_or_b64 exec, exec, s[30:31]
	v_add_u32_e32 v62, s37, v62
	v_add_u32_e32 v0, 4, v62
	v_cmp_gt_u32_e32 vcc, s15, v62
	v_cmp_le_u32_e64 s[4:5], s15, v0
	s_and_b64 s[4:5], vcc, s[4:5]
	s_and_saveexec_b64 s[6:7], s[4:5]
	s_cbranch_execz .LBB96_12
; %bb.61:                               ;   in Loop: Header=BB96_13 Depth=1
	v_cmp_ne_u32_e32 vcc, s11, v62
	s_and_saveexec_b64 s[8:9], vcc
	s_cbranch_execz .LBB96_11
; %bb.62:                               ;   in Loop: Header=BB96_13 Depth=1
	v_subrev_u32_e32 v0, s11, v62
	v_cmp_lt_u32_e32 vcc, 1, v0
	s_mov_b64 s[30:31], 0
	s_mov_b64 s[34:35], 0
	v_cndmask_b32_e32 v0, 1, v0, vcc
.LBB96_63:                              ;   Parent Loop BB96_13 Depth=1
                                        ; =>  This Inner Loop Header: Depth=2
	s_cmp_lg_u32 s34, 3
	s_cselect_b64 vcc, -1, 0
	s_cmp_lg_u32 s34, 2
	v_cndmask_b32_e32 v5, 0, v5, vcc
	s_cselect_b64 vcc, -1, 0
	s_cmp_lg_u32 s34, 1
	v_cndmask_b32_e32 v4, 0, v4, vcc
	;; [unrolled: 3-line block ×3, first 2 shown]
	s_cselect_b64 vcc, -1, 0
	s_add_u32 s34, s34, 1
	s_addc_u32 s35, s35, 0
	v_cmp_eq_u32_e64 s[4:5], s34, v0
	s_or_b64 s[30:31], s[4:5], s[30:31]
	v_cndmask_b32_e32 v2, 0, v2, vcc
	s_andn2_b64 exec, exec, s[30:31]
	s_cbranch_execnz .LBB96_63
; %bb.64:                               ;   in Loop: Header=BB96_13 Depth=1
	s_or_b64 exec, exec, s[30:31]
	s_branch .LBB96_11
.LBB96_65:                              ;   in Loop: Header=BB96_13 Depth=1
	v_cvt_f32_i32_e32 v0, v11
	s_waitcnt vmcnt(11)
	v_cvt_f32_f16_e32 v11, v41
	v_mov_b32_e32 v63, v1
	s_waitcnt lgkmcnt(0)
	v_lshl_add_u64 v[42:43], v[62:63], 1, s[22:23]
	v_add_f32_e32 v0, v9, v0
	v_add_f32_e32 v0, v0, v11
	v_cvt_f16_f32_e32 v0, v0
	global_store_short v[42:43], v0, off
	s_or_b64 exec, exec, s[4:5]
	v_cmp_ne_u32_e64 s[4:5], 0, v3
	s_and_saveexec_b64 s[6:7], s[4:5]
	s_cbranch_execz .LBB96_49
.LBB96_66:                              ;   in Loop: Header=BB96_13 Depth=1
	v_cvt_f32_i32_e32 v0, v10
	s_waitcnt vmcnt(10)
	v_cvt_f32_f16_e32 v9, v40
	v_mov_b32_e32 v69, v1
	s_waitcnt lgkmcnt(0)
	v_lshl_add_u64 v[10:11], v[68:69], 1, s[22:23]
	v_add_f32_e32 v0, v7, v0
	v_add_f32_e32 v0, v0, v9
	v_cvt_f16_f32_e32 v0, v0
	global_store_short v[10:11], v0, off
	s_or_b64 exec, exec, s[6:7]
	v_cmp_ne_u32_e64 s[6:7], 0, v4
	s_and_saveexec_b64 s[8:9], s[6:7]
	s_cbranch_execz .LBB96_50
.LBB96_67:                              ;   in Loop: Header=BB96_13 Depth=1
	v_cvt_f32_i32_e32 v0, v12
	s_waitcnt vmcnt(9)
	v_cvt_f32_f16_e32 v7, v39
	v_mov_b32_e32 v67, v1
	v_add_f32_e32 v0, v6, v0
	v_add_f32_e32 v0, v0, v7
	v_cvt_f16_f32_e32 v0, v0
	s_waitcnt lgkmcnt(0)
	v_lshl_add_u64 v[6:7], v[66:67], 1, s[22:23]
	global_store_short v[6:7], v0, off
	s_or_b64 exec, exec, s[8:9]
	v_cmp_ne_u32_e64 s[8:9], 0, v5
	s_and_saveexec_b64 s[34:35], s[8:9]
	s_cbranch_execz .LBB96_51
.LBB96_68:                              ;   in Loop: Header=BB96_13 Depth=1
	v_cvt_f32_i32_e32 v0, v13
	s_waitcnt vmcnt(8)
	v_cvt_f32_f16_e32 v6, v38
	v_mov_b32_e32 v65, v1
	v_add_f32_e32 v0, v8, v0
	v_add_f32_e32 v0, v0, v6
	v_cvt_f16_f32_e32 v0, v0
	s_waitcnt lgkmcnt(0)
	v_lshl_add_u64 v[6:7], v[64:65], 1, s[22:23]
	global_store_short v[6:7], v0, off
	s_or_b64 exec, exec, s[34:35]
	v_add_u32_e32 v0, s15, v62
	s_and_saveexec_b64 s[34:35], vcc
	s_cbranch_execz .LBB96_52
.LBB96_69:                              ;   in Loop: Header=BB96_13 Depth=1
	v_cvt_f32_i32_e32 v6, v20
	s_waitcnt vmcnt(7)
	v_cvt_f32_f16_e32 v7, v37
	v_add_f32_e32 v6, v14, v6
	v_add_f32_e32 v6, v6, v7
	v_cvt_f16_f32_e32 v8, v6
	s_waitcnt lgkmcnt(0)
	v_lshl_add_u64 v[6:7], v[0:1], 1, s[22:23]
	global_store_short v[6:7], v8, off
	s_or_b64 exec, exec, s[34:35]
	s_and_saveexec_b64 s[34:35], s[4:5]
	s_cbranch_execz .LBB96_53
.LBB96_70:                              ;   in Loop: Header=BB96_13 Depth=1
	v_cvt_f32_i32_e32 v6, v22
	s_waitcnt vmcnt(6)
	v_cvt_f32_f16_e32 v7, v36
	v_add_f32_e32 v6, v15, v6
	v_add_f32_e32 v6, v6, v7
	v_cvt_f16_f32_e32 v8, v6
	v_add_u32_e32 v6, 1, v0
	v_mov_b32_e32 v7, v1
	s_waitcnt lgkmcnt(0)
	v_lshl_add_u64 v[6:7], v[6:7], 1, s[22:23]
	global_store_short v[6:7], v8, off
	s_or_b64 exec, exec, s[34:35]
	s_and_saveexec_b64 s[34:35], s[6:7]
	s_cbranch_execz .LBB96_54
.LBB96_71:                              ;   in Loop: Header=BB96_13 Depth=1
	v_cvt_f32_i32_e32 v6, v24
	s_waitcnt vmcnt(5)
	v_cvt_f32_f16_e32 v7, v35
	v_add_f32_e32 v6, v16, v6
	v_add_f32_e32 v6, v6, v7
	v_cvt_f16_f32_e32 v8, v6
	v_add_u32_e32 v6, 2, v0
	v_mov_b32_e32 v7, v1
	s_waitcnt lgkmcnt(0)
	v_lshl_add_u64 v[6:7], v[6:7], 1, s[22:23]
	global_store_short v[6:7], v8, off
	s_or_b64 exec, exec, s[34:35]
	s_and_saveexec_b64 s[34:35], s[8:9]
	s_cbranch_execz .LBB96_55
.LBB96_72:                              ;   in Loop: Header=BB96_13 Depth=1
	v_cvt_f32_i32_e32 v6, v19
	s_waitcnt vmcnt(4)
	v_cvt_f32_f16_e32 v7, v33
	v_add_f32_e32 v6, v17, v6
	v_add_f32_e32 v6, v6, v7
	v_cvt_f16_f32_e32 v8, v6
	v_add_u32_e32 v6, 3, v0
	v_mov_b32_e32 v7, v1
	s_waitcnt lgkmcnt(0)
	v_lshl_add_u64 v[6:7], v[6:7], 1, s[22:23]
	global_store_short v[6:7], v8, off
	s_or_b64 exec, exec, s[34:35]
	v_add_u32_e32 v0, s15, v0
	s_and_saveexec_b64 s[34:35], vcc
	s_cbranch_execz .LBB96_56
.LBB96_73:                              ;   in Loop: Header=BB96_13 Depth=1
	v_cvt_f32_i32_e32 v6, v29
	s_waitcnt vmcnt(3)
	v_cvt_f32_f16_e32 v7, v34
	v_add_f32_e32 v6, v27, v6
	v_add_f32_e32 v6, v6, v7
	v_cvt_f16_f32_e32 v8, v6
	s_waitcnt lgkmcnt(0)
	v_lshl_add_u64 v[6:7], v[0:1], 1, s[22:23]
	global_store_short v[6:7], v8, off
	s_or_b64 exec, exec, s[34:35]
	s_and_saveexec_b64 s[34:35], s[4:5]
	s_cbranch_execz .LBB96_57
.LBB96_74:                              ;   in Loop: Header=BB96_13 Depth=1
	v_cvt_f32_i32_e32 v6, v28
	s_waitcnt vmcnt(2)
	v_cvt_f32_f16_e32 v7, v32
	v_add_f32_e32 v6, v26, v6
	v_add_f32_e32 v6, v6, v7
	v_cvt_f16_f32_e32 v8, v6
	v_add_u32_e32 v6, 1, v0
	v_mov_b32_e32 v7, v1
	s_waitcnt lgkmcnt(0)
	v_lshl_add_u64 v[6:7], v[6:7], 1, s[22:23]
	global_store_short v[6:7], v8, off
	s_or_b64 exec, exec, s[34:35]
	s_and_saveexec_b64 s[4:5], s[6:7]
	s_cbranch_execz .LBB96_58
.LBB96_75:                              ;   in Loop: Header=BB96_13 Depth=1
	v_cvt_f32_i32_e32 v6, v25
	s_waitcnt vmcnt(1)
	v_cvt_f32_f16_e32 v7, v31
	v_add_f32_e32 v6, v23, v6
	v_add_f32_e32 v6, v6, v7
	v_cvt_f16_f32_e32 v8, v6
	v_add_u32_e32 v6, 2, v0
	v_mov_b32_e32 v7, v1
	s_waitcnt lgkmcnt(0)
	v_lshl_add_u64 v[6:7], v[6:7], 1, s[22:23]
	global_store_short v[6:7], v8, off
	s_or_b64 exec, exec, s[4:5]
	s_and_b64 exec, exec, s[8:9]
	s_cbranch_execnz .LBB96_59
	s_branch .LBB96_60
.LBB96_76:
	s_endpgm
	.section	.rodata,"a",@progbits
	.p2align	6, 0x0
	.amdhsa_kernel _Z12wvSplitK_hf_I6__halfLi64ELi4ELi16ELi8ELi2ELi3EEviiiiiiPKT_S3_S3_PS1_ii
		.amdhsa_group_segment_fixed_size 65536
		.amdhsa_private_segment_fixed_size 0
		.amdhsa_kernarg_size 64
		.amdhsa_user_sgpr_count 2
		.amdhsa_user_sgpr_dispatch_ptr 0
		.amdhsa_user_sgpr_queue_ptr 0
		.amdhsa_user_sgpr_kernarg_segment_ptr 1
		.amdhsa_user_sgpr_dispatch_id 0
		.amdhsa_user_sgpr_kernarg_preload_length 0
		.amdhsa_user_sgpr_kernarg_preload_offset 0
		.amdhsa_user_sgpr_private_segment_size 0
		.amdhsa_uses_dynamic_stack 0
		.amdhsa_enable_private_segment 0
		.amdhsa_system_sgpr_workgroup_id_x 1
		.amdhsa_system_sgpr_workgroup_id_y 0
		.amdhsa_system_sgpr_workgroup_id_z 0
		.amdhsa_system_sgpr_workgroup_info 0
		.amdhsa_system_vgpr_workitem_id 1
		.amdhsa_next_free_vgpr 96
		.amdhsa_next_free_sgpr 42
		.amdhsa_accum_offset 96
		.amdhsa_reserve_vcc 1
		.amdhsa_float_round_mode_32 0
		.amdhsa_float_round_mode_16_64 0
		.amdhsa_float_denorm_mode_32 3
		.amdhsa_float_denorm_mode_16_64 3
		.amdhsa_dx10_clamp 1
		.amdhsa_ieee_mode 1
		.amdhsa_fp16_overflow 0
		.amdhsa_tg_split 0
		.amdhsa_exception_fp_ieee_invalid_op 0
		.amdhsa_exception_fp_denorm_src 0
		.amdhsa_exception_fp_ieee_div_zero 0
		.amdhsa_exception_fp_ieee_overflow 0
		.amdhsa_exception_fp_ieee_underflow 0
		.amdhsa_exception_fp_ieee_inexact 0
		.amdhsa_exception_int_div_zero 0
	.end_amdhsa_kernel
	.section	.text._Z12wvSplitK_hf_I6__halfLi64ELi4ELi16ELi8ELi2ELi3EEviiiiiiPKT_S3_S3_PS1_ii,"axG",@progbits,_Z12wvSplitK_hf_I6__halfLi64ELi4ELi16ELi8ELi2ELi3EEviiiiiiPKT_S3_S3_PS1_ii,comdat
.Lfunc_end96:
	.size	_Z12wvSplitK_hf_I6__halfLi64ELi4ELi16ELi8ELi2ELi3EEviiiiiiPKT_S3_S3_PS1_ii, .Lfunc_end96-_Z12wvSplitK_hf_I6__halfLi64ELi4ELi16ELi8ELi2ELi3EEviiiiiiPKT_S3_S3_PS1_ii
                                        ; -- End function
	.section	.AMDGPU.csdata,"",@progbits
; Kernel info:
; codeLenInByte = 5244
; NumSgprs: 48
; NumVgprs: 96
; NumAgprs: 0
; TotalNumVgprs: 96
; ScratchSize: 0
; MemoryBound: 1
; FloatMode: 240
; IeeeMode: 1
; LDSByteSize: 65536 bytes/workgroup (compile time only)
; SGPRBlocks: 5
; VGPRBlocks: 11
; NumSGPRsForWavesPerEU: 48
; NumVGPRsForWavesPerEU: 96
; AccumOffset: 96
; Occupancy: 4
; WaveLimiterHint : 0
; COMPUTE_PGM_RSRC2:SCRATCH_EN: 0
; COMPUTE_PGM_RSRC2:USER_SGPR: 2
; COMPUTE_PGM_RSRC2:TRAP_HANDLER: 0
; COMPUTE_PGM_RSRC2:TGID_X_EN: 1
; COMPUTE_PGM_RSRC2:TGID_Y_EN: 0
; COMPUTE_PGM_RSRC2:TGID_Z_EN: 0
; COMPUTE_PGM_RSRC2:TIDIG_COMP_CNT: 1
; COMPUTE_PGM_RSRC3_GFX90A:ACCUM_OFFSET: 23
; COMPUTE_PGM_RSRC3_GFX90A:TG_SPLIT: 0
	.section	.text._Z16wvSplitK_hf_big_I6__halfLi64ELi4ELi16ELi8ELi2ELi3EEviiiiiiPKT_S3_S3_PS1_ii,"axG",@progbits,_Z16wvSplitK_hf_big_I6__halfLi64ELi4ELi16ELi8ELi2ELi3EEviiiiiiPKT_S3_S3_PS1_ii,comdat
	.protected	_Z16wvSplitK_hf_big_I6__halfLi64ELi4ELi16ELi8ELi2ELi3EEviiiiiiPKT_S3_S3_PS1_ii ; -- Begin function _Z16wvSplitK_hf_big_I6__halfLi64ELi4ELi16ELi8ELi2ELi3EEviiiiiiPKT_S3_S3_PS1_ii
	.globl	_Z16wvSplitK_hf_big_I6__halfLi64ELi4ELi16ELi8ELi2ELi3EEviiiiiiPKT_S3_S3_PS1_ii
	.p2align	8
	.type	_Z16wvSplitK_hf_big_I6__halfLi64ELi4ELi16ELi8ELi2ELi3EEviiiiiiPKT_S3_S3_PS1_ii,@function
_Z16wvSplitK_hf_big_I6__halfLi64ELi4ELi16ELi8ELi2ELi3EEviiiiiiPKT_S3_S3_PS1_ii: ; @_Z16wvSplitK_hf_big_I6__halfLi64ELi4ELi16ELi8ELi2ELi3EEviiiiiiPKT_S3_S3_PS1_ii
; %bb.0:
	s_load_dwordx2 s[8:9], s[0:1], 0x38
	v_bfe_u32 v7, v0, 10, 10
	s_waitcnt lgkmcnt(0)
	v_cmp_gt_u32_e32 vcc, s8, v7
	s_and_saveexec_b64 s[4:5], vcc
	s_cbranch_execz .LBB97_64
; %bb.1:
	s_load_dwordx4 s[20:23], s[0:1], 0x0
	s_mul_i32 s2, s2, s8
	v_add_lshl_u32 v62, s2, v7, 2
	s_mov_b32 s4, 1
	v_add_u32_e32 v1, 4, v62
	s_mov_b32 s5, s4
	s_waitcnt lgkmcnt(0)
	v_cmp_gt_u32_e32 vcc, s23, v62
	v_cmp_le_u32_e64 s[2:3], s23, v1
	s_mov_b32 s6, s4
	s_mov_b32 s7, s4
	v_mov_b64_e32 v[2:3], s[4:5]
	s_and_b64 s[10:11], vcc, s[2:3]
	v_mov_b64_e32 v[4:5], s[6:7]
	s_and_saveexec_b64 s[2:3], s[10:11]
	s_cbranch_execz .LBB97_7
; %bb.2:
	s_add_i32 s16, s23, -4
	v_mov_b64_e32 v[2:3], s[4:5]
	v_cmp_ne_u32_e32 vcc, s16, v62
	v_mov_b64_e32 v[4:5], s[6:7]
	s_and_saveexec_b64 s[10:11], vcc
	s_cbranch_execz .LBB97_6
; %bb.3:
	v_subrev_u32_e32 v1, s16, v62
	v_cmp_lt_u32_e32 vcc, 1, v1
	s_mov_b64 s[12:13], 0
	s_mov_b64 s[14:15], 0
	v_cndmask_b32_e32 v6, 1, v1, vcc
	s_mov_b32 s5, s4
	s_mov_b32 s6, s4
	s_mov_b32 s7, s4
.LBB97_4:                               ; =>This Inner Loop Header: Depth=1
	s_cmp_lg_u32 s14, 3
	s_cselect_b32 s7, s7, 0
	s_cmp_lg_u32 s14, 2
	s_cselect_b32 s6, s6, 0
	;; [unrolled: 2-line block ×4, first 2 shown]
	s_add_u32 s14, s14, 1
	s_addc_u32 s15, s15, 0
	v_cmp_eq_u32_e32 vcc, s14, v6
	v_mov_b64_e32 v[2:3], s[4:5]
	s_or_b64 s[12:13], vcc, s[12:13]
	v_mov_b64_e32 v[4:5], s[6:7]
	s_andn2_b64 exec, exec, s[12:13]
	s_cbranch_execnz .LBB97_4
; %bb.5:
	s_or_b64 exec, exec, s[12:13]
	v_mov_b32_e32 v62, s16
.LBB97_6:
	s_or_b64 exec, exec, s[10:11]
.LBB97_7:
	s_or_b64 exec, exec, s[2:3]
	s_lshl_b32 s2, s8, 2
	s_abs_i32 s3, s2
	v_cvt_f32_u32_e32 v1, s3
	s_sub_i32 s6, 0, s3
	s_abs_i32 s5, s23
	s_ashr_i32 s4, s23, 31
	v_rcp_iflag_f32_e32 v1, v1
	s_nop 0
	v_mul_f32_e32 v1, 0x4f7ffffe, v1
	v_cvt_u32_f32_e32 v1, v1
	s_nop 0
	v_readfirstlane_b32 s7, v1
	s_mul_i32 s6, s6, s7
	s_mul_hi_u32 s6, s7, s6
	s_add_i32 s7, s7, s6
	s_mul_hi_u32 s6, s5, s7
	s_mul_i32 s6, s6, s3
	s_sub_i32 s5, s5, s6
	s_sub_i32 s6, s5, s3
	s_cmp_ge_u32 s5, s3
	s_cselect_b32 s5, s6, s5
	s_sub_i32 s6, s5, s3
	s_cmp_ge_u32 s5, s3
	s_cselect_b32 s3, s6, s5
	s_xor_b32 s3, s3, s4
	s_sub_i32 s3, s3, s4
	s_add_i32 s2, s2, s23
	s_sub_i32 s2, s2, s3
	s_cmp_eq_u32 s3, 0
	s_cselect_b32 s33, s23, s2
	v_cmp_gt_u32_e32 vcc, s33, v62
	s_and_b64 exec, exec, vcc
	s_cbranch_execz .LBB97_64
; %bb.8:
	s_load_dwordx8 s[12:19], s[0:1], 0x10
	s_min_u32 s40, s22, 0x2800
	s_cmp_lg_u32 s20, 0
	s_load_dwordx2 s[24:25], s[0:1], 0x30
	s_cselect_b64 s[2:3], -1, 0
	s_cmp_lg_u32 s22, 0
	s_mul_i32 s0, s9, s8
	s_cselect_b64 s[4:5], -1, 0
	s_lshl_b32 s41, s8, 9
	s_add_i32 s42, s20, -8
	s_add_i32 s43, s23, -1
	s_lshl_b32 s44, s0, 2
	s_waitcnt lgkmcnt(0)
	s_cmp_lg_u64 s[18:19], 0
	s_cselect_b64 s[28:29], -1, 0
	s_abs_i32 s6, s13
	v_cvt_f32_u32_e32 v1, s12
	v_cvt_f32_u32_e32 v6, s6
	s_sub_i32 s7, 0, s12
	s_add_i32 s13, s23, -4
	v_rcp_iflag_f32_e32 v1, v1
	v_rcp_iflag_f32_e32 v6, v6
	v_and_b32_e32 v0, 0x3ff, v0
	v_lshlrev_b32_e32 v72, 3, v0
	v_mul_f32_e32 v1, 0x4f7ffffe, v1
	v_mul_f32_e32 v6, 0x4f7ffffe, v6
	v_cvt_u32_f32_e32 v1, v1
	v_cvt_u32_f32_e32 v6, v6
	v_cmp_eq_u32_e64 s[0:1], 63, v0
	v_lshlrev_b32_e32 v0, 4, v0
	v_mul_lo_u32 v8, s7, v1
	s_sub_i32 s7, 0, s6
	v_readfirstlane_b32 s9, v6
	s_mul_i32 s7, s7, s9
	s_mul_hi_u32 s7, s9, s7
	s_add_i32 s9, s9, s7
	s_sub_i32 s7, 1, s6
	s_cmp_lt_u32 s6, 2
	s_cselect_b32 s7, s7, 1
	s_sub_i32 s10, s7, s6
	s_cmp_ge_u32 s7, s6
	s_cselect_b32 s45, s10, s7
	s_lshr_b32 s7, s9, 31
	s_mul_i32 s7, s7, s6
	s_sub_i32 s7, 2, s7
	s_sub_i32 s9, s7, s6
	s_cmp_ge_u32 s7, s6
	s_cselect_b32 s7, s9, s7
	s_sub_i32 s9, s7, s6
	s_cmp_ge_u32 s7, s6
	v_lshl_add_u32 v74, v7, 10, v0
	v_cndmask_b32_e64 v0, 0, 1, s[2:3]
	v_mul_hi_u32 v8, v1, v8
	s_cselect_b32 s46, s9, s7
	s_add_u32 s30, s24, 2
	v_lshl_add_u32 v75, v7, 9, v72
	v_cmp_ne_u32_e64 s[2:3], 1, v0
	v_cndmask_b32_e64 v0, 0, 1, s[4:5]
	s_mov_b64 s[26:27], 0
	v_add_u32_e32 v73, v1, v8
	v_mov_b32_e32 v1, 0
	s_mul_i32 s45, s45, s12
	s_mul_i32 s46, s46, s12
	s_addc_u32 s31, s25, 0
	s_lshl_b32 s47, s40, 2
	s_lshl_b32 s48, s8, 10
	;; [unrolled: 1-line block ×3, first 2 shown]
	v_lshl_add_u32 v76, s22, 1, v75
	v_add_u32_e32 v77, s22, v75
	v_cmp_ne_u32_e64 s[4:5], 1, v0
	s_branch .LBB97_12
.LBB97_9:                               ;   in Loop: Header=BB97_12 Depth=1
	s_or_b64 exec, exec, s[10:11]
	v_mov_b32_e32 v62, s13
.LBB97_10:                              ;   in Loop: Header=BB97_12 Depth=1
	s_or_b64 exec, exec, s[8:9]
.LBB97_11:                              ;   in Loop: Header=BB97_12 Depth=1
	s_or_b64 exec, exec, s[34:35]
	v_cmp_le_u32_e32 vcc, s33, v62
	s_or_b64 s[26:27], vcc, s[26:27]
	s_andn2_b64 exec, exec, s[26:27]
	s_cbranch_execz .LBB97_64
.LBB97_12:                              ; =>This Loop Header: Depth=1
                                        ;     Child Loop BB97_17 Depth 2
                                        ;       Child Loop BB97_22 Depth 3
                                        ;     Child Loop BB97_51 Depth 2
	s_mov_b32 s36, 0
	s_and_b64 vcc, exec, s[2:3]
	v_mov_b32_e32 v88, v1
	v_mov_b32_e32 v87, v1
	;; [unrolled: 1-line block ×12, first 2 shown]
	s_cbranch_vccnz .LBB97_29
; %bb.13:                               ;   in Loop: Header=BB97_12 Depth=1
	v_add_u32_e32 v6, 1, v62
	v_add_u32_e32 v8, 2, v62
	;; [unrolled: 1-line block ×3, first 2 shown]
	v_min_u32_e32 v0, s43, v62
	v_min_u32_e32 v6, s43, v6
	;; [unrolled: 1-line block ×4, first 2 shown]
	v_mul_lo_u32 v0, v0, s21
	v_mul_lo_u32 v6, v6, s21
	v_mov_b32_e32 v7, v1
	v_mul_lo_u32 v8, v8, s21
	v_mov_b32_e32 v9, v1
	;; [unrolled: 2-line block ×3, first 2 shown]
	v_cmp_gt_u32_e64 s[6:7], s23, v62
	v_mov_b32_e32 v80, 0
	v_lshlrev_b64 v[64:65], 1, v[0:1]
	v_lshlrev_b64 v[66:67], 1, v[6:7]
	;; [unrolled: 1-line block ×4, first 2 shown]
	v_mov_b32_e32 v79, 0
	v_mov_b32_e32 v78, 0
	;; [unrolled: 1-line block ×11, first 2 shown]
	s_mov_b32 s37, 0
	s_branch .LBB97_17
.LBB97_14:                              ;   in Loop: Header=BB97_17 Depth=2
	s_or_b64 exec, exec, s[34:35]
.LBB97_15:                              ;   in Loop: Header=BB97_17 Depth=2
	s_or_b64 exec, exec, s[10:11]
	s_waitcnt vmcnt(7) lgkmcnt(2)
	;;#ASMSTART
	v_dot2c_f32_f16 v88, v58, v46
	;;#ASMEND
	s_waitcnt vmcnt(6)
	;;#ASMSTART
	v_dot2c_f32_f16 v87, v58, v42
	;;#ASMEND
	s_waitcnt vmcnt(5)
	;; [unrolled: 4-line block ×3, first 2 shown]
	;;#ASMSTART
	v_dot2c_f32_f16 v85, v58, v34
	;;#ASMEND
	s_waitcnt lgkmcnt(1)
	;;#ASMSTART
	v_dot2c_f32_f16 v84, v54, v46
	;;#ASMEND
	;;#ASMSTART
	v_dot2c_f32_f16 v83, v54, v42
	;;#ASMEND
	;; [unrolled: 3-line block ×4, first 2 shown]
	s_waitcnt lgkmcnt(0)
	;;#ASMSTART
	v_dot2c_f32_f16 v80, v50, v46
	;;#ASMEND
	;;#ASMSTART
	v_dot2c_f32_f16 v79, v50, v42
	;;#ASMEND
	;;#ASMSTART
	v_dot2c_f32_f16 v78, v50, v38
	;;#ASMEND
	;;#ASMSTART
	v_dot2c_f32_f16 v63, v50, v34
	;;#ASMEND
	;;#ASMSTART
	v_dot2c_f32_f16 v88, v59, v47
	;;#ASMEND
	;;#ASMSTART
	v_dot2c_f32_f16 v87, v59, v43
	;;#ASMEND
	;;#ASMSTART
	v_dot2c_f32_f16 v86, v59, v39
	;;#ASMEND
	;;#ASMSTART
	v_dot2c_f32_f16 v85, v59, v35
	;;#ASMEND
	;;#ASMSTART
	v_dot2c_f32_f16 v84, v55, v47
	;;#ASMEND
	;;#ASMSTART
	v_dot2c_f32_f16 v83, v55, v43
	;;#ASMEND
	;;#ASMSTART
	v_dot2c_f32_f16 v82, v55, v39
	;;#ASMEND
	;;#ASMSTART
	v_dot2c_f32_f16 v81, v55, v35
	;;#ASMEND
	s_nop 0
	;;#ASMSTART
	v_dot2c_f32_f16 v80, v51, v47
	;;#ASMEND
	;;#ASMSTART
	v_dot2c_f32_f16 v79, v51, v43
	;;#ASMEND
	;;#ASMSTART
	v_dot2c_f32_f16 v78, v51, v39
	;;#ASMEND
	;;#ASMSTART
	v_dot2c_f32_f16 v63, v51, v35
	;;#ASMEND
	;;#ASMSTART
	v_dot2c_f32_f16 v88, v60, v48
	;;#ASMEND
	;;#ASMSTART
	v_dot2c_f32_f16 v87, v60, v44
	;;#ASMEND
	;;#ASMSTART
	v_dot2c_f32_f16 v86, v60, v40
	;;#ASMEND
	;;#ASMSTART
	v_dot2c_f32_f16 v85, v60, v36
	;;#ASMEND
	;;#ASMSTART
	v_dot2c_f32_f16 v84, v56, v48
	;;#ASMEND
	;;#ASMSTART
	v_dot2c_f32_f16 v83, v56, v44
	;;#ASMEND
	;;#ASMSTART
	v_dot2c_f32_f16 v82, v56, v40
	;;#ASMEND
	;;#ASMSTART
	v_dot2c_f32_f16 v81, v56, v36
	;;#ASMEND
	s_nop 0
	;; [unrolled: 37-line block ×3, first 2 shown]
	;;#ASMSTART
	v_dot2c_f32_f16 v80, v53, v49
	;;#ASMEND
	;;#ASMSTART
	v_dot2c_f32_f16 v79, v53, v45
	;;#ASMEND
	;; [unrolled: 3-line block ×4, first 2 shown]
	s_waitcnt vmcnt(3)
	;;#ASMSTART
	v_dot2c_f32_f16 v88, v30, v18
	;;#ASMEND
	s_waitcnt vmcnt(2)
	;;#ASMSTART
	v_dot2c_f32_f16 v87, v30, v14
	;;#ASMEND
	;; [unrolled: 4-line block ×4, first 2 shown]
	;;#ASMSTART
	v_dot2c_f32_f16 v84, v26, v18
	;;#ASMEND
	;;#ASMSTART
	v_dot2c_f32_f16 v83, v26, v14
	;;#ASMEND
	;;#ASMSTART
	v_dot2c_f32_f16 v82, v26, v10
	;;#ASMEND
	;;#ASMSTART
	v_dot2c_f32_f16 v81, v26, v6
	;;#ASMEND
	;;#ASMSTART
	v_dot2c_f32_f16 v80, v22, v18
	;;#ASMEND
	;;#ASMSTART
	v_dot2c_f32_f16 v79, v22, v14
	;;#ASMEND
	;;#ASMSTART
	v_dot2c_f32_f16 v78, v22, v10
	;;#ASMEND
	;;#ASMSTART
	v_dot2c_f32_f16 v63, v22, v6
	;;#ASMEND
	;;#ASMSTART
	v_dot2c_f32_f16 v88, v31, v19
	;;#ASMEND
	;;#ASMSTART
	v_dot2c_f32_f16 v87, v31, v15
	;;#ASMEND
	;;#ASMSTART
	v_dot2c_f32_f16 v86, v31, v11
	;;#ASMEND
	s_nop 0
	;;#ASMSTART
	v_dot2c_f32_f16 v85, v31, v7
	;;#ASMEND
	;;#ASMSTART
	v_dot2c_f32_f16 v84, v27, v19
	;;#ASMEND
	;;#ASMSTART
	v_dot2c_f32_f16 v83, v27, v15
	;;#ASMEND
	;;#ASMSTART
	v_dot2c_f32_f16 v82, v27, v11
	;;#ASMEND
	;;#ASMSTART
	v_dot2c_f32_f16 v81, v27, v7
	;;#ASMEND
	;;#ASMSTART
	v_dot2c_f32_f16 v80, v23, v19
	;;#ASMEND
	;;#ASMSTART
	v_dot2c_f32_f16 v79, v23, v15
	;;#ASMEND
	;;#ASMSTART
	v_dot2c_f32_f16 v78, v23, v11
	;;#ASMEND
	;;#ASMSTART
	v_dot2c_f32_f16 v63, v23, v7
	;;#ASMEND
	;;#ASMSTART
	v_dot2c_f32_f16 v88, v32, v20
	;;#ASMEND
	;;#ASMSTART
	v_dot2c_f32_f16 v87, v32, v16
	;;#ASMEND
	;;#ASMSTART
	v_dot2c_f32_f16 v86, v32, v12
	;;#ASMEND
	s_nop 0
	;;#ASMSTART
	v_dot2c_f32_f16 v85, v32, v8
	;;#ASMEND
	;; [unrolled: 37-line block ×3, first 2 shown]
	;;#ASMSTART
	v_dot2c_f32_f16 v84, v29, v21
	;;#ASMEND
	;;#ASMSTART
	v_dot2c_f32_f16 v83, v29, v17
	;;#ASMEND
	;; [unrolled: 3-line block ×8, first 2 shown]
.LBB97_16:                              ;   in Loop: Header=BB97_17 Depth=2
	s_or_b64 exec, exec, s[8:9]
	s_addk_i32 s37, 0x400
	s_cmp_ge_u32 s37, s20
	s_cbranch_scc1 .LBB97_29
.LBB97_17:                              ;   Parent Loop BB97_12 Depth=1
                                        ; =>  This Loop Header: Depth=2
                                        ;       Child Loop BB97_22 Depth 3
	s_cmp_eq_u32 s37, 0
	s_cselect_b64 s[8:9], -1, 0
	s_add_i32 s10, s36, s40
	s_cmp_eq_u32 s37, s10
	s_cselect_b64 s[34:35], -1, 0
	s_or_b64 s[34:35], s[8:9], s[34:35]
	s_andn2_b64 vcc, exec, s[34:35]
	s_cbranch_vccz .LBB97_19
; %bb.18:                               ;   in Loop: Header=BB97_17 Depth=2
	s_and_saveexec_b64 s[8:9], s[6:7]
	s_cbranch_execz .LBB97_16
	s_branch .LBB97_26
.LBB97_19:                              ;   in Loop: Header=BB97_17 Depth=2
	s_and_b64 s[8:9], s[8:9], exec
	s_cselect_b32 s36, s36, s10
	s_and_b64 vcc, exec, s[4:5]
	s_barrier
	s_cbranch_vccnz .LBB97_25
; %bb.20:                               ;   in Loop: Header=BB97_17 Depth=2
	v_add_u32_e32 v6, s36, v76
	v_add_u32_e32 v7, s36, v77
	;; [unrolled: 1-line block ×3, first 2 shown]
	s_mov_b32 s38, 0
	s_mov_b64 s[10:11], 0
	v_mov_b32_e32 v9, v74
                                        ; implicit-def: $sgpr34_sgpr35
	s_branch .LBB97_22
.LBB97_21:                              ;   in Loop: Header=BB97_22 Depth=3
	s_or_b64 exec, exec, s[8:9]
	s_and_b64 s[8:9], exec, s[34:35]
	s_or_b64 s[10:11], s[8:9], s[10:11]
	s_andn2_b64 exec, exec, s[10:11]
	s_cbranch_execz .LBB97_24
.LBB97_22:                              ;   Parent Loop BB97_12 Depth=1
                                        ;     Parent Loop BB97_17 Depth=2
                                        ; =>    This Inner Loop Header: Depth=3
	v_add_u32_e32 v10, s38, v75
	v_add_u32_e32 v0, s38, v8
	v_cmp_gt_u32_e32 vcc, s22, v0
	v_cmp_gt_u32_e64 s[8:9], s40, v10
	s_and_b64 s[50:51], s[8:9], vcc
	s_or_b64 s[34:35], s[34:35], exec
	s_and_saveexec_b64 s[8:9], s[50:51]
	s_cbranch_execz .LBB97_21
; %bb.23:                               ;   in Loop: Header=BB97_22 Depth=3
	v_lshl_add_u64 v[18:19], v[0:1], 1, s[16:17]
	v_add_u32_e32 v0, s38, v7
	v_lshl_add_u64 v[20:21], v[0:1], 1, s[16:17]
	v_add_u32_e32 v0, s38, v6
	global_load_dwordx4 v[10:13], v[18:19], off
	global_load_dwordx4 v[14:17], v[20:21], off
	v_lshl_add_u64 v[18:19], v[0:1], 1, s[16:17]
	global_load_dwordx4 v[18:21], v[18:19], off
	s_add_i32 s38, s38, s41
	s_cmp_ge_u32 s38, s40
	s_cselect_b64 s[50:51], -1, 0
	s_andn2_b64 s[34:35], s[34:35], exec
	s_and_b64 s[50:51], s[50:51], exec
	v_add_u32_e32 v0, s49, v9
	v_add_u32_e32 v22, s47, v9
	s_or_b64 s[34:35], s[34:35], s[50:51]
	s_waitcnt vmcnt(2)
	ds_write_b128 v9, v[10:13]
	v_add_u32_e32 v9, s48, v9
	s_waitcnt vmcnt(1)
	ds_write2_b64 v0, v[14:15], v[16:17] offset1:1
	s_waitcnt vmcnt(0)
	ds_write2_b32 v22, v18, v19 offset1:1
	ds_write2_b32 v22, v20, v21 offset0:2 offset1:3
	s_branch .LBB97_21
.LBB97_24:                              ;   in Loop: Header=BB97_17 Depth=2
	s_or_b64 exec, exec, s[10:11]
.LBB97_25:                              ;   in Loop: Header=BB97_17 Depth=2
	s_waitcnt lgkmcnt(0)
	s_barrier
	s_and_saveexec_b64 s[8:9], s[6:7]
	s_cbranch_execz .LBB97_16
.LBB97_26:                              ;   in Loop: Header=BB97_17 Depth=2
	v_add_u32_e32 v89, s37, v72
	v_min_u32_e32 v0, s42, v89
	v_lshl_add_u64 v[6:7], v[0:1], 1, s[14:15]
	v_lshl_add_u64 v[8:9], v[6:7], 0, v[64:65]
	v_add_u32_e32 v90, 0x200, v89
	v_lshl_add_u64 v[10:11], v[6:7], 0, v[66:67]
	global_load_dwordx4 v[46:49], v[8:9], off nt
	global_load_dwordx4 v[42:45], v[10:11], off nt
	v_lshl_add_u64 v[8:9], v[6:7], 0, v[68:69]
	v_lshl_add_u64 v[6:7], v[6:7], 0, v[70:71]
	v_min_u32_e32 v0, s42, v90
	global_load_dwordx4 v[38:41], v[8:9], off nt
	global_load_dwordx4 v[34:37], v[6:7], off nt
	v_lshl_add_u64 v[6:7], v[0:1], 1, s[14:15]
	v_lshl_add_u64 v[8:9], v[6:7], 0, v[64:65]
	;; [unrolled: 1-line block ×3, first 2 shown]
	global_load_dwordx4 v[18:21], v[8:9], off nt
	global_load_dwordx4 v[14:17], v[10:11], off nt
	v_lshl_add_u64 v[8:9], v[6:7], 0, v[68:69]
	v_lshl_add_u64 v[6:7], v[6:7], 0, v[70:71]
	global_load_dwordx4 v[10:13], v[8:9], off nt
	s_nop 0
	global_load_dwordx4 v[6:9], v[6:7], off nt
	v_cmp_gt_u32_e32 vcc, s20, v89
	v_mov_b32_e32 v58, 0
	v_mov_b32_e32 v59, 0
	;; [unrolled: 1-line block ×14, first 2 shown]
	s_waitcnt vmcnt(8)
	v_mov_b32_e32 v32, 0
	v_mov_b32_e32 v33, 0
	;; [unrolled: 1-line block ×10, first 2 shown]
	s_and_saveexec_b64 s[10:11], vcc
	s_cbranch_execz .LBB97_15
; %bb.27:                               ;   in Loop: Header=BB97_17 Depth=2
	v_subrev_u32_e32 v0, s36, v89
	v_lshlrev_b32_e32 v91, 1, v0
	v_add_u32_e32 v89, s49, v91
	v_add_u32_e32 v0, s49, v89
	ds_read_b128 v[58:61], v91
	ds_read_b128 v[54:57], v89
	;; [unrolled: 1-line block ×3, first 2 shown]
	v_cmp_gt_u32_e32 vcc, s20, v90
	v_mov_b32_e32 v25, 0
	v_mov_b32_e32 v24, 0
	;; [unrolled: 1-line block ×12, first 2 shown]
	s_and_saveexec_b64 s[34:35], vcc
	s_cbranch_execz .LBB97_14
; %bb.28:                               ;   in Loop: Header=BB97_17 Depth=2
	ds_read_b128 v[30:33], v91 offset:1024
	ds_read_b128 v[26:29], v89 offset:1024
	ds_read_b128 v[22:25], v0 offset:1024
	s_branch .LBB97_14
.LBB97_29:                              ;   in Loop: Header=BB97_12 Depth=1
	v_cmp_le_u32_e32 vcc, s23, v62
	s_and_saveexec_b64 s[6:7], vcc
	s_xor_b64 s[6:7], exec, s[6:7]
; %bb.30:                               ;   in Loop: Header=BB97_12 Depth=1
	v_add_u32_e32 v62, s44, v62
                                        ; implicit-def: $vgpr88
                                        ; implicit-def: $vgpr87
                                        ; implicit-def: $vgpr86
                                        ; implicit-def: $vgpr85
                                        ; implicit-def: $vgpr84
                                        ; implicit-def: $vgpr83
                                        ; implicit-def: $vgpr82
                                        ; implicit-def: $vgpr81
                                        ; implicit-def: $vgpr63
                                        ; implicit-def: $vgpr78
                                        ; implicit-def: $vgpr79
                                        ; implicit-def: $vgpr80
; %bb.31:                               ;   in Loop: Header=BB97_12 Depth=1
	s_andn2_saveexec_b64 s[34:35], s[6:7]
	s_cbranch_execz .LBB97_11
; %bb.32:                               ;   in Loop: Header=BB97_12 Depth=1
	v_cvt_i32_f32_e32 v0, v88
	v_cvt_i32_f32_e32 v6, v87
	;; [unrolled: 1-line block ×4, first 2 shown]
	v_cvt_f32_i32_dpp v0, v0 row_shr:8 row_mask:0xf bank_mask:0xf bound_ctrl:1
	v_cvt_f32_i32_dpp v6, v6 row_shr:8 row_mask:0xf bank_mask:0xf bound_ctrl:1
	;; [unrolled: 1-line block ×4, first 2 shown]
	v_add_f32_e32 v0, v88, v0
	v_cvt_i32_f32_e32 v9, v0
	v_add_f32_e32 v6, v87, v6
	v_cvt_i32_f32_e32 v11, v6
	v_add_f32_e32 v7, v86, v7
	v_cvt_f32_i32_dpp v9, v9 row_shr:4 row_mask:0xf bank_mask:0xf bound_ctrl:1
	v_cvt_i32_f32_e32 v12, v7
	v_cvt_f32_i32_dpp v11, v11 row_shr:4 row_mask:0xf bank_mask:0xf bound_ctrl:1
	v_add_f32_e32 v8, v85, v8
	v_add_f32_e32 v0, v0, v9
	v_cvt_i32_f32_e32 v9, v0
	v_add_f32_e32 v6, v6, v11
	v_cvt_i32_f32_e32 v11, v6
	v_cvt_f32_i32_dpp v12, v12 row_shr:4 row_mask:0xf bank_mask:0xf bound_ctrl:1
	v_cvt_f32_i32_dpp v9, v9 row_shr:2 row_mask:0xf bank_mask:0xf bound_ctrl:1
	v_cvt_i32_f32_e32 v13, v8
	v_cvt_f32_i32_dpp v11, v11 row_shr:2 row_mask:0xf bank_mask:0xf bound_ctrl:1
	v_add_f32_e32 v7, v7, v12
	v_add_f32_e32 v0, v0, v9
	v_cvt_i32_f32_e32 v9, v0
	v_add_f32_e32 v6, v6, v11
	v_cvt_i32_f32_e32 v11, v6
	v_cvt_i32_f32_e32 v12, v7
	v_cvt_f32_i32_dpp v9, v9 row_shr:1 row_mask:0xf bank_mask:0xf bound_ctrl:1
	v_cvt_f32_i32_dpp v13, v13 row_shr:4 row_mask:0xf bank_mask:0xf bound_ctrl:1
	;; [unrolled: 1-line block ×4, first 2 shown]
	v_add_f32_e32 v0, v0, v9
	v_cvt_i32_f32_e32 v9, v0
	v_add_f32_e32 v6, v6, v11
	v_cvt_i32_f32_e32 v11, v6
	v_cvt_i32_f32_e32 v10, v84
	v_cvt_f32_i32_dpp v9, v9 row_bcast:15 row_mask:0xf bank_mask:0xf bound_ctrl:1
	v_add_f32_e32 v7, v7, v12
	v_cvt_f32_i32_dpp v14, v11 row_bcast:15 row_mask:0xf bank_mask:0xf bound_ctrl:1
	v_add_f32_e32 v8, v8, v13
	v_add_f32_e32 v11, v0, v9
	v_cvt_i32_f32_e32 v0, v11
	v_cvt_i32_f32_e32 v12, v7
	v_cvt_f32_i32_dpp v10, v10 row_shr:8 row_mask:0xf bank_mask:0xf bound_ctrl:1
	v_add_f32_e32 v9, v6, v14
	v_mov_b32_dpp v13, v0 row_bcast:31 row_mask:0xf bank_mask:0xf bound_ctrl:1
	v_cvt_i32_f32_e32 v0, v8
	v_cvt_f32_i32_dpp v12, v12 row_shr:1 row_mask:0xf bank_mask:0xf bound_ctrl:1
	v_add_f32_e32 v10, v84, v10
	v_cvt_i32_f32_e32 v14, v10
	v_cvt_f32_i32_dpp v0, v0 row_shr:2 row_mask:0xf bank_mask:0xf bound_ctrl:1
	v_add_f32_e32 v7, v7, v12
	v_cvt_i32_f32_e32 v6, v9
	v_cvt_i32_f32_e32 v12, v7
	v_add_f32_e32 v0, v8, v0
	v_cvt_i32_f32_e32 v8, v0
	v_cvt_f32_i32_dpp v14, v14 row_shr:4 row_mask:0xf bank_mask:0xf bound_ctrl:1
	v_cvt_f32_i32_dpp v15, v12 row_bcast:15 row_mask:0xf bank_mask:0xf bound_ctrl:1
	v_mov_b32_dpp v12, v6 row_bcast:31 row_mask:0xf bank_mask:0xf bound_ctrl:1
	v_cvt_f32_i32_dpp v6, v8 row_shr:1 row_mask:0xf bank_mask:0xf bound_ctrl:1
	v_add_f32_e32 v8, v10, v14
	v_cvt_i32_f32_e32 v10, v8
	v_add_f32_e32 v7, v7, v15
	v_add_f32_e32 v0, v0, v6
	v_cvt_i32_f32_e32 v6, v83
	v_cvt_f32_i32_dpp v10, v10 row_shr:2 row_mask:0xf bank_mask:0xf bound_ctrl:1
	v_cvt_i32_f32_e32 v14, v0
	v_cvt_i32_f32_e32 v15, v7
	v_cvt_f32_i32_dpp v6, v6 row_shr:8 row_mask:0xf bank_mask:0xf bound_ctrl:1
	v_add_f32_e32 v8, v8, v10
	v_cvt_f32_i32_dpp v16, v14 row_bcast:15 row_mask:0xf bank_mask:0xf bound_ctrl:1
	v_cvt_i32_f32_e32 v10, v8
	v_add_f32_e32 v6, v83, v6
	v_cvt_i32_f32_e32 v17, v6
	v_mov_b32_dpp v14, v15 row_bcast:31 row_mask:0xf bank_mask:0xf bound_ctrl:1
	v_cvt_f32_i32_dpp v15, v10 row_shr:1 row_mask:0xf bank_mask:0xf bound_ctrl:1
	v_add_f32_e32 v10, v0, v16
	v_cvt_f32_i32_dpp v0, v17 row_shr:4 row_mask:0xf bank_mask:0xf bound_ctrl:1
	v_cvt_i32_f32_e32 v16, v10
	v_add_f32_e32 v8, v8, v15
	v_cvt_i32_f32_e32 v15, v82
	v_add_f32_e32 v0, v6, v0
	v_cvt_i32_f32_e32 v6, v0
	v_cvt_i32_f32_e32 v17, v8
	v_cvt_f32_i32_dpp v18, v15 row_shr:8 row_mask:0xf bank_mask:0xf bound_ctrl:1
	v_mov_b32_dpp v15, v16 row_bcast:31 row_mask:0xf bank_mask:0xf bound_ctrl:1
	v_cvt_f32_i32_dpp v6, v6 row_shr:2 row_mask:0xf bank_mask:0xf bound_ctrl:1
	v_cvt_f32_i32_dpp v16, v17 row_bcast:15 row_mask:0xf bank_mask:0xf bound_ctrl:1
	v_add_f32_e32 v17, v82, v18
	v_cvt_i32_f32_e32 v18, v17
	v_add_f32_e32 v0, v0, v6
	v_cvt_i32_f32_e32 v6, v81
	v_cvt_i32_f32_e32 v19, v0
	v_cvt_f32_i32_dpp v18, v18 row_shr:4 row_mask:0xf bank_mask:0xf bound_ctrl:1
	v_add_f32_e32 v16, v8, v16
	v_cvt_f32_i32_dpp v6, v6 row_shr:8 row_mask:0xf bank_mask:0xf bound_ctrl:1
	v_cvt_f32_i32_dpp v8, v19 row_shr:1 row_mask:0xf bank_mask:0xf bound_ctrl:1
	v_add_f32_e32 v17, v17, v18
	v_cvt_i32_f32_e32 v18, v17
	v_add_f32_e32 v6, v81, v6
	v_cvt_i32_f32_e32 v19, v6
	v_add_f32_e32 v0, v0, v8
	v_cvt_f32_i32_dpp v18, v18 row_shr:2 row_mask:0xf bank_mask:0xf bound_ctrl:1
	v_cvt_i32_f32_e32 v20, v16
	v_cvt_f32_i32_dpp v8, v19 row_shr:4 row_mask:0xf bank_mask:0xf bound_ctrl:1
	v_cvt_i32_f32_e32 v19, v0
	v_add_f32_e32 v18, v17, v18
	v_cvt_i32_f32_e32 v17, v18
	v_add_f32_e32 v6, v6, v8
	v_cvt_i32_f32_e32 v8, v6
	v_cvt_f32_i32_dpp v19, v19 row_bcast:15 row_mask:0xf bank_mask:0xf bound_ctrl:1
	v_cvt_f32_i32_dpp v21, v17 row_shr:1 row_mask:0xf bank_mask:0xf bound_ctrl:1
	v_mov_b32_dpp v22, v20 row_bcast:31 row_mask:0xf bank_mask:0xf bound_ctrl:1
	v_cvt_f32_i32_dpp v8, v8 row_shr:2 row_mask:0xf bank_mask:0xf bound_ctrl:1
	v_add_f32_e32 v17, v0, v19
	v_add_f32_e32 v0, v18, v21
	v_cvt_i32_f32_e32 v18, v80
	v_add_f32_e32 v6, v6, v8
	v_cvt_i32_f32_e32 v8, v6
	v_cvt_i32_f32_e32 v19, v0
	v_cvt_f32_i32_dpp v18, v18 row_shr:8 row_mask:0xf bank_mask:0xf bound_ctrl:1
	v_cvt_i32_f32_e32 v20, v17
	v_cvt_f32_i32_dpp v8, v8 row_shr:1 row_mask:0xf bank_mask:0xf bound_ctrl:1
	v_cvt_f32_i32_dpp v19, v19 row_bcast:15 row_mask:0xf bank_mask:0xf bound_ctrl:1
	v_add_f32_e32 v21, v80, v18
	v_cvt_i32_f32_e32 v18, v21
	v_add_f32_e32 v6, v6, v8
	v_cvt_i32_f32_e32 v8, v6
	v_mov_b32_dpp v24, v20 row_bcast:31 row_mask:0xf bank_mask:0xf bound_ctrl:1
	v_cvt_f32_i32_dpp v20, v18 row_shr:4 row_mask:0xf bank_mask:0xf bound_ctrl:1
	v_add_f32_e32 v18, v0, v19
	v_cvt_f32_i32_dpp v0, v8 row_bcast:15 row_mask:0xf bank_mask:0xf bound_ctrl:1
	v_cvt_i32_f32_e32 v8, v79
	v_add_f32_e32 v20, v21, v20
	v_cvt_i32_f32_e32 v21, v20
	v_add_f32_e32 v19, v6, v0
	v_cvt_f32_i32_dpp v8, v8 row_shr:8 row_mask:0xf bank_mask:0xf bound_ctrl:1
	v_cvt_i32_f32_e32 v23, v18
	v_cvt_f32_i32_dpp v0, v21 row_shr:2 row_mask:0xf bank_mask:0xf bound_ctrl:1
	v_cvt_i32_f32_e32 v6, v19
	v_add_f32_e32 v8, v79, v8
	v_cvt_i32_f32_e32 v21, v8
	v_add_f32_e32 v0, v20, v0
	v_cvt_i32_f32_e32 v20, v0
	v_mov_b32_dpp v26, v23 row_bcast:31 row_mask:0xf bank_mask:0xf bound_ctrl:1
	v_cvt_f32_i32_dpp v23, v21 row_shr:4 row_mask:0xf bank_mask:0xf bound_ctrl:1
	v_mov_b32_dpp v21, v6 row_bcast:31 row_mask:0xf bank_mask:0xf bound_ctrl:1
	v_cvt_f32_i32_dpp v6, v20 row_shr:1 row_mask:0xf bank_mask:0xf bound_ctrl:1
	v_cvt_i32_f32_e32 v20, v78
	v_add_f32_e32 v8, v8, v23
	v_cvt_i32_f32_e32 v23, v63
	v_add_f32_e32 v0, v0, v6
	v_cvt_f32_i32_dpp v20, v20 row_shr:8 row_mask:0xf bank_mask:0xf bound_ctrl:1
	v_cvt_i32_f32_e32 v25, v8
	v_cvt_f32_i32_dpp v6, v23 row_shr:8 row_mask:0xf bank_mask:0xf bound_ctrl:1
	v_cvt_i32_f32_e32 v28, v0
	v_add_f32_e32 v20, v78, v20
	v_cvt_f32_i32_dpp v23, v25 row_shr:2 row_mask:0xf bank_mask:0xf bound_ctrl:1
	v_add_f32_e32 v6, v63, v6
	v_cvt_i32_f32_e32 v25, v20
	v_cvt_i32_f32_e32 v27, v6
	v_add_f32_e32 v8, v8, v23
	v_cvt_f32_i32_dpp v28, v28 row_bcast:15 row_mask:0xf bank_mask:0xf bound_ctrl:1
	v_cvt_f32_i32_dpp v25, v25 row_shr:4 row_mask:0xf bank_mask:0xf bound_ctrl:1
	v_cvt_f32_i32_dpp v23, v27 row_shr:4 row_mask:0xf bank_mask:0xf bound_ctrl:1
	v_cvt_i32_f32_e32 v27, v8
	v_add_f32_e32 v29, v0, v28
	v_add_f32_e32 v20, v20, v25
	;; [unrolled: 1-line block ×3, first 2 shown]
	v_cvt_i32_f32_e32 v25, v20
	v_cvt_i32_f32_e32 v23, v6
	v_cvt_f32_i32_dpp v27, v27 row_shr:1 row_mask:0xf bank_mask:0xf bound_ctrl:1
	v_cvt_f32_i32_dpp v25, v25 row_shr:2 row_mask:0xf bank_mask:0xf bound_ctrl:1
	;; [unrolled: 1-line block ×3, first 2 shown]
	v_add_f32_e32 v8, v8, v27
	v_cvt_i32_f32_e32 v27, v8
	v_add_f32_e32 v20, v20, v25
	v_add_f32_e32 v6, v6, v23
	v_cvt_i32_f32_e32 v25, v20
	v_cvt_i32_f32_e32 v23, v6
	s_nop 0
	v_cvt_f32_i32_dpp v25, v25 row_shr:1 row_mask:0xf bank_mask:0xf bound_ctrl:1
	v_cvt_f32_i32_dpp v0, v23 row_shr:1 row_mask:0xf bank_mask:0xf bound_ctrl:1
	v_cvt_f32_i32_dpp v23, v27 row_bcast:15 row_mask:0xf bank_mask:0xf bound_ctrl:1
	v_cvt_i32_f32_e32 v27, v29
	v_add_f32_e32 v20, v20, v25
	v_add_f32_e32 v0, v6, v0
	v_cvt_i32_f32_e32 v25, v20
	v_cvt_i32_f32_e32 v6, v0
	v_add_f32_e32 v28, v8, v23
	v_cvt_i32_f32_e32 v8, v28
	v_cvt_f32_i32_dpp v25, v25 row_bcast:15 row_mask:0xf bank_mask:0xf bound_ctrl:1
	v_cvt_f32_i32_dpp v6, v6 row_bcast:15 row_mask:0xf bank_mask:0xf bound_ctrl:1
	v_mov_b32_dpp v31, v27 row_bcast:31 row_mask:0xf bank_mask:0xf bound_ctrl:1
	v_mov_b32_dpp v30, v8 row_bcast:31 row_mask:0xf bank_mask:0xf bound_ctrl:1
	v_add_f32_e32 v25, v20, v25
	v_add_f32_e32 v20, v0, v6
	v_cvt_i32_f32_e32 v23, v25
	v_cvt_i32_f32_e32 v0, v20
	s_nop 0
	v_mov_b32_dpp v27, v23 row_bcast:31 row_mask:0xf bank_mask:0xf bound_ctrl:1
	v_mov_b32_dpp v23, v0 row_bcast:31 row_mask:0xf bank_mask:0xf bound_ctrl:1
	s_and_saveexec_b64 s[36:37], s[0:1]
	s_cbranch_execz .LBB97_48
; %bb.33:                               ;   in Loop: Header=BB97_12 Depth=1
	s_andn2_b64 vcc, exec, s[28:29]
	s_waitcnt vmcnt(11)
	v_mov_b32_e32 v43, 0
	v_add_u32_e32 v8, 2, v62
	v_add_u32_e32 v6, 3, v62
	s_waitcnt vmcnt(10)
	v_mov_b32_e32 v42, 0
	s_waitcnt vmcnt(9)
	v_mov_b32_e32 v41, 0
	;; [unrolled: 2-line block ×11, first 2 shown]
	s_cbranch_vccnz .LBB97_35
; %bb.34:                               ;   in Loop: Header=BB97_12 Depth=1
	v_mul_hi_u32 v0, v62, v73
	v_mul_lo_u32 v0, v0, s12
	v_sub_u32_e32 v0, v62, v0
	v_add_u32_e32 v34, 1, v62
	v_subrev_u32_e32 v32, s12, v0
	v_cmp_le_u32_e32 vcc, s12, v0
	v_mul_hi_u32 v35, v34, v73
	v_mul_lo_u32 v35, v35, s12
	v_cndmask_b32_e32 v0, v0, v32, vcc
	v_subrev_u32_e32 v32, s12, v0
	v_cmp_le_u32_e32 vcc, s12, v0
	v_sub_u32_e32 v34, v34, v35
	v_subrev_u32_e32 v35, s12, v34
	v_cndmask_b32_e32 v0, v0, v32, vcc
	v_cmp_le_u32_e32 vcc, s12, v34
	v_mov_b32_e32 v39, v1
	v_lshl_add_u64 v[32:33], v[0:1], 1, s[18:19]
	v_cndmask_b32_e32 v34, v34, v35, vcc
	v_subrev_u32_e32 v35, s12, v34
	v_cmp_le_u32_e32 vcc, s12, v34
	v_mov_b32_e32 v45, v1
	v_mov_b32_e32 v49, v1
	v_cndmask_b32_e32 v34, v34, v35, vcc
	v_mov_b32_e32 v35, v1
	v_lshl_add_u64 v[36:37], v[34:35], 1, s[18:19]
	v_mul_hi_u32 v35, v8, v73
	v_mul_lo_u32 v35, v35, s12
	v_sub_u32_e32 v35, v8, v35
	v_subrev_u32_e32 v38, s12, v35
	v_cmp_le_u32_e32 vcc, s12, v35
	s_nop 1
	v_cndmask_b32_e32 v35, v35, v38, vcc
	v_subrev_u32_e32 v38, s12, v35
	v_cmp_le_u32_e32 vcc, s12, v35
	s_nop 1
	v_cndmask_b32_e32 v44, v35, v38, vcc
	v_mul_hi_u32 v35, v6, v73
	v_mul_lo_u32 v35, v35, s12
	v_sub_u32_e32 v35, v6, v35
	v_subrev_u32_e32 v38, s12, v35
	v_cmp_le_u32_e32 vcc, s12, v35
	v_lshl_add_u64 v[46:47], v[44:45], 1, s[18:19]
	s_nop 0
	v_cndmask_b32_e32 v35, v35, v38, vcc
	v_subrev_u32_e32 v38, s12, v35
	v_cmp_le_u32_e32 vcc, s12, v35
	s_nop 1
	v_cndmask_b32_e32 v48, v35, v38, vcc
	v_add_u32_e32 v38, s45, v0
	v_lshl_add_u64 v[52:53], v[38:39], 1, s[18:19]
	v_add_u32_e32 v38, s45, v34
	v_lshl_add_u64 v[54:55], v[38:39], 1, s[18:19]
	;; [unrolled: 2-line block ×4, first 2 shown]
	v_lshl_add_u64 v[58:59], v[38:39], 1, s[18:19]
	global_load_ushort v43, v[32:33], off
	global_load_ushort v42, v[36:37], off
	;; [unrolled: 1-line block ×6, first 2 shown]
                                        ; kill: killed $vgpr32_vgpr33
                                        ; kill: killed $vgpr46_vgpr47
                                        ; kill: killed $vgpr50_vgpr51
                                        ; kill: killed $vgpr52_vgpr53
                                        ; kill: killed $vgpr54_vgpr55
                                        ; kill: killed $vgpr36_vgpr37
	s_nop 0
	global_load_ushort v37, v[56:57], off
	global_load_ushort v35, v[58:59], off
	v_add_u32_e32 v0, s46, v0
	v_lshl_add_u64 v[46:47], v[0:1], 1, s[18:19]
	v_add_u32_e32 v0, s46, v34
	v_lshl_add_u64 v[50:51], v[0:1], 1, s[18:19]
	;; [unrolled: 2-line block ×4, first 2 shown]
	global_load_ushort v36, v[46:47], off
	global_load_ushort v34, v[50:51], off
	;; [unrolled: 1-line block ×4, first 2 shown]
.LBB97_35:                              ;   in Loop: Header=BB97_12 Depth=1
	v_cmp_ne_u32_e32 vcc, 0, v2
	s_and_saveexec_b64 s[6:7], vcc
	s_cbranch_execnz .LBB97_53
; %bb.36:                               ;   in Loop: Header=BB97_12 Depth=1
	s_or_b64 exec, exec, s[6:7]
	v_cmp_ne_u32_e64 s[6:7], 0, v3
	s_and_saveexec_b64 s[8:9], s[6:7]
	s_cbranch_execnz .LBB97_54
.LBB97_37:                              ;   in Loop: Header=BB97_12 Depth=1
	s_or_b64 exec, exec, s[8:9]
	v_cmp_ne_u32_e64 s[8:9], 0, v4
	s_and_saveexec_b64 s[10:11], s[8:9]
	s_cbranch_execnz .LBB97_55
.LBB97_38:                              ;   in Loop: Header=BB97_12 Depth=1
	s_or_b64 exec, exec, s[10:11]
	v_cmp_ne_u32_e64 s[10:11], 0, v5
	s_and_saveexec_b64 s[38:39], s[10:11]
	s_cbranch_execnz .LBB97_56
.LBB97_39:                              ;   in Loop: Header=BB97_12 Depth=1
	s_or_b64 exec, exec, s[38:39]
	v_add_u32_e32 v0, s23, v62
	s_and_saveexec_b64 s[38:39], vcc
	s_cbranch_execnz .LBB97_57
.LBB97_40:                              ;   in Loop: Header=BB97_12 Depth=1
	s_or_b64 exec, exec, s[38:39]
	s_and_saveexec_b64 s[38:39], s[6:7]
	s_cbranch_execnz .LBB97_58
.LBB97_41:                              ;   in Loop: Header=BB97_12 Depth=1
	s_or_b64 exec, exec, s[38:39]
	s_and_saveexec_b64 s[38:39], s[8:9]
	s_cbranch_execnz .LBB97_59
.LBB97_42:                              ;   in Loop: Header=BB97_12 Depth=1
	s_or_b64 exec, exec, s[38:39]
	s_and_saveexec_b64 s[38:39], s[10:11]
	s_cbranch_execnz .LBB97_60
.LBB97_43:                              ;   in Loop: Header=BB97_12 Depth=1
	s_or_b64 exec, exec, s[38:39]
	v_add_u32_e32 v0, s23, v0
	s_and_saveexec_b64 s[38:39], vcc
	s_cbranch_execnz .LBB97_61
.LBB97_44:                              ;   in Loop: Header=BB97_12 Depth=1
	s_or_b64 exec, exec, s[38:39]
	s_and_saveexec_b64 s[38:39], s[6:7]
	s_cbranch_execnz .LBB97_62
.LBB97_45:                              ;   in Loop: Header=BB97_12 Depth=1
	s_or_b64 exec, exec, s[38:39]
	s_and_saveexec_b64 s[6:7], s[8:9]
	s_cbranch_execnz .LBB97_63
.LBB97_46:                              ;   in Loop: Header=BB97_12 Depth=1
	s_or_b64 exec, exec, s[6:7]
	s_and_b64 exec, exec, s[10:11]
	s_cbranch_execz .LBB97_48
.LBB97_47:                              ;   in Loop: Header=BB97_12 Depth=1
	v_cvt_f32_i32_e32 v6, v23
	s_waitcnt vmcnt(0)
	v_cvt_f32_f16_e32 v7, v32
	v_add_u32_e32 v0, 3, v0
	v_add_f32_e32 v6, v20, v6
	v_add_f32_e32 v6, v6, v7
	v_cvt_f16_f32_e32 v8, v6
	v_lshl_add_u64 v[6:7], v[0:1], 1, s[24:25]
	global_store_short v[6:7], v8, off
.LBB97_48:                              ;   in Loop: Header=BB97_12 Depth=1
	s_or_b64 exec, exec, s[36:37]
	v_add_u32_e32 v62, s44, v62
	v_add_u32_e32 v0, 4, v62
	v_cmp_gt_u32_e32 vcc, s23, v62
	v_cmp_le_u32_e64 s[6:7], s23, v0
	s_and_b64 s[6:7], vcc, s[6:7]
	s_and_saveexec_b64 s[8:9], s[6:7]
	s_cbranch_execz .LBB97_10
; %bb.49:                               ;   in Loop: Header=BB97_12 Depth=1
	v_cmp_ne_u32_e32 vcc, s13, v62
	s_and_saveexec_b64 s[10:11], vcc
	s_cbranch_execz .LBB97_9
; %bb.50:                               ;   in Loop: Header=BB97_12 Depth=1
	v_subrev_u32_e32 v0, s13, v62
	v_cmp_lt_u32_e32 vcc, 1, v0
	s_mov_b64 s[36:37], 0
	s_mov_b64 s[38:39], 0
	v_cndmask_b32_e32 v0, 1, v0, vcc
.LBB97_51:                              ;   Parent Loop BB97_12 Depth=1
                                        ; =>  This Inner Loop Header: Depth=2
	s_cmp_lg_u32 s38, 3
	s_cselect_b64 vcc, -1, 0
	s_cmp_lg_u32 s38, 2
	v_cndmask_b32_e32 v5, 0, v5, vcc
	s_cselect_b64 vcc, -1, 0
	s_cmp_lg_u32 s38, 1
	v_cndmask_b32_e32 v4, 0, v4, vcc
	;; [unrolled: 3-line block ×3, first 2 shown]
	s_cselect_b64 vcc, -1, 0
	s_add_u32 s38, s38, 1
	s_addc_u32 s39, s39, 0
	v_cmp_eq_u32_e64 s[6:7], s38, v0
	s_or_b64 s[36:37], s[6:7], s[36:37]
	v_cndmask_b32_e32 v2, 0, v2, vcc
	s_andn2_b64 exec, exec, s[36:37]
	s_cbranch_execnz .LBB97_51
; %bb.52:                               ;   in Loop: Header=BB97_12 Depth=1
	s_or_b64 exec, exec, s[36:37]
	s_branch .LBB97_9
.LBB97_53:                              ;   in Loop: Header=BB97_12 Depth=1
	v_cvt_f32_i32_e32 v0, v13
	s_waitcnt vmcnt(11)
	v_cvt_f32_f16_e32 v13, v43
	v_mov_b32_e32 v63, v1
	v_lshl_add_u64 v[44:45], v[62:63], 1, s[24:25]
	v_add_f32_e32 v0, v11, v0
	v_add_f32_e32 v0, v0, v13
	v_cvt_f16_f32_e32 v0, v0
	global_store_short v[44:45], v0, off
	s_or_b64 exec, exec, s[6:7]
	v_cmp_ne_u32_e64 s[6:7], 0, v3
	s_and_saveexec_b64 s[8:9], s[6:7]
	s_cbranch_execz .LBB97_37
.LBB97_54:                              ;   in Loop: Header=BB97_12 Depth=1
	v_cvt_f32_i32_e32 v0, v12
	s_waitcnt vmcnt(10)
	v_cvt_f32_f16_e32 v11, v42
	v_mov_b32_e32 v63, v1
	v_lshl_add_u64 v[12:13], v[62:63], 1, s[30:31]
	v_add_f32_e32 v0, v9, v0
	v_add_f32_e32 v0, v0, v11
	v_cvt_f16_f32_e32 v0, v0
	global_store_short v[12:13], v0, off
	s_or_b64 exec, exec, s[8:9]
	v_cmp_ne_u32_e64 s[8:9], 0, v4
	s_and_saveexec_b64 s[10:11], s[8:9]
	s_cbranch_execz .LBB97_38
.LBB97_55:                              ;   in Loop: Header=BB97_12 Depth=1
	v_cvt_f32_i32_e32 v0, v14
	s_waitcnt vmcnt(9)
	v_cvt_f32_f16_e32 v9, v41
	v_add_f32_e32 v0, v7, v0
	v_add_f32_e32 v0, v0, v9
	v_cvt_f16_f32_e32 v0, v0
	v_mov_b32_e32 v9, v1
	v_lshl_add_u64 v[8:9], v[8:9], 1, s[24:25]
	global_store_short v[8:9], v0, off
	s_or_b64 exec, exec, s[10:11]
	v_cmp_ne_u32_e64 s[10:11], 0, v5
	s_and_saveexec_b64 s[38:39], s[10:11]
	s_cbranch_execz .LBB97_39
.LBB97_56:                              ;   in Loop: Header=BB97_12 Depth=1
	v_cvt_f32_i32_e32 v0, v15
	s_waitcnt vmcnt(8)
	v_cvt_f32_f16_e32 v7, v40
	v_add_f32_e32 v0, v10, v0
	v_add_f32_e32 v0, v0, v7
	v_cvt_f16_f32_e32 v0, v0
	v_mov_b32_e32 v7, v1
	v_lshl_add_u64 v[6:7], v[6:7], 1, s[24:25]
	global_store_short v[6:7], v0, off
	s_or_b64 exec, exec, s[38:39]
	v_add_u32_e32 v0, s23, v62
	s_and_saveexec_b64 s[38:39], vcc
	s_cbranch_execz .LBB97_40
.LBB97_57:                              ;   in Loop: Header=BB97_12 Depth=1
	v_cvt_f32_i32_e32 v6, v22
	s_waitcnt vmcnt(7)
	v_cvt_f32_f16_e32 v7, v39
	v_add_f32_e32 v6, v16, v6
	v_add_f32_e32 v6, v6, v7
	v_cvt_f16_f32_e32 v8, v6
	v_lshl_add_u64 v[6:7], v[0:1], 1, s[24:25]
	global_store_short v[6:7], v8, off
	s_or_b64 exec, exec, s[38:39]
	s_and_saveexec_b64 s[38:39], s[6:7]
	s_cbranch_execz .LBB97_41
.LBB97_58:                              ;   in Loop: Header=BB97_12 Depth=1
	v_cvt_f32_i32_e32 v6, v24
	s_waitcnt vmcnt(6)
	v_cvt_f32_f16_e32 v7, v38
	v_add_f32_e32 v6, v17, v6
	v_add_f32_e32 v6, v6, v7
	v_cvt_f16_f32_e32 v8, v6
	v_add_u32_e32 v6, 1, v0
	v_mov_b32_e32 v7, v1
	v_lshl_add_u64 v[6:7], v[6:7], 1, s[24:25]
	global_store_short v[6:7], v8, off
	s_or_b64 exec, exec, s[38:39]
	s_and_saveexec_b64 s[38:39], s[8:9]
	s_cbranch_execz .LBB97_42
.LBB97_59:                              ;   in Loop: Header=BB97_12 Depth=1
	v_cvt_f32_i32_e32 v6, v26
	s_waitcnt vmcnt(5)
	v_cvt_f32_f16_e32 v7, v37
	v_add_f32_e32 v6, v18, v6
	v_add_f32_e32 v6, v6, v7
	v_cvt_f16_f32_e32 v8, v6
	v_add_u32_e32 v6, 2, v0
	v_mov_b32_e32 v7, v1
	v_lshl_add_u64 v[6:7], v[6:7], 1, s[24:25]
	global_store_short v[6:7], v8, off
	s_or_b64 exec, exec, s[38:39]
	s_and_saveexec_b64 s[38:39], s[10:11]
	s_cbranch_execz .LBB97_43
.LBB97_60:                              ;   in Loop: Header=BB97_12 Depth=1
	v_cvt_f32_i32_e32 v6, v21
	s_waitcnt vmcnt(4)
	v_cvt_f32_f16_e32 v7, v35
	v_add_f32_e32 v6, v19, v6
	v_add_f32_e32 v6, v6, v7
	v_cvt_f16_f32_e32 v8, v6
	v_add_u32_e32 v6, 3, v0
	v_mov_b32_e32 v7, v1
	v_lshl_add_u64 v[6:7], v[6:7], 1, s[24:25]
	global_store_short v[6:7], v8, off
	s_or_b64 exec, exec, s[38:39]
	v_add_u32_e32 v0, s23, v0
	s_and_saveexec_b64 s[38:39], vcc
	s_cbranch_execz .LBB97_44
.LBB97_61:                              ;   in Loop: Header=BB97_12 Depth=1
	v_cvt_f32_i32_e32 v6, v31
	s_waitcnt vmcnt(3)
	v_cvt_f32_f16_e32 v7, v36
	v_add_f32_e32 v6, v29, v6
	v_add_f32_e32 v6, v6, v7
	v_cvt_f16_f32_e32 v8, v6
	v_lshl_add_u64 v[6:7], v[0:1], 1, s[24:25]
	global_store_short v[6:7], v8, off
	s_or_b64 exec, exec, s[38:39]
	s_and_saveexec_b64 s[38:39], s[6:7]
	s_cbranch_execz .LBB97_45
.LBB97_62:                              ;   in Loop: Header=BB97_12 Depth=1
	v_cvt_f32_i32_e32 v6, v30
	s_waitcnt vmcnt(2)
	v_cvt_f32_f16_e32 v7, v34
	v_add_f32_e32 v6, v28, v6
	v_add_f32_e32 v6, v6, v7
	v_cvt_f16_f32_e32 v8, v6
	v_add_u32_e32 v6, 1, v0
	v_mov_b32_e32 v7, v1
	v_lshl_add_u64 v[6:7], v[6:7], 1, s[24:25]
	global_store_short v[6:7], v8, off
	s_or_b64 exec, exec, s[38:39]
	s_and_saveexec_b64 s[6:7], s[8:9]
	s_cbranch_execz .LBB97_46
.LBB97_63:                              ;   in Loop: Header=BB97_12 Depth=1
	v_cvt_f32_i32_e32 v6, v27
	s_waitcnt vmcnt(1)
	v_cvt_f32_f16_e32 v7, v33
	v_add_f32_e32 v6, v25, v6
	v_add_f32_e32 v6, v6, v7
	v_cvt_f16_f32_e32 v8, v6
	v_add_u32_e32 v6, 2, v0
	v_mov_b32_e32 v7, v1
	v_lshl_add_u64 v[6:7], v[6:7], 1, s[24:25]
	global_store_short v[6:7], v8, off
	s_or_b64 exec, exec, s[6:7]
	s_and_b64 exec, exec, s[10:11]
	s_cbranch_execnz .LBB97_47
	s_branch .LBB97_48
.LBB97_64:
	s_endpgm
	.section	.rodata,"a",@progbits
	.p2align	6, 0x0
	.amdhsa_kernel _Z16wvSplitK_hf_big_I6__halfLi64ELi4ELi16ELi8ELi2ELi3EEviiiiiiPKT_S3_S3_PS1_ii
		.amdhsa_group_segment_fixed_size 65536
		.amdhsa_private_segment_fixed_size 0
		.amdhsa_kernarg_size 64
		.amdhsa_user_sgpr_count 2
		.amdhsa_user_sgpr_dispatch_ptr 0
		.amdhsa_user_sgpr_queue_ptr 0
		.amdhsa_user_sgpr_kernarg_segment_ptr 1
		.amdhsa_user_sgpr_dispatch_id 0
		.amdhsa_user_sgpr_kernarg_preload_length 0
		.amdhsa_user_sgpr_kernarg_preload_offset 0
		.amdhsa_user_sgpr_private_segment_size 0
		.amdhsa_uses_dynamic_stack 0
		.amdhsa_enable_private_segment 0
		.amdhsa_system_sgpr_workgroup_id_x 1
		.amdhsa_system_sgpr_workgroup_id_y 0
		.amdhsa_system_sgpr_workgroup_id_z 0
		.amdhsa_system_sgpr_workgroup_info 0
		.amdhsa_system_vgpr_workitem_id 1
		.amdhsa_next_free_vgpr 92
		.amdhsa_next_free_sgpr 52
		.amdhsa_accum_offset 92
		.amdhsa_reserve_vcc 1
		.amdhsa_float_round_mode_32 0
		.amdhsa_float_round_mode_16_64 0
		.amdhsa_float_denorm_mode_32 3
		.amdhsa_float_denorm_mode_16_64 3
		.amdhsa_dx10_clamp 1
		.amdhsa_ieee_mode 1
		.amdhsa_fp16_overflow 0
		.amdhsa_tg_split 0
		.amdhsa_exception_fp_ieee_invalid_op 0
		.amdhsa_exception_fp_denorm_src 0
		.amdhsa_exception_fp_ieee_div_zero 0
		.amdhsa_exception_fp_ieee_overflow 0
		.amdhsa_exception_fp_ieee_underflow 0
		.amdhsa_exception_fp_ieee_inexact 0
		.amdhsa_exception_int_div_zero 0
	.end_amdhsa_kernel
	.section	.text._Z16wvSplitK_hf_big_I6__halfLi64ELi4ELi16ELi8ELi2ELi3EEviiiiiiPKT_S3_S3_PS1_ii,"axG",@progbits,_Z16wvSplitK_hf_big_I6__halfLi64ELi4ELi16ELi8ELi2ELi3EEviiiiiiPKT_S3_S3_PS1_ii,comdat
.Lfunc_end97:
	.size	_Z16wvSplitK_hf_big_I6__halfLi64ELi4ELi16ELi8ELi2ELi3EEviiiiiiPKT_S3_S3_PS1_ii, .Lfunc_end97-_Z16wvSplitK_hf_big_I6__halfLi64ELi4ELi16ELi8ELi2ELi3EEviiiiiiPKT_S3_S3_PS1_ii
                                        ; -- End function
	.section	.AMDGPU.csdata,"",@progbits
; Kernel info:
; codeLenInByte = 5296
; NumSgprs: 58
; NumVgprs: 92
; NumAgprs: 0
; TotalNumVgprs: 92
; ScratchSize: 0
; MemoryBound: 0
; FloatMode: 240
; IeeeMode: 1
; LDSByteSize: 65536 bytes/workgroup (compile time only)
; SGPRBlocks: 7
; VGPRBlocks: 11
; NumSGPRsForWavesPerEU: 58
; NumVGPRsForWavesPerEU: 92
; AccumOffset: 92
; Occupancy: 4
; WaveLimiterHint : 0
; COMPUTE_PGM_RSRC2:SCRATCH_EN: 0
; COMPUTE_PGM_RSRC2:USER_SGPR: 2
; COMPUTE_PGM_RSRC2:TRAP_HANDLER: 0
; COMPUTE_PGM_RSRC2:TGID_X_EN: 1
; COMPUTE_PGM_RSRC2:TGID_Y_EN: 0
; COMPUTE_PGM_RSRC2:TGID_Z_EN: 0
; COMPUTE_PGM_RSRC2:TIDIG_COMP_CNT: 1
; COMPUTE_PGM_RSRC3_GFX90A:ACCUM_OFFSET: 22
; COMPUTE_PGM_RSRC3_GFX90A:TG_SPLIT: 0
	.section	.text._Z16wvSplitK_hf_sml_I6__halfLi32ELi1ELi16ELi8ELi4ELi4EEviiiiiiPKT_S3_S3_PS1_ii,"axG",@progbits,_Z16wvSplitK_hf_sml_I6__halfLi32ELi1ELi16ELi8ELi4ELi4EEviiiiiiPKT_S3_S3_PS1_ii,comdat
	.protected	_Z16wvSplitK_hf_sml_I6__halfLi32ELi1ELi16ELi8ELi4ELi4EEviiiiiiPKT_S3_S3_PS1_ii ; -- Begin function _Z16wvSplitK_hf_sml_I6__halfLi32ELi1ELi16ELi8ELi4ELi4EEviiiiiiPKT_S3_S3_PS1_ii
	.globl	_Z16wvSplitK_hf_sml_I6__halfLi32ELi1ELi16ELi8ELi4ELi4EEviiiiiiPKT_S3_S3_PS1_ii
	.p2align	8
	.type	_Z16wvSplitK_hf_sml_I6__halfLi32ELi1ELi16ELi8ELi4ELi4EEviiiiiiPKT_S3_S3_PS1_ii,@function
_Z16wvSplitK_hf_sml_I6__halfLi32ELi1ELi16ELi8ELi4ELi4EEviiiiiiPKT_S3_S3_PS1_ii: ; @_Z16wvSplitK_hf_sml_I6__halfLi32ELi1ELi16ELi8ELi4ELi4EEviiiiiiPKT_S3_S3_PS1_ii
; %bb.0:
	s_load_dwordx4 s[4:7], s[0:1], 0x0
	v_and_b32_e32 v4, 0x3ff, v0
	v_bfe_u32 v5, v0, 10, 10
	v_lshlrev_b32_e32 v86, 3, v4
	v_lshl_add_u32 v6, v5, 8, v86
	s_waitcnt lgkmcnt(0)
	s_lshl_b32 s28, s6, 2
	s_min_u32 s3, s28, 0x8000
	v_cmp_gt_u32_e32 vcc, s3, v6
	s_and_saveexec_b64 s[8:9], vcc
	s_cbranch_execz .LBB98_9
; %bb.1:
	s_load_dwordx2 s[10:11], s[0:1], 0x20
	v_lshlrev_b32_e32 v0, 1, v6
	v_add_u32_e32 v1, 0x1000, v6
	v_cmp_gt_u32_e32 vcc, s3, v1
	s_waitcnt lgkmcnt(0)
	global_load_dwordx4 v[8:11], v0, s[10:11]
	s_waitcnt vmcnt(0)
	ds_write_b128 v0, v[8:11]
	s_and_saveexec_b64 s[12:13], vcc
	s_xor_b64 s[12:13], exec, s[12:13]
	s_cbranch_execz .LBB98_9
; %bb.2:
	v_mov_b32_e32 v1, 0
	v_lshl_add_u64 v[2:3], s[10:11], 0, v[0:1]
	v_add_co_u32_e32 v8, vcc, 0x2000, v2
	v_add_u32_e32 v1, 0x2000, v6
	s_nop 0
	v_addc_co_u32_e32 v9, vcc, 0, v3, vcc
	global_load_dwordx4 v[8:11], v[8:9], off
	v_cmp_gt_u32_e32 vcc, s3, v1
	s_waitcnt vmcnt(0)
	ds_write_b128 v0, v[8:11] offset:8192
	s_and_saveexec_b64 s[10:11], vcc
	s_xor_b64 s[10:11], exec, s[10:11]
	s_cbranch_execz .LBB98_9
; %bb.3:
	v_add_co_u32_e32 v8, vcc, 0x4000, v2
	v_add_u32_e32 v1, 0x3000, v6
	s_nop 0
	v_addc_co_u32_e32 v9, vcc, 0, v3, vcc
	global_load_dwordx4 v[8:11], v[8:9], off
	v_cmp_gt_u32_e32 vcc, s3, v1
	s_waitcnt vmcnt(0)
	ds_write_b128 v0, v[8:11] offset:16384
	s_and_saveexec_b64 s[10:11], vcc
	s_xor_b64 s[10:11], exec, s[10:11]
	s_cbranch_execz .LBB98_9
; %bb.4:
	;; [unrolled: 12-line block ×6, first 2 shown]
	v_add_co_u32_e32 v2, vcc, 0xe000, v2
	s_nop 1
	v_addc_co_u32_e32 v3, vcc, 0, v3, vcc
	global_load_dwordx4 v[6:9], v[2:3], off
	s_waitcnt vmcnt(0)
	ds_write_b128 v0, v[6:9] offset:57344
.LBB98_9:
	s_or_b64 exec, exec, s[8:9]
	s_load_dwordx2 s[20:21], s[0:1], 0x38
	s_waitcnt lgkmcnt(0)
	s_barrier
	v_cmp_gt_u32_e32 vcc, s20, v5
	s_and_saveexec_b64 s[8:9], vcc
	s_cbranch_execz .LBB98_30
; %bb.10:
	s_load_dwordx2 s[12:13], s[0:1], 0x10
	s_mul_i32 s2, s2, s20
	v_add_u32_e32 v64, s2, v5
	v_cmp_gt_u32_e32 vcc, s7, v64
	s_and_b64 exec, exec, vcc
	s_cbranch_execz .LBB98_30
; %bb.11:
	s_load_dwordx4 s[8:11], s[0:1], 0x28
	s_load_dwordx2 s[14:15], s[0:1], 0x18
	s_cmp_lg_u32 s4, 0
	s_cselect_b64 s[2:3], -1, 0
	s_add_i32 s29, s4, -8
	s_add_i32 s30, s7, -1
	s_waitcnt lgkmcnt(0)
	s_cmp_lg_u64 s[8:9], 0
	s_cselect_b64 s[18:19], -1, 0
	s_abs_i32 s22, s13
	v_cvt_f32_u32_e32 v0, s12
	v_cvt_f32_u32_e32 v1, s22
	s_mul_i32 s13, s21, s20
	s_sub_i32 s20, 0, s12
	v_rcp_iflag_f32_e32 v0, v0
	v_rcp_iflag_f32_e32 v1, v1
	v_cmp_eq_u32_e64 s[0:1], 31, v4
	s_mov_b64 s[16:17], 0
	v_mul_f32_e32 v0, 0x4f7ffffe, v0
	v_mul_f32_e32 v1, 0x4f7ffffe, v1
	v_cvt_u32_f32_e32 v0, v0
	v_cvt_u32_f32_e32 v1, v1
	v_mov_b32_e32 v67, 0
	s_mul_i32 s35, s6, 6
	v_mul_lo_u32 v2, s20, v0
	s_sub_i32 s20, 0, s22
	v_readfirstlane_b32 s21, v1
	s_mul_i32 s20, s20, s21
	s_mul_hi_u32 s20, s21, s20
	s_add_i32 s21, s21, s20
	s_sub_i32 s20, 1, s22
	s_cmp_lt_u32 s22, 2
	s_cselect_b32 s20, s20, 1
	s_sub_i32 s23, s20, s22
	s_cmp_ge_u32 s20, s22
	s_cselect_b32 s31, s23, s20
	s_lshr_b32 s20, s21, 31
	s_mul_i32 s20, s20, s22
	s_sub_i32 s20, 2, s20
	s_sub_i32 s23, s20, s22
	s_cmp_ge_u32 s20, s22
	s_cselect_b32 s20, s23, s20
	s_sub_i32 s23, s20, s22
	s_cmp_ge_u32 s20, s22
	s_cselect_b32 s33, s23, s20
	s_mul_hi_u32 s20, s21, 3
	s_mul_i32 s20, s20, s22
	s_sub_i32 s20, 3, s20
	s_sub_i32 s21, s20, s22
	s_cmp_ge_u32 s20, s22
	s_cselect_b32 s20, s21, s20
	s_sub_i32 s21, s20, s22
	v_mul_hi_u32 v2, v0, v2
	s_cmp_ge_u32 s20, s22
	v_add_u32_e32 v87, v0, v2
	s_cselect_b32 s34, s21, s20
	v_cndmask_b32_e64 v0, 0, 1, s[2:3]
	s_mul_i32 s31, s31, s12
	s_mul_i32 s33, s33, s12
	;; [unrolled: 1-line block ×3, first 2 shown]
	v_lshlrev_b32_e32 v88, 4, v4
	s_lshl_b32 s6, s6, 1
	v_cmp_ne_u32_e64 s[2:3], 1, v0
	s_branch .LBB98_14
.LBB98_12:                              ;   in Loop: Header=BB98_14 Depth=1
	v_cvt_f32_i32_e32 v7, v7
	s_waitcnt vmcnt(3)
	v_cvt_f32_f16_e32 v11, v11
	v_cvt_f32_i32_e32 v6, v6
	v_cvt_f32_i32_e32 v5, v5
	v_add_f32_e32 v0, v0, v7
	v_cvt_f32_i32_e32 v4, v4
	v_add_f32_e32 v0, v0, v11
	v_add_f32_e32 v2, v2, v6
	;; [unrolled: 1-line block ×3, first 2 shown]
	v_cvt_f16_f32_e32 v5, v0
	s_waitcnt vmcnt(2)
	v_cvt_f32_f16_e32 v6, v10
	v_add_f32_e32 v4, v1, v4
	v_lshl_add_u64 v[0:1], v[64:65], 1, s[10:11]
	global_store_short v[0:1], v5, off
	v_add_f32_e32 v0, v2, v6
	v_cvt_f16_f32_e32 v2, v0
	v_add_u32_e32 v66, s7, v64
	s_waitcnt vmcnt(2)
	v_cvt_f32_f16_e32 v5, v9
	v_lshl_add_u64 v[0:1], v[66:67], 1, s[10:11]
	global_store_short v[0:1], v2, off
	s_waitcnt vmcnt(2)
	v_cvt_f32_f16_e32 v2, v8
	v_add_f32_e32 v0, v3, v5
	v_cvt_f16_f32_e32 v3, v0
	v_add_u32_e32 v66, s7, v66
	v_add_f32_e32 v2, v4, v2
	v_cvt_f16_f32_e32 v2, v2
	v_lshl_add_u64 v[0:1], v[66:67], 1, s[10:11]
	v_add_u32_e32 v66, s7, v66
	global_store_short v[0:1], v3, off
	v_lshl_add_u64 v[0:1], v[66:67], 1, s[10:11]
	global_store_short v[0:1], v2, off
.LBB98_13:                              ;   in Loop: Header=BB98_14 Depth=1
	s_or_b64 exec, exec, s[20:21]
	v_add_u32_e32 v64, s13, v64
	v_cmp_le_u32_e32 vcc, s7, v64
	s_or_b64 s[16:17], vcc, s[16:17]
	s_andn2_b64 exec, exec, s[16:17]
	s_cbranch_execz .LBB98_30
.LBB98_14:                              ; =>This Loop Header: Depth=1
                                        ;     Child Loop BB98_20 Depth 2
	s_mov_b32 s36, 0
	s_and_b64 vcc, exec, s[2:3]
	v_mov_b32_e32 v91, v67
	v_mov_b32_e32 v90, v67
	;; [unrolled: 1-line block ×4, first 2 shown]
	s_cbranch_vccnz .LBB98_25
; %bb.15:                               ;   in Loop: Header=BB98_14 Depth=1
	v_min_u32_e32 v0, s30, v64
	v_mul_lo_u32 v66, v0, s5
	v_lshl_add_u64 v[68:69], v[66:67], 1, s[14:15]
	v_mov_b32_e32 v65, 0
	v_mov_b32_e32 v92, v88
	;; [unrolled: 1-line block ×5, first 2 shown]
	s_branch .LBB98_20
.LBB98_16:                              ;   in Loop: Header=BB98_20 Depth=2
	s_or_b64 exec, exec, s[26:27]
.LBB98_17:                              ;   in Loop: Header=BB98_20 Depth=2
	s_or_b64 exec, exec, s[24:25]
.LBB98_18:                              ;   in Loop: Header=BB98_20 Depth=2
	s_or_b64 exec, exec, s[22:23]
.LBB98_19:                              ;   in Loop: Header=BB98_20 Depth=2
	s_or_b64 exec, exec, s[20:21]
	s_waitcnt vmcnt(3) lgkmcnt(4)
	;;#ASMSTART
	v_dot2c_f32_f16 v91, v40, v12
	;;#ASMEND
	s_waitcnt lgkmcnt(3)
	;;#ASMSTART
	v_dot2c_f32_f16 v90, v28, v12
	;;#ASMEND
	s_waitcnt lgkmcnt(2)
	;; [unrolled: 4-line block ×3, first 2 shown]
	;;#ASMSTART
	v_dot2c_f32_f16 v65, v24, v12
	;;#ASMEND
	s_addk_i32 s36, 0x400
	;;#ASMSTART
	v_dot2c_f32_f16 v91, v41, v13
	;;#ASMEND
	;;#ASMSTART
	v_dot2c_f32_f16 v90, v29, v13
	;;#ASMEND
	;; [unrolled: 3-line block ×4, first 2 shown]
	s_cmp_ge_u32 s36, s4
	;;#ASMSTART
	v_dot2c_f32_f16 v91, v42, v14
	;;#ASMEND
	;;#ASMSTART
	v_dot2c_f32_f16 v90, v30, v14
	;;#ASMEND
	;; [unrolled: 3-line block ×4, first 2 shown]
	v_add_u32_e32 v92, 0x800, v92
	;;#ASMSTART
	v_dot2c_f32_f16 v91, v43, v15
	;;#ASMEND
	;;#ASMSTART
	v_dot2c_f32_f16 v90, v31, v15
	;;#ASMEND
	;;#ASMSTART
	v_dot2c_f32_f16 v89, v77, v15
	;;#ASMEND
	;;#ASMSTART
	v_dot2c_f32_f16 v65, v27, v15
	;;#ASMEND
	s_waitcnt vmcnt(2)
	;;#ASMSTART
	v_dot2c_f32_f16 v91, v60, v8
	;;#ASMEND
	;;#ASMSTART
	v_dot2c_f32_f16 v90, v52, v8
	;;#ASMEND
	;;#ASMSTART
	v_dot2c_f32_f16 v89, v84, v8
	;;#ASMEND
	;;#ASMSTART
	v_dot2c_f32_f16 v65, v44, v8
	;;#ASMEND
	s_nop 0
	;;#ASMSTART
	v_dot2c_f32_f16 v91, v61, v9
	;;#ASMEND
	;;#ASMSTART
	v_dot2c_f32_f16 v90, v53, v9
	;;#ASMEND
	;;#ASMSTART
	v_dot2c_f32_f16 v89, v85, v9
	;;#ASMEND
	;;#ASMSTART
	v_dot2c_f32_f16 v65, v45, v9
	;;#ASMEND
	s_nop 0
	;;#ASMSTART
	v_dot2c_f32_f16 v91, v62, v10
	;;#ASMEND
	;;#ASMSTART
	v_dot2c_f32_f16 v90, v54, v10
	;;#ASMEND
	;;#ASMSTART
	v_dot2c_f32_f16 v89, v82, v10
	;;#ASMEND
	;;#ASMSTART
	v_dot2c_f32_f16 v65, v46, v10
	;;#ASMEND
	s_nop 0
	;;#ASMSTART
	v_dot2c_f32_f16 v91, v63, v11
	;;#ASMEND
	;;#ASMSTART
	v_dot2c_f32_f16 v90, v55, v11
	;;#ASMEND
	;;#ASMSTART
	v_dot2c_f32_f16 v89, v83, v11
	;;#ASMEND
	;;#ASMSTART
	v_dot2c_f32_f16 v65, v47, v11
	;;#ASMEND
	s_waitcnt vmcnt(1)
	;;#ASMSTART
	v_dot2c_f32_f16 v91, v56, v4
	;;#ASMEND
	;;#ASMSTART
	v_dot2c_f32_f16 v90, v48, v4
	;;#ASMEND
	;;#ASMSTART
	v_dot2c_f32_f16 v89, v80, v4
	;;#ASMEND
	;;#ASMSTART
	v_dot2c_f32_f16 v65, v32, v4
	;;#ASMEND
	s_nop 0
	;;#ASMSTART
	v_dot2c_f32_f16 v91, v57, v5
	;;#ASMEND
	;;#ASMSTART
	v_dot2c_f32_f16 v90, v49, v5
	;;#ASMEND
	;;#ASMSTART
	v_dot2c_f32_f16 v89, v81, v5
	;;#ASMEND
	;;#ASMSTART
	v_dot2c_f32_f16 v65, v33, v5
	;;#ASMEND
	s_nop 0
	;;#ASMSTART
	v_dot2c_f32_f16 v91, v58, v6
	;;#ASMEND
	;;#ASMSTART
	v_dot2c_f32_f16 v90, v50, v6
	;;#ASMEND
	;;#ASMSTART
	v_dot2c_f32_f16 v89, v78, v6
	;;#ASMEND
	;;#ASMSTART
	v_dot2c_f32_f16 v65, v34, v6
	;;#ASMEND
	s_nop 0
	;; [unrolled: 52-line block ×3, first 2 shown]
	;;#ASMSTART
	v_dot2c_f32_f16 v91, v39, v3
	;;#ASMEND
	;;#ASMSTART
	v_dot2c_f32_f16 v90, v23, v3
	;;#ASMEND
	;; [unrolled: 3-line block ×4, first 2 shown]
	s_cbranch_scc1 .LBB98_25
.LBB98_20:                              ;   Parent Loop BB98_14 Depth=1
                                        ; =>  This Inner Loop Header: Depth=2
	v_add_u32_e32 v20, s36, v86
	v_min_u32_e32 v66, s29, v20
	v_add_u32_e32 v97, 0x100, v20
	v_lshl_add_u64 v[0:1], v[66:67], 1, v[68:69]
	v_min_u32_e32 v66, s29, v97
	v_add_u32_e32 v94, 0x200, v20
	v_lshl_add_u64 v[2:3], v[66:67], 1, v[68:69]
	;; [unrolled: 3-line block ×3, first 2 shown]
	v_min_u32_e32 v66, s29, v93
	global_load_dwordx4 v[12:15], v[0:1], off nt
	global_load_dwordx4 v[8:11], v[2:3], off nt
	v_lshl_add_u64 v[18:19], v[66:67], 1, v[68:69]
	global_load_dwordx4 v[4:7], v[16:17], off nt
	global_load_dwordx4 v[0:3], v[18:19], off nt
	v_cmp_gt_u32_e32 vcc, s4, v20
	v_mov_b32_e32 v40, 0
	v_mov_b32_e32 v41, 0
	v_mov_b32_e32 v42, 0
	v_mov_b32_e32 v43, 0
	v_mov_b32_e32 v28, 0
	v_mov_b32_e32 v29, 0
	v_mov_b32_e32 v30, 0
	v_mov_b32_e32 v31, 0
	v_mov_b32_e32 v74, 0
	v_mov_b32_e32 v75, 0
	v_mov_b32_e32 v76, 0
	v_mov_b32_e32 v77, 0
	v_mov_b32_e32 v24, 0
	v_mov_b32_e32 v25, 0
	v_mov_b32_e32 v26, 0
	v_mov_b32_e32 v27, 0
	v_mov_b32_e32 v60, 0
	v_mov_b32_e32 v61, 0
	v_mov_b32_e32 v62, 0
	v_mov_b32_e32 v63, 0
	v_mov_b32_e32 v52, 0
	v_mov_b32_e32 v53, 0
	v_mov_b32_e32 v54, 0
	v_mov_b32_e32 v55, 0
	v_mov_b32_e32 v84, 0
	v_mov_b32_e32 v85, 0
	v_mov_b32_e32 v82, 0
	v_mov_b32_e32 v83, 0
	v_mov_b32_e32 v44, 0
	v_mov_b32_e32 v45, 0
	v_mov_b32_e32 v46, 0
	v_mov_b32_e32 v47, 0
	v_mov_b32_e32 v56, 0
	v_mov_b32_e32 v57, 0
	v_mov_b32_e32 v58, 0
	v_mov_b32_e32 v59, 0
	v_mov_b32_e32 v48, 0
	v_mov_b32_e32 v49, 0
	v_mov_b32_e32 v50, 0
	v_mov_b32_e32 v51, 0
	v_mov_b32_e32 v80, 0
	v_mov_b32_e32 v81, 0
	v_mov_b32_e32 v78, 0
	v_mov_b32_e32 v79, 0
	v_mov_b32_e32 v32, 0
	v_mov_b32_e32 v33, 0
	v_mov_b32_e32 v34, 0
	v_mov_b32_e32 v35, 0
	v_mov_b32_e32 v36, 0
	v_mov_b32_e32 v37, 0
	v_mov_b32_e32 v38, 0
	v_mov_b32_e32 v39, 0
	v_mov_b32_e32 v20, 0
	v_mov_b32_e32 v21, 0
	v_mov_b32_e32 v22, 0
	v_mov_b32_e32 v23, 0
	v_mov_b32_e32 v72, 0
	v_mov_b32_e32 v73, 0
	v_mov_b32_e32 v70, 0
	v_mov_b32_e32 v71, 0
	v_mov_b32_e32 v16, 0
	v_mov_b32_e32 v17, 0
	v_mov_b32_e32 v18, 0
	v_mov_b32_e32 v19, 0
	s_and_saveexec_b64 s[20:21], vcc
	s_cbranch_execz .LBB98_19
; %bb.21:                               ;   in Loop: Header=BB98_20 Depth=2
	v_add_u32_e32 v66, s6, v92
	v_add_u32_e32 v95, s28, v92
	ds_read_b128 v[40:43], v92
	ds_read_b128 v[28:31], v66
	ds_read2_b32 v[74:75], v95 offset1:1
	v_add_u32_e32 v96, s35, v92
	ds_read2_b32 v[76:77], v95 offset0:2 offset1:3
	ds_read_b128 v[24:27], v96
	v_cmp_gt_u32_e32 vcc, s4, v97
	v_mov_b32_e32 v19, 0
	v_mov_b32_e32 v18, 0
	v_mov_b32_e32 v17, 0
	v_mov_b32_e32 v16, 0
	v_mov_b32_e32 v71, 0
	v_mov_b32_e32 v70, 0
	v_mov_b32_e32 v73, 0
	v_mov_b32_e32 v72, 0
	v_mov_b32_e32 v23, 0
	v_mov_b32_e32 v22, 0
	v_mov_b32_e32 v21, 0
	v_mov_b32_e32 v20, 0
	v_mov_b32_e32 v39, 0
	v_mov_b32_e32 v38, 0
	v_mov_b32_e32 v37, 0
	v_mov_b32_e32 v36, 0
	v_mov_b32_e32 v35, 0
	v_mov_b32_e32 v34, 0
	v_mov_b32_e32 v33, 0
	v_mov_b32_e32 v32, 0
	v_mov_b32_e32 v79, 0
	v_mov_b32_e32 v78, 0
	v_mov_b32_e32 v81, 0
	v_mov_b32_e32 v80, 0
	v_mov_b32_e32 v51, 0
	v_mov_b32_e32 v50, 0
	v_mov_b32_e32 v49, 0
	v_mov_b32_e32 v48, 0
	v_mov_b32_e32 v59, 0
	v_mov_b32_e32 v58, 0
	v_mov_b32_e32 v57, 0
	v_mov_b32_e32 v56, 0
	v_mov_b32_e32 v47, 0
	v_mov_b32_e32 v46, 0
	v_mov_b32_e32 v45, 0
	v_mov_b32_e32 v44, 0
	v_mov_b32_e32 v83, 0
	v_mov_b32_e32 v82, 0
	v_mov_b32_e32 v85, 0
	v_mov_b32_e32 v84, 0
	v_mov_b32_e32 v55, 0
	v_mov_b32_e32 v54, 0
	v_mov_b32_e32 v53, 0
	v_mov_b32_e32 v52, 0
	v_mov_b32_e32 v63, 0
	v_mov_b32_e32 v62, 0
	v_mov_b32_e32 v61, 0
	v_mov_b32_e32 v60, 0
	s_and_saveexec_b64 s[22:23], vcc
	s_cbranch_execz .LBB98_18
; %bb.22:                               ;   in Loop: Header=BB98_20 Depth=2
	ds_read_b128 v[60:63], v92 offset:512
	ds_read_b128 v[52:55], v66 offset:512
	ds_read2_b32 v[84:85], v95 offset0:128 offset1:129
	ds_read2_b32 v[82:83], v95 offset0:130 offset1:131
	ds_read_b128 v[44:47], v96 offset:512
	v_cmp_gt_u32_e32 vcc, s4, v94
	v_mov_b32_e32 v19, 0
	v_mov_b32_e32 v18, 0
	;; [unrolled: 1-line block ×32, first 2 shown]
	s_and_saveexec_b64 s[24:25], vcc
	s_cbranch_execz .LBB98_17
; %bb.23:                               ;   in Loop: Header=BB98_20 Depth=2
	v_add_u32_e32 v16, 0x400, v95
	ds_read_b128 v[56:59], v92 offset:1024
	v_add_u32_e32 v17, 0x408, v95
	ds_read2_b32 v[80:81], v16 offset1:1
	ds_read2_b32 v[78:79], v17 offset1:1
	ds_read_b128 v[48:51], v66 offset:1024
	ds_read_b128 v[32:35], v96 offset:1024
	v_cmp_gt_u32_e32 vcc, s4, v93
	v_mov_b32_e32 v19, 0
	v_mov_b32_e32 v18, 0
	;; [unrolled: 1-line block ×16, first 2 shown]
	s_and_saveexec_b64 s[26:27], vcc
	s_cbranch_execz .LBB98_16
; %bb.24:                               ;   in Loop: Header=BB98_20 Depth=2
	v_add_u32_e32 v16, 0x600, v95
	v_add_u32_e32 v17, 0x608, v95
	ds_read_b128 v[36:39], v92 offset:1536
	ds_read2_b32 v[72:73], v16 offset1:1
	ds_read2_b32 v[70:71], v17 offset1:1
	ds_read_b128 v[20:23], v66 offset:1536
	ds_read_b128 v[16:19], v96 offset:1536
	s_branch .LBB98_16
.LBB98_25:                              ;   in Loop: Header=BB98_14 Depth=1
	; sched_barrier mask(0x00000000)
	v_cvt_i32_f32_e32 v0, v91
	v_cvt_i32_f32_e32 v1, v90
	;; [unrolled: 1-line block ×4, first 2 shown]
	v_cvt_f32_i32_dpp v0, v0 row_shr:8 row_mask:0xf bank_mask:0xf bound_ctrl:1
	v_cvt_f32_i32_dpp v1, v1 row_shr:8 row_mask:0xf bank_mask:0xf bound_ctrl:1
	;; [unrolled: 1-line block ×4, first 2 shown]
	v_add_f32_e32 v0, v91, v0
	v_cvt_i32_f32_e32 v4, v0
	v_add_f32_e32 v1, v90, v1
	v_cvt_i32_f32_e32 v5, v1
	v_add_f32_e32 v2, v89, v2
	v_cvt_f32_i32_dpp v4, v4 row_shr:4 row_mask:0xf bank_mask:0xf bound_ctrl:1
	v_add_f32_e32 v3, v65, v3
	v_cvt_f32_i32_dpp v5, v5 row_shr:4 row_mask:0xf bank_mask:0xf bound_ctrl:1
	v_cvt_i32_f32_e32 v6, v2
	v_add_f32_e32 v0, v0, v4
	v_cvt_i32_f32_e32 v4, v0
	v_cvt_i32_f32_e32 v7, v3
	v_add_f32_e32 v1, v1, v5
	v_cvt_i32_f32_e32 v5, v1
	v_cvt_f32_i32_dpp v4, v4 row_shr:2 row_mask:0xf bank_mask:0xf bound_ctrl:1
	v_cvt_f32_i32_dpp v6, v6 row_shr:4 row_mask:0xf bank_mask:0xf bound_ctrl:1
	;; [unrolled: 1-line block ×4, first 2 shown]
	v_add_f32_e32 v0, v0, v4
	v_cvt_i32_f32_e32 v4, v0
	v_add_f32_e32 v2, v2, v6
	v_add_f32_e32 v3, v3, v7
	v_cvt_i32_f32_e32 v6, v2
	v_cvt_f32_i32_dpp v4, v4 row_shr:1 row_mask:0xf bank_mask:0xf bound_ctrl:1
	v_add_f32_e32 v1, v1, v5
	v_cvt_i32_f32_e32 v7, v3
	v_cvt_i32_f32_e32 v5, v1
	v_add_f32_e32 v0, v0, v4
	v_cvt_f32_i32_dpp v6, v6 row_shr:2 row_mask:0xf bank_mask:0xf bound_ctrl:1
	v_cvt_f32_i32_dpp v7, v7 row_shr:2 row_mask:0xf bank_mask:0xf bound_ctrl:1
	v_cvt_i32_f32_e32 v4, v0
	v_cvt_f32_i32_dpp v5, v5 row_shr:1 row_mask:0xf bank_mask:0xf bound_ctrl:1
	v_add_f32_e32 v2, v2, v6
	v_add_f32_e32 v3, v3, v7
	v_cvt_f32_i32_dpp v4, v4 row_bcast:15 row_mask:0xf bank_mask:0xf bound_ctrl:1
	v_add_f32_e32 v1, v1, v5
	v_cvt_i32_f32_e32 v5, v2
	v_cvt_i32_f32_e32 v6, v3
	v_add_f32_e32 v0, v0, v4
	v_cvt_i32_f32_e32 v7, v1
	v_cvt_f32_i32_dpp v5, v5 row_shr:1 row_mask:0xf bank_mask:0xf bound_ctrl:1
	v_cvt_f32_i32_dpp v4, v6 row_shr:1 row_mask:0xf bank_mask:0xf bound_ctrl:1
	v_cvt_f32_i32_dpp v6, v7 row_bcast:15 row_mask:0xf bank_mask:0xf bound_ctrl:1
	v_add_f32_e32 v5, v2, v5
	v_add_f32_e32 v4, v3, v4
	v_cvt_i32_f32_e32 v2, v5
	v_cvt_i32_f32_e32 v3, v4
	v_cvt_i32_f32_e32 v7, v0
	v_cvt_f32_i32_dpp v8, v2 row_bcast:15 row_mask:0xf bank_mask:0xf bound_ctrl:1
	v_add_f32_e32 v2, v1, v6
	v_cvt_f32_i32_dpp v1, v3 row_bcast:15 row_mask:0xf bank_mask:0xf bound_ctrl:1
	v_cvt_i32_f32_e32 v6, v2
	v_add_f32_e32 v3, v5, v8
	v_cvt_i32_f32_e32 v5, v3
	v_add_f32_e32 v1, v4, v1
	v_cvt_i32_f32_e32 v4, v1
	v_mov_b32_dpp v7, v7 row_bcast:31 row_mask:0xf bank_mask:0xf bound_ctrl:1
	v_mov_b32_dpp v6, v6 row_bcast:31 row_mask:0xf bank_mask:0xf bound_ctrl:1
	;; [unrolled: 1-line block ×4, first 2 shown]
	s_and_saveexec_b64 s[20:21], s[0:1]
	s_cbranch_execz .LBB98_13
; %bb.26:                               ;   in Loop: Header=BB98_14 Depth=1
	s_and_b64 vcc, exec, s[18:19]
	s_cbranch_vccz .LBB98_28
; %bb.27:                               ;   in Loop: Header=BB98_14 Depth=1
	v_mul_hi_u32 v8, v64, v87
	v_mul_lo_u32 v8, v8, s12
	v_sub_u32_e32 v8, v64, v8
	v_subrev_u32_e32 v9, s12, v8
	v_cmp_le_u32_e32 vcc, s12, v8
	v_mov_b32_e32 v65, v67
	s_nop 0
	v_cndmask_b32_e32 v8, v8, v9, vcc
	v_subrev_u32_e32 v9, s12, v8
	v_cmp_le_u32_e32 vcc, s12, v8
	s_nop 1
	v_cndmask_b32_e32 v66, v8, v9, vcc
	v_add_u32_e32 v8, s31, v66
	v_mov_b32_e32 v9, v67
	v_lshl_add_u64 v[12:13], v[66:67], 1, s[8:9]
	v_lshl_add_u64 v[14:15], v[8:9], 1, s[8:9]
	v_add_u32_e32 v8, s33, v66
	v_add_u32_e32 v66, s34, v66
	v_lshl_add_u64 v[16:17], v[8:9], 1, s[8:9]
	v_lshl_add_u64 v[18:19], v[66:67], 1, s[8:9]
	global_load_ushort v11, v[12:13], off
	global_load_ushort v10, v[14:15], off
	;; [unrolled: 1-line block ×4, first 2 shown]
	s_cbranch_execnz .LBB98_12
	s_branch .LBB98_29
.LBB98_28:                              ;   in Loop: Header=BB98_14 Depth=1
                                        ; implicit-def: $vgpr11
                                        ; implicit-def: $vgpr10
                                        ; implicit-def: $vgpr9
                                        ; implicit-def: $vgpr8
.LBB98_29:                              ;   in Loop: Header=BB98_14 Depth=1
	v_mov_b32_e32 v65, v67
	s_waitcnt vmcnt(0)
	v_mov_b32_e32 v8, 0
	v_mov_b32_e32 v9, 0
	;; [unrolled: 1-line block ×4, first 2 shown]
	s_branch .LBB98_12
.LBB98_30:
	s_endpgm
	.section	.rodata,"a",@progbits
	.p2align	6, 0x0
	.amdhsa_kernel _Z16wvSplitK_hf_sml_I6__halfLi32ELi1ELi16ELi8ELi4ELi4EEviiiiiiPKT_S3_S3_PS1_ii
		.amdhsa_group_segment_fixed_size 65536
		.amdhsa_private_segment_fixed_size 0
		.amdhsa_kernarg_size 64
		.amdhsa_user_sgpr_count 2
		.amdhsa_user_sgpr_dispatch_ptr 0
		.amdhsa_user_sgpr_queue_ptr 0
		.amdhsa_user_sgpr_kernarg_segment_ptr 1
		.amdhsa_user_sgpr_dispatch_id 0
		.amdhsa_user_sgpr_kernarg_preload_length 0
		.amdhsa_user_sgpr_kernarg_preload_offset 0
		.amdhsa_user_sgpr_private_segment_size 0
		.amdhsa_uses_dynamic_stack 0
		.amdhsa_enable_private_segment 0
		.amdhsa_system_sgpr_workgroup_id_x 1
		.amdhsa_system_sgpr_workgroup_id_y 0
		.amdhsa_system_sgpr_workgroup_id_z 0
		.amdhsa_system_sgpr_workgroup_info 0
		.amdhsa_system_vgpr_workitem_id 1
		.amdhsa_next_free_vgpr 98
		.amdhsa_next_free_sgpr 37
		.amdhsa_accum_offset 100
		.amdhsa_reserve_vcc 1
		.amdhsa_float_round_mode_32 0
		.amdhsa_float_round_mode_16_64 0
		.amdhsa_float_denorm_mode_32 3
		.amdhsa_float_denorm_mode_16_64 3
		.amdhsa_dx10_clamp 1
		.amdhsa_ieee_mode 1
		.amdhsa_fp16_overflow 0
		.amdhsa_tg_split 0
		.amdhsa_exception_fp_ieee_invalid_op 0
		.amdhsa_exception_fp_denorm_src 0
		.amdhsa_exception_fp_ieee_div_zero 0
		.amdhsa_exception_fp_ieee_overflow 0
		.amdhsa_exception_fp_ieee_underflow 0
		.amdhsa_exception_fp_ieee_inexact 0
		.amdhsa_exception_int_div_zero 0
	.end_amdhsa_kernel
	.section	.text._Z16wvSplitK_hf_sml_I6__halfLi32ELi1ELi16ELi8ELi4ELi4EEviiiiiiPKT_S3_S3_PS1_ii,"axG",@progbits,_Z16wvSplitK_hf_sml_I6__halfLi32ELi1ELi16ELi8ELi4ELi4EEviiiiiiPKT_S3_S3_PS1_ii,comdat
.Lfunc_end98:
	.size	_Z16wvSplitK_hf_sml_I6__halfLi32ELi1ELi16ELi8ELi4ELi4EEviiiiiiPKT_S3_S3_PS1_ii, .Lfunc_end98-_Z16wvSplitK_hf_sml_I6__halfLi32ELi1ELi16ELi8ELi4ELi4EEviiiiiiPKT_S3_S3_PS1_ii
                                        ; -- End function
	.section	.AMDGPU.csdata,"",@progbits
; Kernel info:
; codeLenInByte = 3328
; NumSgprs: 43
; NumVgprs: 98
; NumAgprs: 0
; TotalNumVgprs: 98
; ScratchSize: 0
; MemoryBound: 0
; FloatMode: 240
; IeeeMode: 1
; LDSByteSize: 65536 bytes/workgroup (compile time only)
; SGPRBlocks: 5
; VGPRBlocks: 12
; NumSGPRsForWavesPerEU: 43
; NumVGPRsForWavesPerEU: 98
; AccumOffset: 100
; Occupancy: 2
; WaveLimiterHint : 0
; COMPUTE_PGM_RSRC2:SCRATCH_EN: 0
; COMPUTE_PGM_RSRC2:USER_SGPR: 2
; COMPUTE_PGM_RSRC2:TRAP_HANDLER: 0
; COMPUTE_PGM_RSRC2:TGID_X_EN: 1
; COMPUTE_PGM_RSRC2:TGID_Y_EN: 0
; COMPUTE_PGM_RSRC2:TGID_Z_EN: 0
; COMPUTE_PGM_RSRC2:TIDIG_COMP_CNT: 1
; COMPUTE_PGM_RSRC3_GFX90A:ACCUM_OFFSET: 24
; COMPUTE_PGM_RSRC3_GFX90A:TG_SPLIT: 0
	.section	.text._Z12wvSplitK_hf_I6__halfLi32ELi1ELi16ELi8ELi4ELi4EEviiiiiiPKT_S3_S3_PS1_ii,"axG",@progbits,_Z12wvSplitK_hf_I6__halfLi32ELi1ELi16ELi8ELi4ELi4EEviiiiiiPKT_S3_S3_PS1_ii,comdat
	.protected	_Z12wvSplitK_hf_I6__halfLi32ELi1ELi16ELi8ELi4ELi4EEviiiiiiPKT_S3_S3_PS1_ii ; -- Begin function _Z12wvSplitK_hf_I6__halfLi32ELi1ELi16ELi8ELi4ELi4EEviiiiiiPKT_S3_S3_PS1_ii
	.globl	_Z12wvSplitK_hf_I6__halfLi32ELi1ELi16ELi8ELi4ELi4EEviiiiiiPKT_S3_S3_PS1_ii
	.p2align	8
	.type	_Z12wvSplitK_hf_I6__halfLi32ELi1ELi16ELi8ELi4ELi4EEviiiiiiPKT_S3_S3_PS1_ii,@function
_Z12wvSplitK_hf_I6__halfLi32ELi1ELi16ELi8ELi4ELi4EEviiiiiiPKT_S3_S3_PS1_ii: ; @_Z12wvSplitK_hf_I6__halfLi32ELi1ELi16ELi8ELi4ELi4EEviiiiiiPKT_S3_S3_PS1_ii
; %bb.0:
	s_load_dwordx2 s[4:5], s[0:1], 0x38
	s_load_dwordx2 s[16:17], s[0:1], 0x20
	s_load_dwordx4 s[8:11], s[0:1], 0x0
	s_load_dwordx2 s[18:19], s[0:1], 0x10
	v_bfe_u32 v5, v0, 10, 10
	s_waitcnt lgkmcnt(0)
	s_mul_i32 s2, s2, s4
	v_add_u32_e32 v80, s2, v5
	v_add_u32_e32 v1, 1, v80
	v_cmp_gt_u32_e32 vcc, s11, v80
	v_cmp_le_u32_e64 s[2:3], s11, v1
	s_and_b64 s[6:7], vcc, s[2:3]
	v_mov_b32_e32 v83, 1
	s_and_saveexec_b64 s[2:3], s[6:7]
; %bb.1:
	v_subrev_u32_e32 v1, s11, v80
	v_cmp_eq_u32_e32 vcc, -1, v1
	s_add_i32 s6, s11, -1
	v_mov_b32_e32 v80, s6
	v_cndmask_b32_e64 v83, 0, 1, vcc
; %bb.2:
	s_or_b64 exec, exec, s[2:3]
	v_and_b32_e32 v4, 0x3ff, v0
	v_lshlrev_b32_e32 v82, 3, v4
	s_lshl_b32 s33, s10, 2
	v_lshl_add_u32 v6, v5, 8, v82
	s_min_u32 s6, s33, 0x8000
	v_cmp_gt_u32_e32 vcc, s6, v6
	s_and_saveexec_b64 s[2:3], vcc
	s_cbranch_execz .LBB99_11
; %bb.3:
	v_lshlrev_b32_e32 v0, 1, v6
	global_load_dwordx4 v[8:11], v0, s[16:17]
	v_add_u32_e32 v1, 0x1000, v6
	v_cmp_gt_u32_e32 vcc, s6, v1
	s_waitcnt vmcnt(0)
	ds_write_b128 v0, v[8:11]
	s_and_saveexec_b64 s[12:13], vcc
	s_xor_b64 s[12:13], exec, s[12:13]
	s_cbranch_execz .LBB99_11
; %bb.4:
	v_mov_b32_e32 v1, 0
	v_lshl_add_u64 v[2:3], s[16:17], 0, v[0:1]
	v_add_co_u32_e32 v8, vcc, 0x2000, v2
	v_add_u32_e32 v1, 0x2000, v6
	s_nop 0
	v_addc_co_u32_e32 v9, vcc, 0, v3, vcc
	global_load_dwordx4 v[8:11], v[8:9], off
	v_cmp_gt_u32_e32 vcc, s6, v1
	s_waitcnt vmcnt(0)
	ds_write_b128 v0, v[8:11] offset:8192
	s_and_saveexec_b64 s[12:13], vcc
	s_xor_b64 s[12:13], exec, s[12:13]
	s_cbranch_execz .LBB99_11
; %bb.5:
	v_add_co_u32_e32 v8, vcc, 0x4000, v2
	v_add_u32_e32 v1, 0x3000, v6
	s_nop 0
	v_addc_co_u32_e32 v9, vcc, 0, v3, vcc
	global_load_dwordx4 v[8:11], v[8:9], off
	v_cmp_gt_u32_e32 vcc, s6, v1
	s_waitcnt vmcnt(0)
	ds_write_b128 v0, v[8:11] offset:16384
	s_and_saveexec_b64 s[12:13], vcc
	s_xor_b64 s[12:13], exec, s[12:13]
	s_cbranch_execz .LBB99_11
; %bb.6:
	;; [unrolled: 12-line block ×6, first 2 shown]
	v_add_co_u32_e32 v2, vcc, 0xe000, v2
	s_nop 1
	v_addc_co_u32_e32 v3, vcc, 0, v3, vcc
	global_load_dwordx4 v[6:9], v[2:3], off
	s_waitcnt vmcnt(0)
	ds_write_b128 v0, v[6:9] offset:57344
.LBB99_11:
	s_or_b64 exec, exec, s[2:3]
	v_cmp_gt_u32_e32 vcc, s4, v5
	v_cmp_gt_u32_e64 s[2:3], s11, v80
	s_and_b64 s[2:3], vcc, s[2:3]
	s_waitcnt lgkmcnt(0)
	s_barrier
	s_and_saveexec_b64 s[6:7], s[2:3]
	s_cbranch_execz .LBB99_94
; %bb.12:
	s_load_dwordx4 s[12:15], s[0:1], 0x28
	s_load_dwordx2 s[20:21], s[0:1], 0x18
	s_cmp_lg_u32 s8, 0
	s_cselect_b64 s[2:3], -1, 0
	s_add_i32 s36, s8, -8
	s_add_i32 s37, s11, -1
	s_waitcnt lgkmcnt(0)
	s_cmp_lg_u64 s[12:13], 0
	s_cselect_b64 s[24:25], -1, 0
	s_mul_i32 s38, s5, s4
	s_abs_i32 s4, s19
	v_cvt_f32_u32_e32 v0, s18
	v_cvt_f32_u32_e32 v1, s4
	s_sub_i32 s5, 0, s18
	s_sub_i32 s39, s38, s11
	v_rcp_iflag_f32_e32 v0, v0
	v_rcp_iflag_f32_e32 v1, v1
	s_add_i32 s39, s39, 2
	s_lshl_b32 s19, s10, 1
	v_mul_f32_e32 v0, 0x4f7ffffe, v0
	v_mul_f32_e32 v1, 0x4f7ffffe, v1
	v_cvt_u32_f32_e32 v0, v0
	v_cvt_u32_f32_e32 v1, v1
	v_cmp_eq_u32_e64 s[0:1], 31, v4
	s_mov_b64 s[22:23], 0
	v_mul_lo_u32 v2, s5, v0
	s_sub_i32 s5, 0, s4
	v_readfirstlane_b32 s6, v1
	s_mul_i32 s5, s5, s6
	s_mul_hi_u32 s5, s6, s5
	s_add_i32 s6, s6, s5
	s_sub_i32 s5, 1, s4
	s_cmp_lt_u32 s4, 2
	s_cselect_b32 s5, s5, 1
	s_sub_i32 s7, s5, s4
	s_cmp_ge_u32 s5, s4
	s_cselect_b32 s40, s7, s5
	s_lshr_b32 s5, s6, 31
	s_mul_i32 s5, s5, s4
	s_sub_i32 s5, 2, s5
	s_sub_i32 s7, s5, s4
	s_cmp_ge_u32 s5, s4
	s_cselect_b32 s5, s7, s5
	s_sub_i32 s7, s5, s4
	s_cmp_ge_u32 s5, s4
	s_cselect_b32 s41, s7, s5
	s_mul_hi_u32 s5, s6, 3
	s_mul_i32 s5, s5, s4
	s_sub_i32 s5, 3, s5
	s_sub_i32 s6, s5, s4
	s_cmp_ge_u32 s5, s4
	s_cselect_b32 s5, s6, s5
	s_sub_i32 s6, s5, s4
	v_mul_hi_u32 v2, v0, v2
	s_cmp_ge_u32 s5, s4
	v_add_u32_e32 v100, v0, v2
	s_cselect_b32 s42, s6, s5
	v_mad_u64_u32 v[86:87], s[4:5], s10, 3, v[82:83]
	v_cndmask_b32_e64 v0, 0, 1, s[2:3]
	v_mov_b32_e32 v85, 0
	s_mul_i32 s40, s40, s18
	s_mul_i32 s41, s41, s18
	;; [unrolled: 1-line block ×3, first 2 shown]
	v_lshlrev_b32_e32 v101, 4, v4
	s_mul_i32 s43, s10, 6
	v_add_u32_e32 v102, s19, v82
	v_add_u32_e32 v87, s10, v82
	v_cmp_ne_u32_e64 s[2:3], 1, v0
	s_movk_i32 s10, 0x7fff
	s_mov_b32 s26, 0
	s_branch .LBB99_14
.LBB99_13:                              ;   in Loop: Header=BB99_14 Depth=1
	s_or_b64 exec, exec, s[4:5]
	v_add_u32_e32 v0, s38, v80
	v_add_u32_e32 v1, 1, v0
	v_cmp_le_u32_e32 vcc, s11, v0
	v_cmp_gt_u32_e64 s[4:5], s11, v1
	v_add_u32_e32 v1, s39, v80
	v_cmp_eq_u32_e64 s[6:7], 1, v1
	v_mov_b32_e32 v1, s37
	s_or_b64 vcc, vcc, s[4:5]
	v_cndmask_b32_e32 v80, v1, v0, vcc
	v_cmp_le_u32_e64 s[4:5], s11, v80
	s_or_b64 vcc, vcc, s[6:7]
	s_or_b64 s[22:23], s[4:5], s[22:23]
	v_cndmask_b32_e32 v83, 0, v83, vcc
	s_andn2_b64 exec, exec, s[22:23]
	s_cbranch_execz .LBB99_94
.LBB99_14:                              ; =>This Loop Header: Depth=1
                                        ;     Child Loop BB99_21 Depth 2
	s_and_b64 vcc, exec, s[2:3]
	v_mov_b32_e32 v105, v85
	v_mov_b32_e32 v104, v85
	;; [unrolled: 1-line block ×4, first 2 shown]
	s_cbranch_vccnz .LBB99_89
; %bb.15:                               ;   in Loop: Header=BB99_14 Depth=1
	v_min_u32_e32 v0, s37, v80
	v_mul_lo_u32 v84, v0, s9
	v_lshl_add_u64 v[88:89], v[84:85], 1, s[20:21]
	v_mov_b32_e32 v81, 0
	v_mov_b32_e32 v106, v101
	;; [unrolled: 1-line block ×5, first 2 shown]
	s_mov_b32 s44, s26
	s_branch .LBB99_21
.LBB99_16:                              ;   in Loop: Header=BB99_21 Depth=2
	s_or_b64 exec, exec, s[34:35]
.LBB99_17:                              ;   in Loop: Header=BB99_21 Depth=2
	s_or_b64 exec, exec, s[30:31]
.LBB99_18:                              ;   in Loop: Header=BB99_21 Depth=2
	s_or_b64 exec, exec, s[28:29]
.LBB99_19:                              ;   in Loop: Header=BB99_21 Depth=2
	s_or_b64 exec, exec, s[6:7]
.LBB99_20:                              ;   in Loop: Header=BB99_21 Depth=2
	s_or_b64 exec, exec, s[4:5]
	s_waitcnt vmcnt(0) lgkmcnt(0)
	;;#ASMSTART
	v_dot2c_f32_f16 v105, v28, v12
	;;#ASMEND
	;;#ASMSTART
	v_dot2c_f32_f16 v104, v24, v12
	;;#ASMEND
	;; [unrolled: 3-line block ×4, first 2 shown]
	s_addk_i32 s44, 0x400
	;;#ASMSTART
	v_dot2c_f32_f16 v105, v29, v13
	;;#ASMEND
	;;#ASMSTART
	v_dot2c_f32_f16 v104, v25, v13
	;;#ASMEND
	;; [unrolled: 3-line block ×4, first 2 shown]
	s_cmp_ge_u32 s44, s8
	;;#ASMSTART
	v_dot2c_f32_f16 v105, v30, v14
	;;#ASMEND
	;;#ASMSTART
	v_dot2c_f32_f16 v104, v26, v14
	;;#ASMEND
	;; [unrolled: 3-line block ×4, first 2 shown]
	v_add_u32_e32 v106, 0x800, v106
	;;#ASMSTART
	v_dot2c_f32_f16 v105, v31, v15
	;;#ASMEND
	;;#ASMSTART
	v_dot2c_f32_f16 v104, v27, v15
	;;#ASMEND
	;;#ASMSTART
	v_dot2c_f32_f16 v103, v23, v15
	;;#ASMEND
	;;#ASMSTART
	v_dot2c_f32_f16 v81, v19, v15
	;;#ASMEND
	s_nop 0
	;;#ASMSTART
	v_dot2c_f32_f16 v105, v44, v4
	;;#ASMEND
	;;#ASMSTART
	v_dot2c_f32_f16 v104, v40, v4
	;;#ASMEND
	;;#ASMSTART
	v_dot2c_f32_f16 v103, v36, v4
	;;#ASMEND
	;;#ASMSTART
	v_dot2c_f32_f16 v81, v32, v4
	;;#ASMEND
	s_nop 0
	;; [unrolled: 13-line block ×12, first 2 shown]
	;;#ASMSTART
	v_dot2c_f32_f16 v105, v79, v3
	;;#ASMEND
	;;#ASMSTART
	v_dot2c_f32_f16 v104, v75, v3
	;;#ASMEND
	;; [unrolled: 3-line block ×4, first 2 shown]
	s_cbranch_scc1 .LBB99_89
.LBB99_21:                              ;   Parent Loop BB99_14 Depth=1
                                        ; =>  This Inner Loop Header: Depth=2
	v_add_u32_e32 v92, s44, v82
	v_min_u32_e32 v84, s36, v92
	v_add_u32_e32 v98, 0x100, v92
	v_lshl_add_u64 v[0:1], v[84:85], 1, v[88:89]
	v_min_u32_e32 v84, s36, v98
	v_add_u32_e32 v96, 0x200, v92
	v_lshl_add_u64 v[2:3], v[84:85], 1, v[88:89]
	;; [unrolled: 3-line block ×3, first 2 shown]
	v_min_u32_e32 v84, s36, v90
	global_load_dwordx4 v[12:15], v[0:1], off nt
	global_load_dwordx4 v[4:7], v[2:3], off nt
	v_lshl_add_u64 v[18:19], v[84:85], 1, v[88:89]
	global_load_dwordx4 v[8:11], v[16:17], off nt
	global_load_dwordx4 v[0:3], v[18:19], off nt
	s_mov_b32 s27, s26
	v_cmp_gt_u32_e32 vcc, s8, v92
	v_mov_b64_e32 v[66:67], s[26:27]
	v_mov_b32_e32 v71, 0
	v_mov_b32_e32 v70, 0
	;; [unrolled: 1-line block ×4, first 2 shown]
	v_mov_b64_e32 v[64:65], s[26:27]
	v_mov_b64_e32 v[74:75], s[26:27]
	;; [unrolled: 1-line block ×29, first 2 shown]
	s_and_saveexec_b64 s[4:5], vcc
	s_cbranch_execz .LBB99_20
; %bb.22:                               ;   in Loop: Header=BB99_21 Depth=2
	v_cmp_lt_u32_e32 vcc, s10, v92
                                        ; implicit-def: $vgpr30_vgpr31
	s_and_saveexec_b64 s[6:7], vcc
	s_xor_b64 s[6:7], exec, s[6:7]
	s_cbranch_execz .LBB99_24
; %bb.23:                               ;   in Loop: Header=BB99_21 Depth=2
	v_mov_b32_e32 v93, v85
	v_lshl_add_u64 v[16:17], v[92:93], 1, s[16:17]
	global_load_dwordx4 v[28:31], v[16:17], off
.LBB99_24:                              ;   in Loop: Header=BB99_21 Depth=2
	s_andn2_saveexec_b64 s[6:7], s[6:7]
	s_cbranch_execz .LBB99_26
; %bb.25:                               ;   in Loop: Header=BB99_21 Depth=2
	s_waitcnt vmcnt(0)
	ds_read_b128 v[28:31], v106
.LBB99_26:                              ;   in Loop: Header=BB99_21 Depth=2
	s_or_b64 exec, exec, s[6:7]
	v_add_u32_e32 v84, s44, v87
	v_cmp_lt_u32_e32 vcc, s10, v84
                                        ; implicit-def: $vgpr26_vgpr27
	s_and_saveexec_b64 s[6:7], vcc
	s_xor_b64 s[6:7], exec, s[6:7]
	s_cbranch_execz .LBB99_28
; %bb.27:                               ;   in Loop: Header=BB99_21 Depth=2
	v_lshl_add_u64 v[16:17], v[84:85], 1, s[16:17]
	global_load_dwordx4 v[24:27], v[16:17], off
.LBB99_28:                              ;   in Loop: Header=BB99_21 Depth=2
	s_andn2_saveexec_b64 s[6:7], s[6:7]
	s_cbranch_execz .LBB99_30
; %bb.29:                               ;   in Loop: Header=BB99_21 Depth=2
	v_add_u32_e32 v16, s19, v106
	s_waitcnt vmcnt(0)
	ds_read_b128 v[24:27], v16
.LBB99_30:                              ;   in Loop: Header=BB99_21 Depth=2
	s_or_b64 exec, exec, s[6:7]
	v_add_u32_e32 v94, s44, v102
	v_cmp_lt_u32_e32 vcc, s10, v94
                                        ; implicit-def: $vgpr22_vgpr23
	s_and_saveexec_b64 s[6:7], vcc
	s_xor_b64 s[6:7], exec, s[6:7]
	s_cbranch_execz .LBB99_32
; %bb.31:                               ;   in Loop: Header=BB99_21 Depth=2
	v_mov_b32_e32 v95, v85
	v_lshl_add_u64 v[16:17], v[94:95], 1, s[16:17]
	global_load_dwordx4 v[20:23], v[16:17], off
.LBB99_32:                              ;   in Loop: Header=BB99_21 Depth=2
	s_andn2_saveexec_b64 s[6:7], s[6:7]
	s_cbranch_execz .LBB99_34
; %bb.33:                               ;   in Loop: Header=BB99_21 Depth=2
	v_add_u32_e32 v16, s33, v106
	s_waitcnt vmcnt(0)
	ds_read2_b32 v[20:21], v16 offset1:1
	ds_read2_b32 v[22:23], v16 offset0:2 offset1:3
.LBB99_34:                              ;   in Loop: Header=BB99_21 Depth=2
	s_or_b64 exec, exec, s[6:7]
	v_add_u32_e32 v92, s44, v86
	v_cmp_lt_u32_e32 vcc, s10, v92
                                        ; implicit-def: $vgpr18_vgpr19
	s_and_saveexec_b64 s[6:7], vcc
	s_xor_b64 s[6:7], exec, s[6:7]
	s_cbranch_execz .LBB99_36
; %bb.35:                               ;   in Loop: Header=BB99_21 Depth=2
	v_mov_b32_e32 v93, v85
	v_lshl_add_u64 v[16:17], v[92:93], 1, s[16:17]
	global_load_dwordx4 v[16:19], v[16:17], off
.LBB99_36:                              ;   in Loop: Header=BB99_21 Depth=2
	s_andn2_saveexec_b64 s[6:7], s[6:7]
	s_cbranch_execz .LBB99_38
; %bb.37:                               ;   in Loop: Header=BB99_21 Depth=2
	s_waitcnt vmcnt(0)
	v_add_u32_e32 v16, s43, v106
	ds_read_b128 v[16:19], v16
.LBB99_38:                              ;   in Loop: Header=BB99_21 Depth=2
	s_or_b64 exec, exec, s[6:7]
	s_mov_b32 s27, s26
	v_cmp_gt_u32_e32 vcc, s8, v98
	v_mov_b32_e32 v71, 0
	v_mov_b64_e32 v[66:67], s[26:27]
	v_mov_b32_e32 v70, 0
	v_mov_b32_e32 v69, 0
	;; [unrolled: 1-line block ×3, first 2 shown]
	v_mov_b64_e32 v[64:65], s[26:27]
	v_mov_b64_e32 v[74:75], s[26:27]
	;; [unrolled: 1-line block ×21, first 2 shown]
	s_and_saveexec_b64 s[6:7], vcc
	s_cbranch_execz .LBB99_19
; %bb.39:                               ;   in Loop: Header=BB99_21 Depth=2
	v_cmp_lt_u32_e32 vcc, s10, v98
                                        ; implicit-def: $vgpr46_vgpr47
	s_and_saveexec_b64 s[28:29], vcc
	s_xor_b64 s[28:29], exec, s[28:29]
	s_cbranch_execz .LBB99_41
; %bb.40:                               ;   in Loop: Header=BB99_21 Depth=2
	v_mov_b32_e32 v99, v85
	v_lshl_add_u64 v[32:33], v[98:99], 1, s[16:17]
	global_load_dwordx4 v[44:47], v[32:33], off
.LBB99_41:                              ;   in Loop: Header=BB99_21 Depth=2
	s_andn2_saveexec_b64 s[28:29], s[28:29]
	s_cbranch_execz .LBB99_43
; %bb.42:                               ;   in Loop: Header=BB99_21 Depth=2
	s_waitcnt vmcnt(0)
	ds_read_b128 v[44:47], v106 offset:512
.LBB99_43:                              ;   in Loop: Header=BB99_21 Depth=2
	s_or_b64 exec, exec, s[28:29]
	v_add_u32_e32 v32, 0x100, v84
	v_cmp_lt_u32_e32 vcc, s10, v32
                                        ; implicit-def: $vgpr42_vgpr43
	s_and_saveexec_b64 s[28:29], vcc
	s_xor_b64 s[28:29], exec, s[28:29]
	s_cbranch_execz .LBB99_45
; %bb.44:                               ;   in Loop: Header=BB99_21 Depth=2
	v_mov_b32_e32 v33, v85
	v_lshl_add_u64 v[32:33], v[32:33], 1, s[16:17]
	global_load_dwordx4 v[40:43], v[32:33], off
.LBB99_45:                              ;   in Loop: Header=BB99_21 Depth=2
	s_andn2_saveexec_b64 s[28:29], s[28:29]
	s_cbranch_execz .LBB99_47
; %bb.46:                               ;   in Loop: Header=BB99_21 Depth=2
	v_add_u32_e32 v32, s19, v106
	s_waitcnt vmcnt(0)
	ds_read_b128 v[40:43], v32 offset:512
.LBB99_47:                              ;   in Loop: Header=BB99_21 Depth=2
	s_or_b64 exec, exec, s[28:29]
	v_add_u32_e32 v32, 0x100, v94
	v_cmp_lt_u32_e32 vcc, s10, v32
                                        ; implicit-def: $vgpr38_vgpr39
	s_and_saveexec_b64 s[28:29], vcc
	s_xor_b64 s[28:29], exec, s[28:29]
	s_cbranch_execz .LBB99_49
; %bb.48:                               ;   in Loop: Header=BB99_21 Depth=2
	v_mov_b32_e32 v33, v85
	v_lshl_add_u64 v[32:33], v[32:33], 1, s[16:17]
	global_load_dwordx4 v[36:39], v[32:33], off
.LBB99_49:                              ;   in Loop: Header=BB99_21 Depth=2
	s_andn2_saveexec_b64 s[28:29], s[28:29]
	s_cbranch_execz .LBB99_51
; %bb.50:                               ;   in Loop: Header=BB99_21 Depth=2
	v_add_u32_e32 v32, s33, v106
	s_waitcnt vmcnt(0)
	ds_read2_b32 v[36:37], v32 offset0:128 offset1:129
	ds_read2_b32 v[38:39], v32 offset0:130 offset1:131
.LBB99_51:                              ;   in Loop: Header=BB99_21 Depth=2
	s_or_b64 exec, exec, s[28:29]
	v_add_u32_e32 v32, 0x100, v92
	v_cmp_lt_u32_e32 vcc, s10, v32
                                        ; implicit-def: $vgpr34_vgpr35
	s_and_saveexec_b64 s[28:29], vcc
	s_xor_b64 s[28:29], exec, s[28:29]
	s_cbranch_execz .LBB99_53
; %bb.52:                               ;   in Loop: Header=BB99_21 Depth=2
	v_mov_b32_e32 v33, v85
	v_lshl_add_u64 v[32:33], v[32:33], 1, s[16:17]
	global_load_dwordx4 v[32:35], v[32:33], off
.LBB99_53:                              ;   in Loop: Header=BB99_21 Depth=2
	s_andn2_saveexec_b64 s[28:29], s[28:29]
	s_cbranch_execz .LBB99_55
; %bb.54:                               ;   in Loop: Header=BB99_21 Depth=2
	s_waitcnt vmcnt(0)
	v_add_u32_e32 v32, s43, v106
	ds_read_b128 v[32:35], v32 offset:512
.LBB99_55:                              ;   in Loop: Header=BB99_21 Depth=2
	s_or_b64 exec, exec, s[28:29]
	s_mov_b32 s27, s26
	v_cmp_gt_u32_e32 vcc, s8, v96
	v_mov_b32_e32 v71, 0
	v_mov_b64_e32 v[66:67], s[26:27]
	v_mov_b32_e32 v70, 0
	v_mov_b32_e32 v69, 0
	;; [unrolled: 1-line block ×3, first 2 shown]
	v_mov_b64_e32 v[64:65], s[26:27]
	v_mov_b64_e32 v[74:75], s[26:27]
	;; [unrolled: 1-line block ×13, first 2 shown]
	s_and_saveexec_b64 s[28:29], vcc
	s_cbranch_execz .LBB99_18
; %bb.56:                               ;   in Loop: Header=BB99_21 Depth=2
	v_cmp_lt_u32_e32 vcc, s10, v96
                                        ; implicit-def: $vgpr62_vgpr63
	s_and_saveexec_b64 s[30:31], vcc
	s_xor_b64 s[30:31], exec, s[30:31]
	s_cbranch_execz .LBB99_58
; %bb.57:                               ;   in Loop: Header=BB99_21 Depth=2
	v_mov_b32_e32 v97, v85
	v_lshl_add_u64 v[48:49], v[96:97], 1, s[16:17]
	global_load_dwordx4 v[60:63], v[48:49], off
.LBB99_58:                              ;   in Loop: Header=BB99_21 Depth=2
	s_andn2_saveexec_b64 s[30:31], s[30:31]
	s_cbranch_execz .LBB99_60
; %bb.59:                               ;   in Loop: Header=BB99_21 Depth=2
	s_waitcnt vmcnt(0)
	ds_read_b128 v[60:63], v106 offset:1024
.LBB99_60:                              ;   in Loop: Header=BB99_21 Depth=2
	s_or_b64 exec, exec, s[30:31]
	v_add_u32_e32 v48, 0x200, v84
	v_cmp_lt_u32_e32 vcc, s10, v48
                                        ; implicit-def: $vgpr54_vgpr55
	s_and_saveexec_b64 s[30:31], vcc
	s_xor_b64 s[30:31], exec, s[30:31]
	s_cbranch_execz .LBB99_62
; %bb.61:                               ;   in Loop: Header=BB99_21 Depth=2
	v_mov_b32_e32 v49, v85
	v_lshl_add_u64 v[48:49], v[48:49], 1, s[16:17]
	global_load_dwordx4 v[52:55], v[48:49], off
.LBB99_62:                              ;   in Loop: Header=BB99_21 Depth=2
	s_andn2_saveexec_b64 s[30:31], s[30:31]
	s_cbranch_execz .LBB99_64
; %bb.63:                               ;   in Loop: Header=BB99_21 Depth=2
	v_add_u32_e32 v48, s19, v106
	s_waitcnt vmcnt(0)
	ds_read_b128 v[52:55], v48 offset:1024
.LBB99_64:                              ;   in Loop: Header=BB99_21 Depth=2
	s_or_b64 exec, exec, s[30:31]
	v_add_u32_e32 v48, 0x200, v94
	v_cmp_lt_u32_e32 vcc, s10, v48
                                        ; implicit-def: $vgpr58_vgpr59
	s_and_saveexec_b64 s[30:31], vcc
	s_xor_b64 s[30:31], exec, s[30:31]
	s_cbranch_execz .LBB99_66
; %bb.65:                               ;   in Loop: Header=BB99_21 Depth=2
	v_mov_b32_e32 v49, v85
	v_lshl_add_u64 v[48:49], v[48:49], 1, s[16:17]
	global_load_dwordx4 v[56:59], v[48:49], off
.LBB99_66:                              ;   in Loop: Header=BB99_21 Depth=2
	s_andn2_saveexec_b64 s[30:31], s[30:31]
	s_cbranch_execz .LBB99_68
; %bb.67:                               ;   in Loop: Header=BB99_21 Depth=2
	v_add_u32_e32 v48, s33, v106
	v_add_u32_e32 v49, 0x400, v48
	;; [unrolled: 1-line block ×3, first 2 shown]
	s_waitcnt vmcnt(0)
	ds_read2_b32 v[56:57], v49 offset1:1
	ds_read2_b32 v[58:59], v48 offset1:1
.LBB99_68:                              ;   in Loop: Header=BB99_21 Depth=2
	s_or_b64 exec, exec, s[30:31]
	v_add_u32_e32 v48, 0x200, v92
	v_cmp_lt_u32_e32 vcc, s10, v48
                                        ; implicit-def: $vgpr50_vgpr51
	s_and_saveexec_b64 s[30:31], vcc
	s_xor_b64 s[30:31], exec, s[30:31]
	s_cbranch_execz .LBB99_70
; %bb.69:                               ;   in Loop: Header=BB99_21 Depth=2
	v_mov_b32_e32 v49, v85
	v_lshl_add_u64 v[48:49], v[48:49], 1, s[16:17]
	global_load_dwordx4 v[48:51], v[48:49], off
.LBB99_70:                              ;   in Loop: Header=BB99_21 Depth=2
	s_andn2_saveexec_b64 s[30:31], s[30:31]
	s_cbranch_execz .LBB99_72
; %bb.71:                               ;   in Loop: Header=BB99_21 Depth=2
	s_waitcnt vmcnt(0)
	v_add_u32_e32 v48, s43, v106
	ds_read_b128 v[48:51], v48 offset:1024
.LBB99_72:                              ;   in Loop: Header=BB99_21 Depth=2
	s_or_b64 exec, exec, s[30:31]
	s_mov_b32 s27, s26
	v_cmp_gt_u32_e32 vcc, s8, v90
	v_mov_b32_e32 v71, 0
	v_mov_b64_e32 v[66:67], s[26:27]
	v_mov_b32_e32 v70, 0
	v_mov_b32_e32 v69, 0
	v_mov_b32_e32 v68, 0
	v_mov_b64_e32 v[64:65], s[26:27]
	v_mov_b64_e32 v[74:75], s[26:27]
	;; [unrolled: 1-line block ×5, first 2 shown]
	s_and_saveexec_b64 s[30:31], vcc
	s_cbranch_execz .LBB99_17
; %bb.73:                               ;   in Loop: Header=BB99_21 Depth=2
	v_cmp_lt_u32_e32 vcc, s10, v90
                                        ; implicit-def: $vgpr78_vgpr79
	s_and_saveexec_b64 s[34:35], vcc
	s_xor_b64 s[34:35], exec, s[34:35]
	s_cbranch_execz .LBB99_75
; %bb.74:                               ;   in Loop: Header=BB99_21 Depth=2
	v_mov_b32_e32 v91, v85
	v_lshl_add_u64 v[64:65], v[90:91], 1, s[16:17]
	global_load_dwordx4 v[76:79], v[64:65], off
.LBB99_75:                              ;   in Loop: Header=BB99_21 Depth=2
	s_andn2_saveexec_b64 s[34:35], s[34:35]
	s_cbranch_execz .LBB99_77
; %bb.76:                               ;   in Loop: Header=BB99_21 Depth=2
	s_waitcnt vmcnt(0)
	ds_read_b128 v[76:79], v106 offset:1536
.LBB99_77:                              ;   in Loop: Header=BB99_21 Depth=2
	s_or_b64 exec, exec, s[34:35]
	v_add_u32_e32 v84, 0x300, v84
	v_cmp_lt_u32_e32 vcc, s10, v84
                                        ; implicit-def: $vgpr74_vgpr75
	s_and_saveexec_b64 s[34:35], vcc
	s_xor_b64 s[34:35], exec, s[34:35]
	s_cbranch_execz .LBB99_79
; %bb.78:                               ;   in Loop: Header=BB99_21 Depth=2
	v_lshl_add_u64 v[64:65], v[84:85], 1, s[16:17]
	global_load_dwordx4 v[72:75], v[64:65], off
.LBB99_79:                              ;   in Loop: Header=BB99_21 Depth=2
	s_andn2_saveexec_b64 s[34:35], s[34:35]
	s_cbranch_execz .LBB99_81
; %bb.80:                               ;   in Loop: Header=BB99_21 Depth=2
	v_add_u32_e32 v64, s19, v106
	s_waitcnt vmcnt(0)
	ds_read_b128 v[72:75], v64 offset:1536
.LBB99_81:                              ;   in Loop: Header=BB99_21 Depth=2
	s_or_b64 exec, exec, s[34:35]
	v_add_u32_e32 v84, 0x300, v94
	v_cmp_lt_u32_e32 vcc, s10, v84
                                        ; implicit-def: $vgpr66_vgpr67
	s_and_saveexec_b64 s[34:35], vcc
	s_xor_b64 s[34:35], exec, s[34:35]
	s_cbranch_execz .LBB99_83
; %bb.82:                               ;   in Loop: Header=BB99_21 Depth=2
	v_lshl_add_u64 v[64:65], v[84:85], 1, s[16:17]
	global_load_dwordx4 v[64:67], v[64:65], off
.LBB99_83:                              ;   in Loop: Header=BB99_21 Depth=2
	s_andn2_saveexec_b64 s[34:35], s[34:35]
	s_cbranch_execz .LBB99_85
; %bb.84:                               ;   in Loop: Header=BB99_21 Depth=2
	s_waitcnt vmcnt(0)
	v_add_u32_e32 v64, s33, v106
	v_add_u32_e32 v65, 0x600, v64
	;; [unrolled: 1-line block ×3, first 2 shown]
	ds_read2_b32 v[64:65], v65 offset1:1
	ds_read2_b32 v[66:67], v66 offset1:1
.LBB99_85:                              ;   in Loop: Header=BB99_21 Depth=2
	s_or_b64 exec, exec, s[34:35]
	v_add_u32_e32 v84, 0x300, v92
	v_cmp_lt_u32_e32 vcc, s10, v84
                                        ; implicit-def: $vgpr71
	s_and_saveexec_b64 s[34:35], vcc
	s_xor_b64 s[34:35], exec, s[34:35]
	s_cbranch_execz .LBB99_87
; %bb.86:                               ;   in Loop: Header=BB99_21 Depth=2
	v_lshl_add_u64 v[68:69], v[84:85], 1, s[16:17]
	global_load_dwordx4 v[68:71], v[68:69], off
.LBB99_87:                              ;   in Loop: Header=BB99_21 Depth=2
	s_andn2_saveexec_b64 s[34:35], s[34:35]
	s_cbranch_execz .LBB99_16
; %bb.88:                               ;   in Loop: Header=BB99_21 Depth=2
	s_waitcnt vmcnt(0)
	v_add_u32_e32 v68, s43, v106
	ds_read_b128 v[68:71], v68 offset:1536
	s_branch .LBB99_16
.LBB99_89:                              ;   in Loop: Header=BB99_14 Depth=1
	v_cvt_i32_f32_e32 v0, v105
	v_cvt_i32_f32_e32 v1, v104
	;; [unrolled: 1-line block ×4, first 2 shown]
	v_cvt_f32_i32_dpp v0, v0 row_shr:8 row_mask:0xf bank_mask:0xf bound_ctrl:1
	v_cvt_f32_i32_dpp v1, v1 row_shr:8 row_mask:0xf bank_mask:0xf bound_ctrl:1
	v_cvt_f32_i32_dpp v2, v2 row_shr:8 row_mask:0xf bank_mask:0xf bound_ctrl:1
	v_cvt_f32_i32_dpp v3, v3 row_shr:8 row_mask:0xf bank_mask:0xf bound_ctrl:1
	v_add_f32_e32 v0, v105, v0
	v_cvt_i32_f32_e32 v4, v0
	v_add_f32_e32 v1, v104, v1
	v_cvt_i32_f32_e32 v5, v1
	v_add_f32_e32 v2, v103, v2
	v_cvt_f32_i32_dpp v4, v4 row_shr:4 row_mask:0xf bank_mask:0xf bound_ctrl:1
	v_add_f32_e32 v3, v81, v3
	v_cvt_f32_i32_dpp v5, v5 row_shr:4 row_mask:0xf bank_mask:0xf bound_ctrl:1
	v_cvt_i32_f32_e32 v6, v2
	v_add_f32_e32 v0, v0, v4
	v_cvt_i32_f32_e32 v4, v0
	v_cvt_i32_f32_e32 v7, v3
	v_add_f32_e32 v1, v1, v5
	v_cvt_i32_f32_e32 v5, v1
	v_cvt_f32_i32_dpp v4, v4 row_shr:2 row_mask:0xf bank_mask:0xf bound_ctrl:1
	v_cvt_f32_i32_dpp v6, v6 row_shr:4 row_mask:0xf bank_mask:0xf bound_ctrl:1
	;; [unrolled: 1-line block ×4, first 2 shown]
	v_add_f32_e32 v0, v0, v4
	v_cvt_i32_f32_e32 v4, v0
	v_add_f32_e32 v2, v2, v6
	v_add_f32_e32 v3, v3, v7
	v_cvt_i32_f32_e32 v6, v2
	v_cvt_f32_i32_dpp v4, v4 row_shr:1 row_mask:0xf bank_mask:0xf bound_ctrl:1
	v_add_f32_e32 v1, v1, v5
	v_cvt_i32_f32_e32 v7, v3
	v_cvt_i32_f32_e32 v5, v1
	v_add_f32_e32 v0, v0, v4
	v_cvt_f32_i32_dpp v6, v6 row_shr:2 row_mask:0xf bank_mask:0xf bound_ctrl:1
	v_cvt_f32_i32_dpp v7, v7 row_shr:2 row_mask:0xf bank_mask:0xf bound_ctrl:1
	v_cvt_i32_f32_e32 v4, v0
	v_cvt_f32_i32_dpp v5, v5 row_shr:1 row_mask:0xf bank_mask:0xf bound_ctrl:1
	v_add_f32_e32 v2, v2, v6
	v_add_f32_e32 v3, v3, v7
	v_cvt_f32_i32_dpp v4, v4 row_bcast:15 row_mask:0xf bank_mask:0xf bound_ctrl:1
	v_add_f32_e32 v1, v1, v5
	v_cvt_i32_f32_e32 v5, v2
	v_cvt_i32_f32_e32 v6, v3
	v_add_f32_e32 v0, v0, v4
	v_cvt_i32_f32_e32 v7, v1
	v_cvt_f32_i32_dpp v5, v5 row_shr:1 row_mask:0xf bank_mask:0xf bound_ctrl:1
	v_cvt_f32_i32_dpp v4, v6 row_shr:1 row_mask:0xf bank_mask:0xf bound_ctrl:1
	v_cvt_f32_i32_dpp v6, v7 row_bcast:15 row_mask:0xf bank_mask:0xf bound_ctrl:1
	v_add_f32_e32 v2, v2, v5
	v_add_f32_e32 v3, v3, v4
	v_cvt_i32_f32_e32 v5, v2
	v_cvt_i32_f32_e32 v4, v3
	v_add_f32_e32 v1, v1, v6
	v_cvt_i32_f32_e32 v7, v0
	v_cvt_f32_i32_dpp v5, v5 row_bcast:15 row_mask:0xf bank_mask:0xf bound_ctrl:1
	v_cvt_f32_i32_dpp v4, v4 row_bcast:15 row_mask:0xf bank_mask:0xf bound_ctrl:1
	v_cvt_i32_f32_e32 v6, v1
	v_mov_b32_dpp v7, v7 row_bcast:31 row_mask:0xf bank_mask:0xf bound_ctrl:1
	v_add_f32_e32 v2, v2, v5
	v_add_f32_e32 v3, v3, v4
	v_cvt_i32_f32_e32 v5, v2
	v_cvt_i32_f32_e32 v4, v3
	v_mov_b32_dpp v6, v6 row_bcast:31 row_mask:0xf bank_mask:0xf bound_ctrl:1
	v_mov_b32_dpp v5, v5 row_bcast:31 row_mask:0xf bank_mask:0xf bound_ctrl:1
	;; [unrolled: 1-line block ×3, first 2 shown]
	s_and_saveexec_b64 s[4:5], s[0:1]
	s_cbranch_execz .LBB99_13
; %bb.90:                               ;   in Loop: Header=BB99_14 Depth=1
	s_andn2_b64 vcc, exec, s[24:25]
	s_waitcnt vmcnt(0)
	v_mov_b32_e32 v8, 0
	v_mov_b32_e32 v9, 0
	;; [unrolled: 1-line block ×4, first 2 shown]
	s_cbranch_vccnz .LBB99_92
; %bb.91:                               ;   in Loop: Header=BB99_14 Depth=1
	v_mul_hi_u32 v8, v80, v100
	v_mul_lo_u32 v8, v8, s18
	v_sub_u32_e32 v8, v80, v8
	v_subrev_u32_e32 v9, s18, v8
	v_cmp_le_u32_e32 vcc, s18, v8
	s_nop 1
	v_cndmask_b32_e32 v8, v8, v9, vcc
	v_subrev_u32_e32 v9, s18, v8
	v_cmp_le_u32_e32 vcc, s18, v8
	s_nop 1
	v_cndmask_b32_e32 v84, v8, v9, vcc
	v_add_u32_e32 v8, s40, v84
	v_mov_b32_e32 v9, v85
	v_lshl_add_u64 v[12:13], v[84:85], 1, s[12:13]
	v_lshl_add_u64 v[14:15], v[8:9], 1, s[12:13]
	v_add_u32_e32 v8, s41, v84
	v_add_u32_e32 v84, s42, v84
	v_lshl_add_u64 v[16:17], v[8:9], 1, s[12:13]
	v_lshl_add_u64 v[18:19], v[84:85], 1, s[12:13]
	global_load_ushort v11, v[12:13], off
	global_load_ushort v10, v[14:15], off
	;; [unrolled: 1-line block ×4, first 2 shown]
.LBB99_92:                              ;   in Loop: Header=BB99_14 Depth=1
	v_cmp_ne_u32_e32 vcc, 0, v83
	s_and_b64 exec, exec, vcc
	s_cbranch_execz .LBB99_13
; %bb.93:                               ;   in Loop: Header=BB99_14 Depth=1
	v_cvt_f32_i32_e32 v7, v7
	v_cvt_f32_i32_e32 v5, v5
	;; [unrolled: 1-line block ×4, first 2 shown]
	v_add_f32_e32 v0, v0, v7
	s_waitcnt vmcnt(3)
	v_cvt_f32_f16_e32 v7, v11
	v_add_f32_e32 v2, v2, v5
	v_add_f32_e32 v3, v3, v4
	s_waitcnt vmcnt(2)
	v_cvt_f32_f16_e32 v5, v10
	v_add_f32_e32 v0, v0, v7
	v_cvt_f16_f32_e32 v4, v0
	v_mov_b32_e32 v81, v85
	v_add_f32_e32 v6, v1, v6
	v_lshl_add_u64 v[0:1], v[80:81], 1, s[14:15]
	global_store_short v[0:1], v4, off
	v_add_f32_e32 v0, v6, v5
	v_cvt_f16_f32_e32 v4, v0
	s_waitcnt vmcnt(2)
	v_cvt_f32_f16_e32 v5, v9
	v_add_u32_e32 v84, s11, v80
	v_lshl_add_u64 v[0:1], v[84:85], 1, s[14:15]
	global_store_short v[0:1], v4, off
	v_add_f32_e32 v0, v2, v5
	s_waitcnt vmcnt(2)
	v_cvt_f32_f16_e32 v2, v8
	v_cvt_f16_f32_e32 v4, v0
	v_add_u32_e32 v84, s11, v84
	v_lshl_add_u64 v[0:1], v[84:85], 1, s[14:15]
	v_add_f32_e32 v2, v3, v2
	v_cvt_f16_f32_e32 v2, v2
	v_add_u32_e32 v84, s11, v84
	global_store_short v[0:1], v4, off
	v_lshl_add_u64 v[0:1], v[84:85], 1, s[14:15]
	global_store_short v[0:1], v2, off
	s_branch .LBB99_13
.LBB99_94:
	s_endpgm
	.section	.rodata,"a",@progbits
	.p2align	6, 0x0
	.amdhsa_kernel _Z12wvSplitK_hf_I6__halfLi32ELi1ELi16ELi8ELi4ELi4EEviiiiiiPKT_S3_S3_PS1_ii
		.amdhsa_group_segment_fixed_size 65536
		.amdhsa_private_segment_fixed_size 0
		.amdhsa_kernarg_size 64
		.amdhsa_user_sgpr_count 2
		.amdhsa_user_sgpr_dispatch_ptr 0
		.amdhsa_user_sgpr_queue_ptr 0
		.amdhsa_user_sgpr_kernarg_segment_ptr 1
		.amdhsa_user_sgpr_dispatch_id 0
		.amdhsa_user_sgpr_kernarg_preload_length 0
		.amdhsa_user_sgpr_kernarg_preload_offset 0
		.amdhsa_user_sgpr_private_segment_size 0
		.amdhsa_uses_dynamic_stack 0
		.amdhsa_enable_private_segment 0
		.amdhsa_system_sgpr_workgroup_id_x 1
		.amdhsa_system_sgpr_workgroup_id_y 0
		.amdhsa_system_sgpr_workgroup_id_z 0
		.amdhsa_system_sgpr_workgroup_info 0
		.amdhsa_system_vgpr_workitem_id 1
		.amdhsa_next_free_vgpr 107
		.amdhsa_next_free_sgpr 45
		.amdhsa_accum_offset 108
		.amdhsa_reserve_vcc 1
		.amdhsa_float_round_mode_32 0
		.amdhsa_float_round_mode_16_64 0
		.amdhsa_float_denorm_mode_32 3
		.amdhsa_float_denorm_mode_16_64 3
		.amdhsa_dx10_clamp 1
		.amdhsa_ieee_mode 1
		.amdhsa_fp16_overflow 0
		.amdhsa_tg_split 0
		.amdhsa_exception_fp_ieee_invalid_op 0
		.amdhsa_exception_fp_denorm_src 0
		.amdhsa_exception_fp_ieee_div_zero 0
		.amdhsa_exception_fp_ieee_overflow 0
		.amdhsa_exception_fp_ieee_underflow 0
		.amdhsa_exception_fp_ieee_inexact 0
		.amdhsa_exception_int_div_zero 0
	.end_amdhsa_kernel
	.section	.text._Z12wvSplitK_hf_I6__halfLi32ELi1ELi16ELi8ELi4ELi4EEviiiiiiPKT_S3_S3_PS1_ii,"axG",@progbits,_Z12wvSplitK_hf_I6__halfLi32ELi1ELi16ELi8ELi4ELi4EEviiiiiiPKT_S3_S3_PS1_ii,comdat
.Lfunc_end99:
	.size	_Z12wvSplitK_hf_I6__halfLi32ELi1ELi16ELi8ELi4ELi4EEviiiiiiPKT_S3_S3_PS1_ii, .Lfunc_end99-_Z12wvSplitK_hf_I6__halfLi32ELi1ELi16ELi8ELi4ELi4EEviiiiiiPKT_S3_S3_PS1_ii
                                        ; -- End function
	.section	.AMDGPU.csdata,"",@progbits
; Kernel info:
; codeLenInByte = 4116
; NumSgprs: 51
; NumVgprs: 107
; NumAgprs: 0
; TotalNumVgprs: 107
; ScratchSize: 0
; MemoryBound: 1
; FloatMode: 240
; IeeeMode: 1
; LDSByteSize: 65536 bytes/workgroup (compile time only)
; SGPRBlocks: 6
; VGPRBlocks: 13
; NumSGPRsForWavesPerEU: 51
; NumVGPRsForWavesPerEU: 107
; AccumOffset: 108
; Occupancy: 2
; WaveLimiterHint : 0
; COMPUTE_PGM_RSRC2:SCRATCH_EN: 0
; COMPUTE_PGM_RSRC2:USER_SGPR: 2
; COMPUTE_PGM_RSRC2:TRAP_HANDLER: 0
; COMPUTE_PGM_RSRC2:TGID_X_EN: 1
; COMPUTE_PGM_RSRC2:TGID_Y_EN: 0
; COMPUTE_PGM_RSRC2:TGID_Z_EN: 0
; COMPUTE_PGM_RSRC2:TIDIG_COMP_CNT: 1
; COMPUTE_PGM_RSRC3_GFX90A:ACCUM_OFFSET: 26
; COMPUTE_PGM_RSRC3_GFX90A:TG_SPLIT: 0
	.section	.text._Z16wvSplitK_hf_big_I6__halfLi32ELi1ELi16ELi8ELi4ELi4EEviiiiiiPKT_S3_S3_PS1_ii,"axG",@progbits,_Z16wvSplitK_hf_big_I6__halfLi32ELi1ELi16ELi8ELi4ELi4EEviiiiiiPKT_S3_S3_PS1_ii,comdat
	.protected	_Z16wvSplitK_hf_big_I6__halfLi32ELi1ELi16ELi8ELi4ELi4EEviiiiiiPKT_S3_S3_PS1_ii ; -- Begin function _Z16wvSplitK_hf_big_I6__halfLi32ELi1ELi16ELi8ELi4ELi4EEviiiiiiPKT_S3_S3_PS1_ii
	.globl	_Z16wvSplitK_hf_big_I6__halfLi32ELi1ELi16ELi8ELi4ELi4EEviiiiiiPKT_S3_S3_PS1_ii
	.p2align	8
	.type	_Z16wvSplitK_hf_big_I6__halfLi32ELi1ELi16ELi8ELi4ELi4EEviiiiiiPKT_S3_S3_PS1_ii,@function
_Z16wvSplitK_hf_big_I6__halfLi32ELi1ELi16ELi8ELi4ELi4EEviiiiiiPKT_S3_S3_PS1_ii: ; @_Z16wvSplitK_hf_big_I6__halfLi32ELi1ELi16ELi8ELi4ELi4EEviiiiiiPKT_S3_S3_PS1_ii
; %bb.0:
	s_load_dwordx2 s[4:5], s[0:1], 0x38
	v_bfe_u32 v1, v0, 10, 10
	s_waitcnt lgkmcnt(0)
	v_cmp_gt_u32_e32 vcc, s4, v1
	s_and_saveexec_b64 s[6:7], vcc
	s_cbranch_execz .LBB100_38
; %bb.1:
	s_load_dwordx4 s[20:23], s[0:1], 0x0
	s_mul_i32 s2, s2, s4
	v_add_u32_e32 v80, s2, v1
	v_add_u32_e32 v2, 1, v80
	v_mov_b32_e32 v85, 1
	s_waitcnt lgkmcnt(0)
	v_cmp_gt_u32_e32 vcc, s23, v80
	v_cmp_le_u32_e64 s[2:3], s23, v2
	s_and_b64 s[6:7], vcc, s[2:3]
	s_and_saveexec_b64 s[2:3], s[6:7]
; %bb.2:
	v_subrev_u32_e32 v2, s23, v80
	v_cmp_eq_u32_e32 vcc, -1, v2
	s_add_i32 s6, s23, -1
	v_mov_b32_e32 v80, s6
	v_cndmask_b32_e64 v85, 0, 1, vcc
; %bb.3:
	s_or_b64 exec, exec, s[2:3]
	s_abs_i32 s2, s4
	v_cvt_f32_u32_e32 v2, s2
	s_sub_i32 s7, 0, s2
	s_abs_i32 s6, s23
	s_ashr_i32 s3, s23, 31
	v_rcp_iflag_f32_e32 v2, v2
	s_nop 0
	v_mul_f32_e32 v2, 0x4f7ffffe, v2
	v_cvt_u32_f32_e32 v2, v2
	s_nop 0
	v_readfirstlane_b32 s8, v2
	s_mul_i32 s7, s7, s8
	s_mul_hi_u32 s7, s8, s7
	s_add_i32 s8, s8, s7
	s_mul_hi_u32 s7, s6, s8
	s_mul_i32 s7, s7, s2
	s_sub_i32 s6, s6, s7
	s_sub_i32 s7, s6, s2
	s_cmp_ge_u32 s6, s2
	s_cselect_b32 s6, s7, s6
	s_sub_i32 s7, s6, s2
	s_cmp_ge_u32 s6, s2
	s_cselect_b32 s2, s7, s6
	s_xor_b32 s2, s2, s3
	s_sub_i32 s2, s2, s3
	s_add_i32 s3, s4, s23
	s_sub_i32 s3, s3, s2
	s_cmp_eq_u32 s2, 0
	s_cselect_b32 s33, s23, s3
	v_cmp_gt_u32_e32 vcc, s33, v80
	s_and_b64 exec, exec, vcc
	s_cbranch_execz .LBB100_38
; %bb.4:
	s_load_dwordx8 s[12:19], s[0:1], 0x10
	s_min_u32 s38, s22, 0x2000
	s_cmp_lg_u32 s20, 0
	s_cselect_b64 s[2:3], -1, 0
	s_cmp_lg_u32 s22, 0
	s_cselect_b64 s[6:7], -1, 0
	s_lshl_b32 s39, s4, 8
	s_add_i32 s40, s20, -8
	s_add_i32 s41, s23, -1
	s_waitcnt lgkmcnt(0)
	s_cmp_lg_u64 s[18:19], 0
	s_cselect_b64 s[26:27], -1, 0
	s_abs_i32 s8, s13
	v_cvt_f32_u32_e32 v2, s12
	v_cvt_f32_u32_e32 v3, s8
	s_mul_i32 s42, s5, s4
	s_sub_i32 s5, s42, s23
	v_rcp_iflag_f32_e32 v2, v2
	v_rcp_iflag_f32_e32 v3, v3
	s_add_i32 s13, s5, 2
	s_sub_i32 s5, 0, s12
	v_mul_f32_e32 v2, 0x4f7ffffe, v2
	v_mul_f32_e32 v3, 0x4f7ffffe, v3
	v_cvt_u32_f32_e32 v2, v2
	v_cvt_u32_f32_e32 v3, v3
	s_load_dwordx2 s[10:11], s[0:1], 0x30
	v_and_b32_e32 v0, 0x3ff, v0
	v_mul_lo_u32 v4, s5, v2
	s_sub_i32 s5, 0, s8
	v_readfirstlane_b32 s9, v3
	s_mul_i32 s5, s5, s9
	s_mul_hi_u32 s5, s9, s5
	s_add_i32 s9, s9, s5
	s_sub_i32 s5, 1, s8
	s_cmp_lt_u32 s8, 2
	s_cselect_b32 s5, s5, 1
	s_sub_i32 s28, s5, s8
	s_cmp_ge_u32 s5, s8
	s_cselect_b32 s43, s28, s5
	s_lshr_b32 s5, s9, 31
	s_mul_i32 s5, s5, s8
	s_sub_i32 s5, 2, s5
	s_sub_i32 s28, s5, s8
	s_cmp_ge_u32 s5, s8
	s_cselect_b32 s5, s28, s5
	s_sub_i32 s28, s5, s8
	s_cmp_ge_u32 s5, s8
	s_cselect_b32 s44, s28, s5
	s_mul_hi_u32 s5, s9, 3
	s_mul_i32 s5, s5, s8
	s_sub_i32 s5, 3, s5
	s_sub_i32 s9, s5, s8
	s_cmp_ge_u32 s5, s8
	s_cselect_b32 s5, s9, s5
	v_lshlrev_b32_e32 v90, 3, v0
	v_cmp_eq_u32_e64 s[0:1], 31, v0
	s_sub_i32 s9, s5, s8
	v_lshlrev_b32_e32 v0, 4, v0
	s_cmp_ge_u32 s5, s8
	v_lshl_add_u32 v92, v1, 9, v0
	v_lshl_add_u32 v84, v1, 8, v90
	v_cndmask_b32_e64 v0, 0, 1, s[2:3]
	v_mul_hi_u32 v4, v2, v4
	s_cselect_b32 s45, s9, s5
	s_lshl_b32 s47, s4, 9
	v_mad_u64_u32 v[86:87], s[4:5], s22, 3, v[84:85]
	v_cmp_ne_u32_e64 s[2:3], 1, v0
	v_cndmask_b32_e64 v0, 0, 1, s[6:7]
	s_mov_b64 s[24:25], 0
	v_add_u32_e32 v91, v2, v4
	v_mov_b32_e32 v83, 0
	s_mul_i32 s43, s43, s12
	s_mul_i32 s44, s44, s12
	;; [unrolled: 1-line block ×4, first 2 shown]
	s_lshl_b32 s48, s38, 2
	s_lshl_b32 s49, s38, 1
	v_lshl_add_u32 v93, s22, 1, v84
	v_add_u32_e32 v87, s22, v84
	v_cmp_ne_u32_e64 s[4:5], 1, v0
	s_branch .LBB100_7
.LBB100_5:                              ;   in Loop: Header=BB100_7 Depth=1
	s_or_b64 exec, exec, s[6:7]
.LBB100_6:                              ;   in Loop: Header=BB100_7 Depth=1
	s_or_b64 exec, exec, s[8:9]
	v_cmp_le_u32_e32 vcc, s33, v0
	s_or_b64 s[24:25], vcc, s[24:25]
	v_mov_b32_e32 v80, v0
	s_andn2_b64 exec, exec, s[24:25]
	s_cbranch_execz .LBB100_38
.LBB100_7:                              ; =>This Loop Header: Depth=1
                                        ;     Child Loop BB100_14 Depth 2
                                        ;       Child Loop BB100_19 Depth 3
	s_mov_b32 s50, 0
	s_and_b64 vcc, exec, s[2:3]
	v_mov_b32_e32 v96, v83
	v_mov_b32_e32 v95, v83
	v_mov_b32_e32 v94, v83
	v_mov_b32_e32 v81, v83
	s_cbranch_vccnz .LBB100_28
; %bb.8:                                ;   in Loop: Header=BB100_7 Depth=1
	v_min_u32_e32 v0, s41, v80
	v_mul_lo_u32 v82, v0, s21
	v_cmp_gt_u32_e64 s[6:7], s23, v80
	v_lshl_add_u64 v[88:89], v[82:83], 1, s[14:15]
	v_mov_b32_e32 v81, 0
	v_mov_b32_e32 v94, 0
	;; [unrolled: 1-line block ×4, first 2 shown]
	s_mov_b32 s51, 0
	s_branch .LBB100_14
.LBB100_9:                              ;   in Loop: Header=BB100_14 Depth=2
	s_or_b64 exec, exec, s[36:37]
.LBB100_10:                             ;   in Loop: Header=BB100_14 Depth=2
	s_or_b64 exec, exec, s[34:35]
.LBB100_11:                             ;   in Loop: Header=BB100_14 Depth=2
	s_or_b64 exec, exec, s[30:31]
.LBB100_12:                             ;   in Loop: Header=BB100_14 Depth=2
	s_or_b64 exec, exec, s[28:29]
	s_waitcnt vmcnt(3) lgkmcnt(0)
	;;#ASMSTART
	v_dot2c_f32_f16 v96, v76, v36
	;;#ASMEND
	;;#ASMSTART
	v_dot2c_f32_f16 v95, v68, v36
	;;#ASMEND
	;;#ASMSTART
	v_dot2c_f32_f16 v94, v60, v36
	;;#ASMEND
	;;#ASMSTART
	v_dot2c_f32_f16 v81, v56, v36
	;;#ASMEND
	s_nop 0
	;;#ASMSTART
	v_dot2c_f32_f16 v96, v77, v37
	;;#ASMEND
	;;#ASMSTART
	v_dot2c_f32_f16 v95, v69, v37
	;;#ASMEND
	;;#ASMSTART
	v_dot2c_f32_f16 v94, v61, v37
	;;#ASMEND
	;;#ASMSTART
	v_dot2c_f32_f16 v81, v57, v37
	;;#ASMEND
	s_nop 0
	;;#ASMSTART
	v_dot2c_f32_f16 v96, v78, v38
	;;#ASMEND
	;;#ASMSTART
	v_dot2c_f32_f16 v95, v70, v38
	;;#ASMEND
	;;#ASMSTART
	v_dot2c_f32_f16 v94, v62, v38
	;;#ASMEND
	;;#ASMSTART
	v_dot2c_f32_f16 v81, v58, v38
	;;#ASMEND
	s_nop 0
	;;#ASMSTART
	v_dot2c_f32_f16 v96, v79, v39
	;;#ASMEND
	;;#ASMSTART
	v_dot2c_f32_f16 v95, v71, v39
	;;#ASMEND
	;;#ASMSTART
	v_dot2c_f32_f16 v94, v63, v39
	;;#ASMEND
	;;#ASMSTART
	v_dot2c_f32_f16 v81, v59, v39
	;;#ASMEND
	s_waitcnt vmcnt(2)
	;;#ASMSTART
	v_dot2c_f32_f16 v96, v72, v16
	;;#ASMEND
	;;#ASMSTART
	v_dot2c_f32_f16 v95, v64, v16
	;;#ASMEND
	;;#ASMSTART
	v_dot2c_f32_f16 v94, v52, v16
	;;#ASMEND
	;;#ASMSTART
	v_dot2c_f32_f16 v81, v44, v16
	;;#ASMEND
	s_nop 0
	;;#ASMSTART
	v_dot2c_f32_f16 v96, v73, v17
	;;#ASMEND
	;;#ASMSTART
	v_dot2c_f32_f16 v95, v65, v17
	;;#ASMEND
	;;#ASMSTART
	v_dot2c_f32_f16 v94, v53, v17
	;;#ASMEND
	;;#ASMSTART
	v_dot2c_f32_f16 v81, v45, v17
	;;#ASMEND
	s_nop 0
	;;#ASMSTART
	v_dot2c_f32_f16 v96, v74, v18
	;;#ASMEND
	;;#ASMSTART
	v_dot2c_f32_f16 v95, v66, v18
	;;#ASMEND
	;;#ASMSTART
	v_dot2c_f32_f16 v94, v54, v18
	;;#ASMEND
	;;#ASMSTART
	v_dot2c_f32_f16 v81, v46, v18
	;;#ASMEND
	s_nop 0
	;;#ASMSTART
	v_dot2c_f32_f16 v96, v75, v19
	;;#ASMEND
	;;#ASMSTART
	v_dot2c_f32_f16 v95, v67, v19
	;;#ASMEND
	;;#ASMSTART
	v_dot2c_f32_f16 v94, v55, v19
	;;#ASMEND
	;;#ASMSTART
	v_dot2c_f32_f16 v81, v47, v19
	;;#ASMEND
	s_waitcnt vmcnt(1)
	;; [unrolled: 52-line block ×3, first 2 shown]
	;;#ASMSTART
	v_dot2c_f32_f16 v96, v24, v0
	;;#ASMEND
	;;#ASMSTART
	v_dot2c_f32_f16 v95, v20, v0
	;;#ASMEND
	;;#ASMSTART
	v_dot2c_f32_f16 v94, v12, v0
	;;#ASMEND
	;;#ASMSTART
	v_dot2c_f32_f16 v81, v8, v0
	;;#ASMEND
	s_nop 0
	;;#ASMSTART
	v_dot2c_f32_f16 v96, v25, v1
	;;#ASMEND
	;;#ASMSTART
	v_dot2c_f32_f16 v95, v21, v1
	;;#ASMEND
	;;#ASMSTART
	v_dot2c_f32_f16 v94, v13, v1
	;;#ASMEND
	;;#ASMSTART
	v_dot2c_f32_f16 v81, v9, v1
	;;#ASMEND
	s_nop 0
	;; [unrolled: 13-line block ×3, first 2 shown]
	;;#ASMSTART
	v_dot2c_f32_f16 v96, v27, v3
	;;#ASMEND
	;;#ASMSTART
	v_dot2c_f32_f16 v95, v23, v3
	;;#ASMEND
	;; [unrolled: 3-line block ×4, first 2 shown]
.LBB100_13:                             ;   in Loop: Header=BB100_14 Depth=2
	s_or_b64 exec, exec, s[8:9]
	s_addk_i32 s51, 0x400
	s_cmp_ge_u32 s51, s20
	s_cbranch_scc1 .LBB100_28
.LBB100_14:                             ;   Parent Loop BB100_7 Depth=1
                                        ; =>  This Loop Header: Depth=2
                                        ;       Child Loop BB100_19 Depth 3
	s_cmp_eq_u32 s51, 0
	s_cselect_b64 s[8:9], -1, 0
	s_add_i32 s28, s50, s38
	s_cmp_eq_u32 s51, s28
	s_cselect_b64 s[30:31], -1, 0
	s_or_b64 s[30:31], s[8:9], s[30:31]
	s_andn2_b64 vcc, exec, s[30:31]
	s_cbranch_vccz .LBB100_16
; %bb.15:                               ;   in Loop: Header=BB100_14 Depth=2
	s_and_saveexec_b64 s[8:9], s[6:7]
	s_cbranch_execz .LBB100_13
	s_branch .LBB100_23
.LBB100_16:                             ;   in Loop: Header=BB100_14 Depth=2
	s_and_b64 s[8:9], s[8:9], exec
	s_cselect_b32 s50, s50, s28
	s_and_b64 vcc, exec, s[4:5]
	s_waitcnt lgkmcnt(0)
	s_barrier
	s_cbranch_vccnz .LBB100_22
; %bb.17:                               ;   in Loop: Header=BB100_14 Depth=2
	v_add_u32_e32 v0, s50, v93
	v_add_u32_e32 v1, s50, v86
	;; [unrolled: 1-line block ×4, first 2 shown]
	s_mov_b32 s34, 0
	s_mov_b64 s[28:29], 0
	v_mov_b32_e32 v4, v92
                                        ; implicit-def: $sgpr30_sgpr31
	s_branch .LBB100_19
.LBB100_18:                             ;   in Loop: Header=BB100_19 Depth=3
	s_or_b64 exec, exec, s[8:9]
	s_and_b64 s[8:9], exec, s[30:31]
	s_or_b64 s[28:29], s[8:9], s[28:29]
	s_andn2_b64 exec, exec, s[28:29]
	s_cbranch_execz .LBB100_21
.LBB100_19:                             ;   Parent Loop BB100_7 Depth=1
                                        ;     Parent Loop BB100_14 Depth=2
                                        ; =>    This Inner Loop Header: Depth=3
	v_add_u32_e32 v5, s34, v84
	v_add_u32_e32 v82, s34, v3
	v_cmp_gt_u32_e32 vcc, s22, v82
	v_cmp_gt_u32_e64 s[8:9], s38, v5
	s_and_b64 s[36:37], s[8:9], vcc
	s_or_b64 s[30:31], s[30:31], exec
	s_and_saveexec_b64 s[8:9], s[36:37]
	s_cbranch_execz .LBB100_18
; %bb.20:                               ;   in Loop: Header=BB100_19 Depth=3
	v_lshl_add_u64 v[14:15], v[82:83], 1, s[16:17]
	v_add_u32_e32 v82, s34, v2
	v_lshl_add_u64 v[16:17], v[82:83], 1, s[16:17]
	v_add_u32_e32 v82, s34, v0
	global_load_dwordx4 v[6:9], v[14:15], off
	global_load_dwordx4 v[10:13], v[16:17], off
	v_lshl_add_u64 v[14:15], v[82:83], 1, s[16:17]
	v_add_u32_e32 v82, s34, v1
	global_load_dwordx4 v[14:17], v[14:15], off
	v_lshl_add_u64 v[18:19], v[82:83], 1, s[16:17]
	global_load_dwordx4 v[18:21], v[18:19], off
	s_add_i32 s34, s34, s39
	s_cmp_ge_u32 s34, s38
	s_cselect_b64 s[36:37], -1, 0
	s_andn2_b64 s[30:31], s[30:31], exec
	s_and_b64 s[36:37], s[36:37], exec
	v_add_u32_e32 v5, s49, v4
	v_add_u32_e32 v22, s48, v4
	;; [unrolled: 1-line block ×3, first 2 shown]
	s_or_b64 s[30:31], s[30:31], s[36:37]
	s_waitcnt vmcnt(3)
	ds_write_b128 v4, v[6:9]
	v_add_u32_e32 v4, s47, v4
	s_waitcnt vmcnt(2)
	ds_write2_b64 v5, v[10:11], v[12:13] offset1:1
	s_waitcnt vmcnt(1)
	ds_write2_b32 v22, v14, v15 offset1:1
	ds_write2_b32 v22, v16, v17 offset0:2 offset1:3
	s_waitcnt vmcnt(0)
	ds_write2_b64 v23, v[18:19], v[20:21] offset1:1
	s_branch .LBB100_18
.LBB100_21:                             ;   in Loop: Header=BB100_14 Depth=2
	s_or_b64 exec, exec, s[28:29]
.LBB100_22:                             ;   in Loop: Header=BB100_14 Depth=2
	s_waitcnt lgkmcnt(0)
	s_barrier
	s_and_saveexec_b64 s[8:9], s[6:7]
	s_cbranch_execz .LBB100_13
.LBB100_23:                             ;   in Loop: Header=BB100_14 Depth=2
	v_add_u32_e32 v99, s51, v90
	v_min_u32_e32 v82, s40, v99
	v_add_u32_e32 v102, 0x100, v99
	v_lshl_add_u64 v[0:1], v[82:83], 1, v[88:89]
	v_min_u32_e32 v82, s40, v102
	v_add_u32_e32 v98, 0x200, v99
	v_lshl_add_u64 v[2:3], v[82:83], 1, v[88:89]
	v_min_u32_e32 v82, s40, v98
	v_add_u32_e32 v97, 0x300, v99
	s_waitcnt vmcnt(0)
	v_lshl_add_u64 v[8:9], v[82:83], 1, v[88:89]
	v_min_u32_e32 v82, s40, v97
	global_load_dwordx4 v[36:39], v[0:1], off nt
	global_load_dwordx4 v[16:19], v[2:3], off nt
	v_lshl_add_u64 v[10:11], v[82:83], 1, v[88:89]
	global_load_dwordx4 v[4:7], v[8:9], off nt
	global_load_dwordx4 v[0:3], v[10:11], off nt
	v_cmp_gt_u32_e32 vcc, s20, v99
	v_mov_b32_e32 v76, 0
	v_mov_b32_e32 v77, 0
	;; [unrolled: 1-line block ×64, first 2 shown]
	s_and_saveexec_b64 s[28:29], vcc
	s_cbranch_execz .LBB100_12
; %bb.24:                               ;   in Loop: Header=BB100_14 Depth=2
	v_subrev_u32_e32 v8, s50, v99
	v_lshlrev_b32_e32 v101, 1, v8
	v_add_u32_e32 v100, s49, v101
	v_add_u32_e32 v99, s49, v100
	ds_read_b128 v[76:79], v101
	ds_read_b128 v[68:71], v100
	v_add_u32_e32 v82, s49, v99
	ds_read_b128 v[60:63], v99
	ds_read_b128 v[56:59], v82
	v_cmp_gt_u32_e32 vcc, s20, v102
	v_mov_b32_e32 v11, 0
	v_mov_b32_e32 v10, 0
	;; [unrolled: 1-line block ×48, first 2 shown]
	s_and_saveexec_b64 s[30:31], vcc
	s_cbranch_execz .LBB100_11
; %bb.25:                               ;   in Loop: Header=BB100_14 Depth=2
	ds_read_b128 v[72:75], v101 offset:512
	ds_read_b128 v[64:67], v100 offset:512
	;; [unrolled: 1-line block ×4, first 2 shown]
	v_cmp_gt_u32_e32 vcc, s20, v98
	v_mov_b32_e32 v11, 0
	v_mov_b32_e32 v10, 0
	;; [unrolled: 1-line block ×32, first 2 shown]
	s_and_saveexec_b64 s[34:35], vcc
	s_cbranch_execz .LBB100_10
; %bb.26:                               ;   in Loop: Header=BB100_14 Depth=2
	ds_read_b128 v[48:51], v101 offset:1024
	ds_read_b128 v[40:43], v100 offset:1024
	;; [unrolled: 1-line block ×4, first 2 shown]
	v_cmp_gt_u32_e32 vcc, s20, v97
	v_mov_b32_e32 v11, 0
	v_mov_b32_e32 v10, 0
	;; [unrolled: 1-line block ×16, first 2 shown]
	s_and_saveexec_b64 s[36:37], vcc
	s_cbranch_execz .LBB100_9
; %bb.27:                               ;   in Loop: Header=BB100_14 Depth=2
	ds_read_b128 v[24:27], v101 offset:1536
	ds_read_b128 v[20:23], v100 offset:1536
	;; [unrolled: 1-line block ×4, first 2 shown]
	s_branch .LBB100_9
.LBB100_28:                             ;   in Loop: Header=BB100_7 Depth=1
	v_cmp_le_u32_e32 vcc, s23, v80
                                        ; implicit-def: $vgpr0
	s_and_saveexec_b64 s[6:7], vcc
	s_xor_b64 s[6:7], exec, s[6:7]
; %bb.29:                               ;   in Loop: Header=BB100_7 Depth=1
	v_add_u32_e32 v0, s42, v80
                                        ; implicit-def: $vgpr80
                                        ; implicit-def: $vgpr96
                                        ; implicit-def: $vgpr95
                                        ; implicit-def: $vgpr94
                                        ; implicit-def: $vgpr81
; %bb.30:                               ;   in Loop: Header=BB100_7 Depth=1
	s_andn2_saveexec_b64 s[8:9], s[6:7]
	s_cbranch_execz .LBB100_6
; %bb.31:                               ;   in Loop: Header=BB100_7 Depth=1
	v_cvt_i32_f32_e32 v0, v96
	v_cvt_i32_f32_e32 v1, v95
	;; [unrolled: 1-line block ×4, first 2 shown]
	v_cvt_f32_i32_dpp v0, v0 row_shr:8 row_mask:0xf bank_mask:0xf bound_ctrl:1
	v_cvt_f32_i32_dpp v1, v1 row_shr:8 row_mask:0xf bank_mask:0xf bound_ctrl:1
	;; [unrolled: 1-line block ×4, first 2 shown]
	v_add_f32_e32 v0, v96, v0
	v_cvt_i32_f32_e32 v4, v0
	v_add_f32_e32 v1, v95, v1
	v_cvt_i32_f32_e32 v5, v1
	v_add_f32_e32 v2, v94, v2
	v_cvt_f32_i32_dpp v4, v4 row_shr:4 row_mask:0xf bank_mask:0xf bound_ctrl:1
	v_add_f32_e32 v3, v81, v3
	v_cvt_f32_i32_dpp v5, v5 row_shr:4 row_mask:0xf bank_mask:0xf bound_ctrl:1
	v_cvt_i32_f32_e32 v6, v2
	v_add_f32_e32 v0, v0, v4
	v_cvt_i32_f32_e32 v4, v0
	v_cvt_i32_f32_e32 v7, v3
	v_add_f32_e32 v1, v1, v5
	v_cvt_i32_f32_e32 v5, v1
	v_cvt_f32_i32_dpp v4, v4 row_shr:2 row_mask:0xf bank_mask:0xf bound_ctrl:1
	v_cvt_f32_i32_dpp v6, v6 row_shr:4 row_mask:0xf bank_mask:0xf bound_ctrl:1
	;; [unrolled: 1-line block ×4, first 2 shown]
	v_add_f32_e32 v0, v0, v4
	v_cvt_i32_f32_e32 v4, v0
	v_add_f32_e32 v2, v2, v6
	v_add_f32_e32 v3, v3, v7
	v_cvt_i32_f32_e32 v6, v2
	v_cvt_f32_i32_dpp v4, v4 row_shr:1 row_mask:0xf bank_mask:0xf bound_ctrl:1
	v_add_f32_e32 v1, v1, v5
	v_cvt_i32_f32_e32 v7, v3
	v_cvt_i32_f32_e32 v5, v1
	v_add_f32_e32 v0, v0, v4
	v_cvt_f32_i32_dpp v6, v6 row_shr:2 row_mask:0xf bank_mask:0xf bound_ctrl:1
	v_cvt_f32_i32_dpp v7, v7 row_shr:2 row_mask:0xf bank_mask:0xf bound_ctrl:1
	v_cvt_i32_f32_e32 v4, v0
	v_cvt_f32_i32_dpp v5, v5 row_shr:1 row_mask:0xf bank_mask:0xf bound_ctrl:1
	v_add_f32_e32 v2, v2, v6
	v_add_f32_e32 v3, v3, v7
	v_cvt_f32_i32_dpp v4, v4 row_bcast:15 row_mask:0xf bank_mask:0xf bound_ctrl:1
	v_add_f32_e32 v1, v1, v5
	v_cvt_i32_f32_e32 v5, v2
	v_cvt_i32_f32_e32 v6, v3
	v_add_f32_e32 v0, v0, v4
	v_cvt_i32_f32_e32 v7, v1
	v_cvt_f32_i32_dpp v5, v5 row_shr:1 row_mask:0xf bank_mask:0xf bound_ctrl:1
	v_cvt_f32_i32_dpp v4, v6 row_shr:1 row_mask:0xf bank_mask:0xf bound_ctrl:1
	v_cvt_f32_i32_dpp v6, v7 row_bcast:15 row_mask:0xf bank_mask:0xf bound_ctrl:1
	v_add_f32_e32 v2, v2, v5
	v_add_f32_e32 v3, v3, v4
	v_cvt_i32_f32_e32 v5, v2
	v_cvt_i32_f32_e32 v4, v3
	v_add_f32_e32 v1, v1, v6
	v_cvt_i32_f32_e32 v7, v0
	v_cvt_f32_i32_dpp v5, v5 row_bcast:15 row_mask:0xf bank_mask:0xf bound_ctrl:1
	v_cvt_f32_i32_dpp v4, v4 row_bcast:15 row_mask:0xf bank_mask:0xf bound_ctrl:1
	v_cvt_i32_f32_e32 v6, v1
	v_mov_b32_dpp v7, v7 row_bcast:31 row_mask:0xf bank_mask:0xf bound_ctrl:1
	v_add_f32_e32 v2, v2, v5
	v_add_f32_e32 v3, v3, v4
	v_cvt_i32_f32_e32 v5, v2
	v_cvt_i32_f32_e32 v4, v3
	v_mov_b32_dpp v6, v6 row_bcast:31 row_mask:0xf bank_mask:0xf bound_ctrl:1
	v_mov_b32_dpp v5, v5 row_bcast:31 row_mask:0xf bank_mask:0xf bound_ctrl:1
	;; [unrolled: 1-line block ×3, first 2 shown]
	s_and_saveexec_b64 s[6:7], s[0:1]
	s_cbranch_execz .LBB100_36
; %bb.32:                               ;   in Loop: Header=BB100_7 Depth=1
	s_andn2_b64 vcc, exec, s[26:27]
	s_waitcnt vmcnt(0)
	v_mov_b32_e32 v8, 0
	v_mov_b32_e32 v9, 0
	;; [unrolled: 1-line block ×4, first 2 shown]
	s_cbranch_vccnz .LBB100_34
; %bb.33:                               ;   in Loop: Header=BB100_7 Depth=1
	v_mul_hi_u32 v8, v80, v91
	v_mul_lo_u32 v8, v8, s12
	v_sub_u32_e32 v8, v80, v8
	v_subrev_u32_e32 v9, s12, v8
	v_cmp_le_u32_e32 vcc, s12, v8
	s_nop 1
	v_cndmask_b32_e32 v8, v8, v9, vcc
	v_subrev_u32_e32 v9, s12, v8
	v_cmp_le_u32_e32 vcc, s12, v8
	s_nop 1
	v_cndmask_b32_e32 v82, v8, v9, vcc
	v_add_u32_e32 v8, s43, v82
	v_mov_b32_e32 v9, v83
	v_lshl_add_u64 v[12:13], v[82:83], 1, s[18:19]
	v_lshl_add_u64 v[14:15], v[8:9], 1, s[18:19]
	v_add_u32_e32 v8, s44, v82
	v_add_u32_e32 v82, s45, v82
	v_lshl_add_u64 v[16:17], v[8:9], 1, s[18:19]
	v_lshl_add_u64 v[18:19], v[82:83], 1, s[18:19]
	global_load_ushort v11, v[12:13], off
	global_load_ushort v10, v[14:15], off
	;; [unrolled: 1-line block ×4, first 2 shown]
.LBB100_34:                             ;   in Loop: Header=BB100_7 Depth=1
	v_cmp_ne_u32_e32 vcc, 0, v85
	s_and_b64 exec, exec, vcc
	s_cbranch_execz .LBB100_36
; %bb.35:                               ;   in Loop: Header=BB100_7 Depth=1
	v_cvt_f32_i32_e32 v7, v7
	v_cvt_f32_i32_e32 v5, v5
	v_cvt_f32_i32_e32 v4, v4
	v_cvt_f32_i32_e32 v6, v6
	v_add_f32_e32 v0, v0, v7
	s_waitcnt vmcnt(3)
	v_cvt_f32_f16_e32 v7, v11
	v_add_f32_e32 v2, v2, v5
	v_add_f32_e32 v3, v3, v4
	s_waitcnt vmcnt(2)
	v_cvt_f32_f16_e32 v5, v10
	v_add_f32_e32 v0, v0, v7
	v_cvt_f16_f32_e32 v4, v0
	v_mov_b32_e32 v81, v83
	v_add_f32_e32 v6, v1, v6
	s_waitcnt lgkmcnt(0)
	v_lshl_add_u64 v[0:1], v[80:81], 1, s[10:11]
	global_store_short v[0:1], v4, off
	v_add_f32_e32 v0, v6, v5
	v_cvt_f16_f32_e32 v4, v0
	s_waitcnt vmcnt(2)
	v_cvt_f32_f16_e32 v5, v9
	v_add_u32_e32 v82, s23, v80
	v_lshl_add_u64 v[0:1], v[82:83], 1, s[10:11]
	global_store_short v[0:1], v4, off
	v_add_f32_e32 v0, v2, v5
	s_waitcnt vmcnt(2)
	v_cvt_f32_f16_e32 v2, v8
	v_cvt_f16_f32_e32 v4, v0
	v_add_u32_e32 v82, s23, v82
	v_lshl_add_u64 v[0:1], v[82:83], 1, s[10:11]
	v_add_f32_e32 v2, v3, v2
	v_cvt_f16_f32_e32 v2, v2
	v_add_u32_e32 v82, s23, v82
	global_store_short v[0:1], v4, off
	v_lshl_add_u64 v[0:1], v[82:83], 1, s[10:11]
	global_store_short v[0:1], v2, off
.LBB100_36:                             ;   in Loop: Header=BB100_7 Depth=1
	s_or_b64 exec, exec, s[6:7]
	v_add_u32_e32 v0, s42, v80
	v_add_u32_e32 v1, 1, v0
	v_cmp_gt_u32_e32 vcc, s23, v0
	v_cmp_le_u32_e64 s[6:7], s23, v1
	s_and_b64 s[28:29], vcc, s[6:7]
	s_and_saveexec_b64 s[6:7], s[28:29]
	s_cbranch_execz .LBB100_5
; %bb.37:                               ;   in Loop: Header=BB100_7 Depth=1
	v_add_u32_e32 v0, s13, v80
	v_cmp_eq_u32_e32 vcc, 1, v0
	v_mov_b32_e32 v0, s41
	s_nop 0
	v_cndmask_b32_e32 v85, 0, v85, vcc
	s_branch .LBB100_5
.LBB100_38:
	s_endpgm
	.section	.rodata,"a",@progbits
	.p2align	6, 0x0
	.amdhsa_kernel _Z16wvSplitK_hf_big_I6__halfLi32ELi1ELi16ELi8ELi4ELi4EEviiiiiiPKT_S3_S3_PS1_ii
		.amdhsa_group_segment_fixed_size 65536
		.amdhsa_private_segment_fixed_size 0
		.amdhsa_kernarg_size 64
		.amdhsa_user_sgpr_count 2
		.amdhsa_user_sgpr_dispatch_ptr 0
		.amdhsa_user_sgpr_queue_ptr 0
		.amdhsa_user_sgpr_kernarg_segment_ptr 1
		.amdhsa_user_sgpr_dispatch_id 0
		.amdhsa_user_sgpr_kernarg_preload_length 0
		.amdhsa_user_sgpr_kernarg_preload_offset 0
		.amdhsa_user_sgpr_private_segment_size 0
		.amdhsa_uses_dynamic_stack 0
		.amdhsa_enable_private_segment 0
		.amdhsa_system_sgpr_workgroup_id_x 1
		.amdhsa_system_sgpr_workgroup_id_y 0
		.amdhsa_system_sgpr_workgroup_id_z 0
		.amdhsa_system_sgpr_workgroup_info 0
		.amdhsa_system_vgpr_workitem_id 1
		.amdhsa_next_free_vgpr 103
		.amdhsa_next_free_sgpr 52
		.amdhsa_accum_offset 104
		.amdhsa_reserve_vcc 1
		.amdhsa_float_round_mode_32 0
		.amdhsa_float_round_mode_16_64 0
		.amdhsa_float_denorm_mode_32 3
		.amdhsa_float_denorm_mode_16_64 3
		.amdhsa_dx10_clamp 1
		.amdhsa_ieee_mode 1
		.amdhsa_fp16_overflow 0
		.amdhsa_tg_split 0
		.amdhsa_exception_fp_ieee_invalid_op 0
		.amdhsa_exception_fp_denorm_src 0
		.amdhsa_exception_fp_ieee_div_zero 0
		.amdhsa_exception_fp_ieee_overflow 0
		.amdhsa_exception_fp_ieee_underflow 0
		.amdhsa_exception_fp_ieee_inexact 0
		.amdhsa_exception_int_div_zero 0
	.end_amdhsa_kernel
	.section	.text._Z16wvSplitK_hf_big_I6__halfLi32ELi1ELi16ELi8ELi4ELi4EEviiiiiiPKT_S3_S3_PS1_ii,"axG",@progbits,_Z16wvSplitK_hf_big_I6__halfLi32ELi1ELi16ELi8ELi4ELi4EEviiiiiiPKT_S3_S3_PS1_ii,comdat
.Lfunc_end100:
	.size	_Z16wvSplitK_hf_big_I6__halfLi32ELi1ELi16ELi8ELi4ELi4EEviiiiiiPKT_S3_S3_PS1_ii, .Lfunc_end100-_Z16wvSplitK_hf_big_I6__halfLi32ELi1ELi16ELi8ELi4ELi4EEviiiiiiPKT_S3_S3_PS1_ii
                                        ; -- End function
	.section	.AMDGPU.csdata,"",@progbits
; Kernel info:
; codeLenInByte = 3468
; NumSgprs: 58
; NumVgprs: 103
; NumAgprs: 0
; TotalNumVgprs: 103
; ScratchSize: 0
; MemoryBound: 0
; FloatMode: 240
; IeeeMode: 1
; LDSByteSize: 65536 bytes/workgroup (compile time only)
; SGPRBlocks: 7
; VGPRBlocks: 12
; NumSGPRsForWavesPerEU: 58
; NumVGPRsForWavesPerEU: 103
; AccumOffset: 104
; Occupancy: 2
; WaveLimiterHint : 0
; COMPUTE_PGM_RSRC2:SCRATCH_EN: 0
; COMPUTE_PGM_RSRC2:USER_SGPR: 2
; COMPUTE_PGM_RSRC2:TRAP_HANDLER: 0
; COMPUTE_PGM_RSRC2:TGID_X_EN: 1
; COMPUTE_PGM_RSRC2:TGID_Y_EN: 0
; COMPUTE_PGM_RSRC2:TGID_Z_EN: 0
; COMPUTE_PGM_RSRC2:TIDIG_COMP_CNT: 1
; COMPUTE_PGM_RSRC3_GFX90A:ACCUM_OFFSET: 25
; COMPUTE_PGM_RSRC3_GFX90A:TG_SPLIT: 0
	.section	.text._Z16wvSplitK_hf_sml_I6__halfLi32ELi2ELi16ELi8ELi2ELi4EEviiiiiiPKT_S3_S3_PS1_ii,"axG",@progbits,_Z16wvSplitK_hf_sml_I6__halfLi32ELi2ELi16ELi8ELi2ELi4EEviiiiiiPKT_S3_S3_PS1_ii,comdat
	.protected	_Z16wvSplitK_hf_sml_I6__halfLi32ELi2ELi16ELi8ELi2ELi4EEviiiiiiPKT_S3_S3_PS1_ii ; -- Begin function _Z16wvSplitK_hf_sml_I6__halfLi32ELi2ELi16ELi8ELi2ELi4EEviiiiiiPKT_S3_S3_PS1_ii
	.globl	_Z16wvSplitK_hf_sml_I6__halfLi32ELi2ELi16ELi8ELi2ELi4EEviiiiiiPKT_S3_S3_PS1_ii
	.p2align	8
	.type	_Z16wvSplitK_hf_sml_I6__halfLi32ELi2ELi16ELi8ELi2ELi4EEviiiiiiPKT_S3_S3_PS1_ii,@function
_Z16wvSplitK_hf_sml_I6__halfLi32ELi2ELi16ELi8ELi2ELi4EEviiiiiiPKT_S3_S3_PS1_ii: ; @_Z16wvSplitK_hf_sml_I6__halfLi32ELi2ELi16ELi8ELi2ELi4EEviiiiiiPKT_S3_S3_PS1_ii
; %bb.0:
	s_load_dwordx4 s[4:7], s[0:1], 0x0
	v_and_b32_e32 v4, 0x3ff, v0
	v_bfe_u32 v5, v0, 10, 10
	v_lshlrev_b32_e32 v56, 3, v4
	v_lshl_add_u32 v6, v5, 8, v56
	s_waitcnt lgkmcnt(0)
	s_lshl_b32 s24, s6, 2
	s_min_u32 s3, s24, 0x8000
	v_cmp_gt_u32_e32 vcc, s3, v6
	s_and_saveexec_b64 s[8:9], vcc
	s_cbranch_execz .LBB101_9
; %bb.1:
	s_load_dwordx2 s[10:11], s[0:1], 0x20
	v_lshlrev_b32_e32 v0, 1, v6
	v_add_u32_e32 v1, 0x1000, v6
	v_cmp_gt_u32_e32 vcc, s3, v1
	s_waitcnt lgkmcnt(0)
	global_load_dwordx4 v[8:11], v0, s[10:11]
	s_waitcnt vmcnt(0)
	ds_write_b128 v0, v[8:11]
	s_and_saveexec_b64 s[12:13], vcc
	s_xor_b64 s[12:13], exec, s[12:13]
	s_cbranch_execz .LBB101_9
; %bb.2:
	v_mov_b32_e32 v1, 0
	v_lshl_add_u64 v[2:3], s[10:11], 0, v[0:1]
	v_add_co_u32_e32 v8, vcc, 0x2000, v2
	v_add_u32_e32 v1, 0x2000, v6
	s_nop 0
	v_addc_co_u32_e32 v9, vcc, 0, v3, vcc
	global_load_dwordx4 v[8:11], v[8:9], off
	v_cmp_gt_u32_e32 vcc, s3, v1
	s_waitcnt vmcnt(0)
	ds_write_b128 v0, v[8:11] offset:8192
	s_and_saveexec_b64 s[10:11], vcc
	s_xor_b64 s[10:11], exec, s[10:11]
	s_cbranch_execz .LBB101_9
; %bb.3:
	v_add_co_u32_e32 v8, vcc, 0x4000, v2
	v_add_u32_e32 v1, 0x3000, v6
	s_nop 0
	v_addc_co_u32_e32 v9, vcc, 0, v3, vcc
	global_load_dwordx4 v[8:11], v[8:9], off
	v_cmp_gt_u32_e32 vcc, s3, v1
	s_waitcnt vmcnt(0)
	ds_write_b128 v0, v[8:11] offset:16384
	s_and_saveexec_b64 s[10:11], vcc
	s_xor_b64 s[10:11], exec, s[10:11]
	s_cbranch_execz .LBB101_9
; %bb.4:
	;; [unrolled: 12-line block ×6, first 2 shown]
	v_add_co_u32_e32 v2, vcc, 0xe000, v2
	s_nop 1
	v_addc_co_u32_e32 v3, vcc, 0, v3, vcc
	global_load_dwordx4 v[6:9], v[2:3], off
	s_waitcnt vmcnt(0)
	ds_write_b128 v0, v[6:9] offset:57344
.LBB101_9:
	s_or_b64 exec, exec, s[8:9]
	s_load_dwordx2 s[16:17], s[0:1], 0x38
	s_waitcnt lgkmcnt(0)
	s_barrier
	v_cmp_gt_u32_e32 vcc, s16, v5
	s_and_saveexec_b64 s[8:9], vcc
	s_cbranch_execz .LBB101_26
; %bb.10:
	s_load_dwordx2 s[12:13], s[0:1], 0x10
	s_mul_i32 s2, s2, s16
	v_add_lshl_u32 v40, s2, v5, 1
	v_cmp_gt_u32_e32 vcc, s7, v40
	s_and_b64 exec, exec, vcc
	s_cbranch_execz .LBB101_26
; %bb.11:
	s_load_dwordx4 s[8:11], s[0:1], 0x28
	s_load_dwordx2 s[14:15], s[0:1], 0x18
	s_cmp_lg_u32 s4, 0
	s_cselect_b64 s[2:3], -1, 0
	s_add_i32 s25, s4, -8
	s_add_i32 s26, s7, -1
	s_waitcnt lgkmcnt(0)
	s_cmp_lg_u64 s[8:9], 0
	s_cselect_b64 s[18:19], -1, 0
	s_abs_i32 s21, s13
	v_cvt_f32_u32_e32 v0, s12
	v_cvt_f32_u32_e32 v1, s21
	s_mul_i32 s20, s16, s17
	s_lshl_b32 s13, s20, 1
	v_rcp_iflag_f32_e32 v0, v0
	v_rcp_iflag_f32_e32 v1, v1
	s_sub_i32 s20, 0, s12
	v_cmp_eq_u32_e64 s[0:1], 31, v4
	v_mul_f32_e32 v0, 0x4f7ffffe, v0
	v_mul_f32_e32 v1, 0x4f7ffffe, v1
	v_cvt_u32_f32_e32 v0, v0
	v_cvt_u32_f32_e32 v1, v1
	s_mov_b64 s[16:17], 0
	v_mov_b32_e32 v43, 0
	v_mul_lo_u32 v2, s20, v0
	s_sub_i32 s20, 0, s21
	v_readfirstlane_b32 s22, v1
	s_mul_i32 s20, s20, s22
	s_mul_hi_u32 s20, s22, s20
	s_add_i32 s22, s22, s20
	s_sub_i32 s20, 1, s21
	s_cmp_lt_u32 s21, 2
	s_cselect_b32 s20, s20, 1
	s_sub_i32 s23, s20, s21
	s_cmp_ge_u32 s20, s21
	s_cselect_b32 s27, s23, s20
	s_lshr_b32 s20, s22, 31
	s_mul_i32 s20, s20, s21
	s_sub_i32 s20, 2, s20
	s_sub_i32 s23, s20, s21
	s_cmp_ge_u32 s20, s21
	s_cselect_b32 s20, s23, s20
	s_sub_i32 s23, s20, s21
	s_cmp_ge_u32 s20, s21
	s_cselect_b32 s28, s23, s20
	s_mul_hi_u32 s20, s22, 3
	s_mul_i32 s20, s20, s21
	s_sub_i32 s20, 3, s20
	s_sub_i32 s22, s20, s21
	s_cmp_ge_u32 s20, s21
	s_cselect_b32 s20, s22, s20
	s_sub_i32 s22, s20, s21
	v_mul_hi_u32 v2, v0, v2
	s_cmp_ge_u32 s20, s21
	v_add_u32_e32 v57, v0, v2
	s_cselect_b32 s29, s22, s20
	v_cndmask_b32_e64 v0, 0, 1, s[2:3]
	s_mul_i32 s27, s27, s12
	s_mul_i32 s28, s28, s12
	;; [unrolled: 1-line block ×4, first 2 shown]
	v_lshlrev_b32_e32 v58, 4, v4
	s_lshl_b32 s6, s6, 1
	v_cmp_ne_u32_e64 s[2:3], 1, v0
	s_branch .LBB101_14
.LBB101_12:                             ;   in Loop: Header=BB101_14 Depth=1
	v_cvt_f32_i32_e32 v2, v2
	v_cvt_f32_i32_e32 v4, v4
	;; [unrolled: 1-line block ×3, first 2 shown]
	v_add_u32_e32 v42, s7, v40
	v_add_f32_e32 v0, v0, v2
	v_cvt_f32_i32_e32 v2, v6
	v_add_f32_e32 v1, v1, v4
	v_cvt_f32_i32_e32 v4, v15
	v_add_f32_e32 v3, v3, v7
	v_add_f32_e32 v2, v5, v2
	v_cvt_f32_i32_e32 v5, v13
	s_waitcnt vmcnt(7)
	v_cvt_f32_f16_e32 v7, v23
	v_add_f32_e32 v4, v9, v4
	s_waitcnt vmcnt(6)
	v_cvt_f32_f16_e32 v9, v22
	v_add_f32_e32 v5, v10, v5
	v_cvt_f32_i32_e32 v10, v12
	v_add_f32_e32 v0, v0, v7
	v_cvt_f16_f32_e32 v7, v0
	v_add_f32_e32 v0, v1, v9
	v_cvt_f16_f32_e32 v9, v0
	v_add_f32_e32 v8, v8, v10
	s_waitcnt vmcnt(5)
	v_cvt_f32_f16_e32 v10, v21
	v_lshl_add_u64 v[0:1], v[40:41], 1, s[10:11]
	v_pack_b32_f16 v7, v7, v9
	global_store_dword v[0:1], v7, off
	v_add_f32_e32 v0, v3, v10
	v_cvt_f16_f32_e32 v3, v0
	s_waitcnt vmcnt(5)
	v_cvt_f32_f16_e32 v7, v20
	v_cvt_f32_i32_e32 v6, v14
	v_lshl_add_u64 v[0:1], v[42:43], 1, s[10:11]
	global_store_short v[0:1], v3, off
	v_add_f32_e32 v0, v2, v7
	s_waitcnt vmcnt(5)
	v_cvt_f32_f16_e32 v3, v19
	s_waitcnt vmcnt(4)
	v_cvt_f32_f16_e32 v7, v18
	v_add_f32_e32 v6, v11, v6
	v_cvt_f16_f32_e32 v2, v0
	v_add_f32_e32 v3, v4, v3
	v_add_f32_e32 v4, v6, v7
	v_cvt_f16_f32_e32 v3, v3
	v_cvt_f16_f32_e32 v4, v4
	v_add_u32_e32 v0, 1, v42
	v_mov_b32_e32 v1, v43
	v_lshl_add_u64 v[0:1], v[0:1], 1, s[10:11]
	v_add_u32_e32 v42, s7, v42
	global_store_short v[0:1], v2, off
	v_lshl_add_u64 v[0:1], v[42:43], 1, s[10:11]
	v_pack_b32_f16 v2, v3, v4
	s_waitcnt vmcnt(4)
	v_cvt_f32_f16_e32 v3, v17
	global_store_dword v[0:1], v2, off
	s_waitcnt vmcnt(4)
	v_cvt_f32_f16_e32 v2, v16
	v_add_u32_e32 v42, s7, v42
	v_add_f32_e32 v0, v5, v3
	v_cvt_f16_f32_e32 v3, v0
	v_add_f32_e32 v2, v8, v2
	v_cvt_f16_f32_e32 v2, v2
	v_lshl_add_u64 v[0:1], v[42:43], 1, s[10:11]
	v_add_u32_e32 v42, 1, v42
	global_store_short v[0:1], v3, off
	v_lshl_add_u64 v[0:1], v[42:43], 1, s[10:11]
	global_store_short v[0:1], v2, off
.LBB101_13:                             ;   in Loop: Header=BB101_14 Depth=1
	s_or_b64 exec, exec, s[20:21]
	v_add_u32_e32 v40, s13, v40
	v_cmp_le_u32_e32 vcc, s7, v40
	s_or_b64 s[16:17], vcc, s[16:17]
	s_andn2_b64 exec, exec, s[16:17]
	s_cbranch_execz .LBB101_26
.LBB101_14:                             ; =>This Loop Header: Depth=1
                                        ;     Child Loop BB101_18 Depth 2
	s_mov_b32 s31, 0
	s_and_b64 vcc, exec, s[2:3]
	v_mov_b32_e32 v65, v43
	v_mov_b32_e32 v64, v43
	;; [unrolled: 1-line block ×8, first 2 shown]
	s_cbranch_vccnz .LBB101_21
; %bb.15:                               ;   in Loop: Header=BB101_14 Depth=1
	v_min_u32_e32 v0, s26, v40
	v_mul_lo_u32 v42, v0, s5
	v_or_b32_e32 v0, 1, v40
	v_min_u32_e32 v0, s26, v0
	v_mul_lo_u32 v0, v0, s5
	v_mov_b32_e32 v1, v43
	v_mov_b32_e32 v61, 0
	v_lshlrev_b64 v[44:45], 1, v[42:43]
	v_lshlrev_b64 v[46:47], 1, v[0:1]
	v_mov_b32_e32 v66, v58
	v_mov_b32_e32 v60, 0
	;; [unrolled: 1-line block ×8, first 2 shown]
	s_branch .LBB101_18
.LBB101_16:                             ;   in Loop: Header=BB101_18 Depth=2
	s_or_b64 exec, exec, s[22:23]
.LBB101_17:                             ;   in Loop: Header=BB101_18 Depth=2
	s_or_b64 exec, exec, s[20:21]
	s_waitcnt vmcnt(3) lgkmcnt(4)
	;;#ASMSTART
	v_dot2c_f32_f16 v65, v36, v20
	;;#ASMEND
	s_waitcnt vmcnt(2)
	;;#ASMSTART
	v_dot2c_f32_f16 v64, v36, v12
	;;#ASMEND
	s_waitcnt lgkmcnt(3)
	;;#ASMSTART
	v_dot2c_f32_f16 v63, v32, v20
	;;#ASMEND
	;;#ASMSTART
	v_dot2c_f32_f16 v62, v32, v12
	;;#ASMEND
	s_waitcnt lgkmcnt(2)
	;;#ASMSTART
	v_dot2c_f32_f16 v61, v52, v20
	;;#ASMEND
	;; [unrolled: 7-line block ×3, first 2 shown]
	;;#ASMSTART
	v_dot2c_f32_f16 v41, v28, v12
	;;#ASMEND
	;;#ASMSTART
	v_dot2c_f32_f16 v65, v37, v21
	;;#ASMEND
	;;#ASMSTART
	v_dot2c_f32_f16 v64, v37, v13
	;;#ASMEND
	;;#ASMSTART
	v_dot2c_f32_f16 v63, v33, v21
	;;#ASMEND
	;;#ASMSTART
	v_dot2c_f32_f16 v62, v33, v13
	;;#ASMEND
	;;#ASMSTART
	v_dot2c_f32_f16 v61, v53, v21
	;;#ASMEND
	;;#ASMSTART
	v_dot2c_f32_f16 v60, v53, v13
	;;#ASMEND
	s_nop 0
	;;#ASMSTART
	v_dot2c_f32_f16 v59, v29, v21
	;;#ASMEND
	;;#ASMSTART
	v_dot2c_f32_f16 v41, v29, v13
	;;#ASMEND
	;;#ASMSTART
	v_dot2c_f32_f16 v65, v38, v22
	;;#ASMEND
	;;#ASMSTART
	v_dot2c_f32_f16 v64, v38, v14
	;;#ASMEND
	;;#ASMSTART
	v_dot2c_f32_f16 v63, v34, v22
	;;#ASMEND
	;;#ASMSTART
	v_dot2c_f32_f16 v62, v34, v14
	;;#ASMEND
	;;#ASMSTART
	v_dot2c_f32_f16 v61, v54, v22
	;;#ASMEND
	;;#ASMSTART
	v_dot2c_f32_f16 v60, v54, v14
	;;#ASMEND
	s_nop 0
	;;#ASMSTART
	v_dot2c_f32_f16 v59, v30, v22
	;;#ASMEND
	;;#ASMSTART
	v_dot2c_f32_f16 v41, v30, v14
	;;#ASMEND
	;;#ASMSTART
	v_dot2c_f32_f16 v65, v39, v23
	;;#ASMEND
	;;#ASMSTART
	v_dot2c_f32_f16 v64, v39, v15
	;;#ASMEND
	;;#ASMSTART
	v_dot2c_f32_f16 v63, v35, v23
	;;#ASMEND
	;;#ASMSTART
	v_dot2c_f32_f16 v62, v35, v15
	;;#ASMEND
	;;#ASMSTART
	v_dot2c_f32_f16 v61, v55, v23
	;;#ASMEND
	;;#ASMSTART
	v_dot2c_f32_f16 v60, v55, v15
	;;#ASMEND
	s_nop 0
	;;#ASMSTART
	v_dot2c_f32_f16 v59, v31, v23
	;;#ASMEND
	;;#ASMSTART
	v_dot2c_f32_f16 v41, v31, v15
	;;#ASMEND
	s_waitcnt vmcnt(1)
	;;#ASMSTART
	v_dot2c_f32_f16 v65, v24, v4
	;;#ASMEND
	s_waitcnt vmcnt(0)
	;;#ASMSTART
	v_dot2c_f32_f16 v64, v24, v0
	;;#ASMEND
	;;#ASMSTART
	v_dot2c_f32_f16 v63, v16, v4
	;;#ASMEND
	;; [unrolled: 3-line block ×8, first 2 shown]
	s_nop 0
	;;#ASMSTART
	v_dot2c_f32_f16 v64, v25, v1
	;;#ASMEND
	;;#ASMSTART
	v_dot2c_f32_f16 v63, v17, v5
	;;#ASMEND
	;; [unrolled: 3-line block ×7, first 2 shown]
	s_addk_i32 s31, 0x200
	;;#ASMSTART
	v_dot2c_f32_f16 v65, v26, v6
	;;#ASMEND
	;;#ASMSTART
	v_dot2c_f32_f16 v64, v26, v2
	;;#ASMEND
	;; [unrolled: 3-line block ×8, first 2 shown]
	s_cmp_ge_u32 s31, s4
	v_add_u32_e32 v66, 0x400, v66
	;;#ASMSTART
	v_dot2c_f32_f16 v65, v27, v7
	;;#ASMEND
	;;#ASMSTART
	v_dot2c_f32_f16 v64, v27, v3
	;;#ASMEND
	;; [unrolled: 3-line block ×8, first 2 shown]
	s_cbranch_scc1 .LBB101_21
.LBB101_18:                             ;   Parent Loop BB101_14 Depth=1
                                        ; =>  This Inner Loop Header: Depth=2
	v_add_u32_e32 v16, s31, v56
	v_min_u32_e32 v42, s25, v16
	v_lshl_add_u64 v[0:1], v[42:43], 1, s[14:15]
	v_add_u32_e32 v67, 0x100, v16
	v_lshl_add_u64 v[2:3], v[0:1], 0, v[44:45]
	v_lshl_add_u64 v[0:1], v[0:1], 0, v[46:47]
	v_min_u32_e32 v42, s25, v67
	global_load_dwordx4 v[20:23], v[2:3], off nt
	global_load_dwordx4 v[12:15], v[0:1], off nt
	v_lshl_add_u64 v[0:1], v[42:43], 1, s[14:15]
	v_lshl_add_u64 v[8:9], v[0:1], 0, v[44:45]
	;; [unrolled: 1-line block ×3, first 2 shown]
	global_load_dwordx4 v[4:7], v[8:9], off nt
	global_load_dwordx4 v[0:3], v[10:11], off nt
	v_cmp_gt_u32_e32 vcc, s4, v16
	v_mov_b32_e32 v36, 0
	v_mov_b32_e32 v37, 0
	;; [unrolled: 1-line block ×32, first 2 shown]
	s_and_saveexec_b64 s[20:21], vcc
	s_cbranch_execz .LBB101_17
; %bb.19:                               ;   in Loop: Header=BB101_18 Depth=2
	v_add_u32_e32 v69, s6, v66
	v_add_u32_e32 v42, s24, v66
	ds_read_b128 v[36:39], v66
	ds_read_b128 v[32:35], v69
	ds_read2_b32 v[52:53], v42 offset1:1
	v_add_u32_e32 v68, s30, v66
	ds_read2_b32 v[54:55], v42 offset0:2 offset1:3
	ds_read_b128 v[28:31], v68
	v_cmp_gt_u32_e32 vcc, s4, v67
	v_mov_b32_e32 v11, 0
	v_mov_b32_e32 v10, 0
	;; [unrolled: 1-line block ×16, first 2 shown]
	s_and_saveexec_b64 s[22:23], vcc
	s_cbranch_execz .LBB101_16
; %bb.20:                               ;   in Loop: Header=BB101_18 Depth=2
	ds_read_b128 v[24:27], v66 offset:512
	ds_read_b128 v[16:19], v69 offset:512
	ds_read2_b32 v[50:51], v42 offset0:128 offset1:129
	ds_read2_b32 v[48:49], v42 offset0:130 offset1:131
	ds_read_b128 v[8:11], v68 offset:512
	s_branch .LBB101_16
.LBB101_21:                             ;   in Loop: Header=BB101_14 Depth=1
	; sched_barrier mask(0x00000000)
	v_cvt_i32_f32_e32 v0, v65
	v_cvt_i32_f32_e32 v1, v64
	;; [unrolled: 1-line block ×4, first 2 shown]
	v_cvt_f32_i32_dpp v0, v0 row_shr:8 row_mask:0xf bank_mask:0xf bound_ctrl:1
	v_cvt_f32_i32_dpp v1, v1 row_shr:8 row_mask:0xf bank_mask:0xf bound_ctrl:1
	;; [unrolled: 1-line block ×4, first 2 shown]
	v_add_f32_e32 v0, v65, v0
	v_cvt_i32_f32_e32 v4, v0
	v_add_f32_e32 v1, v64, v1
	v_cvt_i32_f32_e32 v5, v1
	v_add_f32_e32 v2, v63, v2
	v_cvt_f32_i32_dpp v4, v4 row_shr:4 row_mask:0xf bank_mask:0xf bound_ctrl:1
	v_cvt_i32_f32_e32 v6, v2
	v_cvt_f32_i32_dpp v5, v5 row_shr:4 row_mask:0xf bank_mask:0xf bound_ctrl:1
	v_add_f32_e32 v3, v62, v3
	v_add_f32_e32 v0, v0, v4
	v_cvt_i32_f32_e32 v4, v0
	v_add_f32_e32 v1, v1, v5
	v_cvt_i32_f32_e32 v5, v1
	v_cvt_f32_i32_dpp v6, v6 row_shr:4 row_mask:0xf bank_mask:0xf bound_ctrl:1
	v_cvt_f32_i32_dpp v4, v4 row_shr:2 row_mask:0xf bank_mask:0xf bound_ctrl:1
	v_cvt_i32_f32_e32 v7, v3
	v_cvt_f32_i32_dpp v5, v5 row_shr:2 row_mask:0xf bank_mask:0xf bound_ctrl:1
	v_add_f32_e32 v2, v2, v6
	v_add_f32_e32 v0, v0, v4
	v_cvt_i32_f32_e32 v4, v0
	v_add_f32_e32 v1, v1, v5
	v_cvt_i32_f32_e32 v5, v1
	v_cvt_i32_f32_e32 v6, v2
	v_cvt_f32_i32_dpp v4, v4 row_shr:1 row_mask:0xf bank_mask:0xf bound_ctrl:1
	v_cvt_f32_i32_dpp v7, v7 row_shr:4 row_mask:0xf bank_mask:0xf bound_ctrl:1
	;; [unrolled: 1-line block ×4, first 2 shown]
	v_add_f32_e32 v0, v0, v4
	v_cvt_i32_f32_e32 v4, v0
	v_add_f32_e32 v1, v1, v5
	v_add_f32_e32 v6, v2, v6
	;; [unrolled: 1-line block ×3, first 2 shown]
	v_cvt_f32_i32_dpp v2, v4 row_bcast:15 row_mask:0xf bank_mask:0xf bound_ctrl:1
	v_cvt_i32_f32_e32 v4, v1
	v_cvt_i32_f32_e32 v7, v3
	;; [unrolled: 1-line block ×3, first 2 shown]
	v_add_f32_e32 v0, v0, v2
	v_cvt_f32_i32_dpp v4, v4 row_bcast:15 row_mask:0xf bank_mask:0xf bound_ctrl:1
	v_cvt_f32_i32_dpp v7, v7 row_shr:2 row_mask:0xf bank_mask:0xf bound_ctrl:1
	v_cvt_f32_i32_dpp v5, v5 row_shr:1 row_mask:0xf bank_mask:0xf bound_ctrl:1
	v_cvt_i32_f32_e32 v2, v0
	v_add_f32_e32 v1, v1, v4
	v_cvt_i32_f32_e32 v4, v61
	v_add_f32_e32 v3, v3, v7
	v_add_f32_e32 v5, v6, v5
	v_cvt_i32_f32_e32 v6, v3
	v_cvt_f32_i32_dpp v4, v4 row_shr:8 row_mask:0xf bank_mask:0xf bound_ctrl:1
	v_cvt_i32_f32_e32 v7, v5
	v_cvt_i32_f32_e32 v8, v1
	v_cvt_f32_i32_dpp v6, v6 row_shr:1 row_mask:0xf bank_mask:0xf bound_ctrl:1
	v_add_f32_e32 v9, v61, v4
	v_cvt_i32_f32_e32 v10, v9
	v_cvt_f32_i32_dpp v7, v7 row_bcast:15 row_mask:0xf bank_mask:0xf bound_ctrl:1
	v_add_f32_e32 v6, v3, v6
	v_mov_b32_dpp v4, v8 row_bcast:31 row_mask:0xf bank_mask:0xf bound_ctrl:1
	v_cvt_f32_i32_dpp v8, v10 row_shr:4 row_mask:0xf bank_mask:0xf bound_ctrl:1
	v_cvt_i32_f32_e32 v11, v6
	v_add_f32_e32 v3, v5, v7
	v_cvt_i32_f32_e32 v7, v60
	v_add_f32_e32 v8, v9, v8
	v_cvt_f32_i32_dpp v5, v11 row_bcast:15 row_mask:0xf bank_mask:0xf bound_ctrl:1
	v_cvt_i32_f32_e32 v9, v8
	v_cvt_f32_i32_dpp v7, v7 row_shr:8 row_mask:0xf bank_mask:0xf bound_ctrl:1
	v_cvt_i32_f32_e32 v10, v3
	v_add_f32_e32 v5, v6, v5
	v_cvt_f32_i32_dpp v6, v9 row_shr:2 row_mask:0xf bank_mask:0xf bound_ctrl:1
	v_add_f32_e32 v11, v60, v7
	v_cvt_i32_f32_e32 v12, v11
	v_cvt_i32_f32_e32 v9, v5
	v_add_f32_e32 v8, v8, v6
	v_cvt_i32_f32_e32 v13, v8
	v_mov_b32_dpp v7, v10 row_bcast:31 row_mask:0xf bank_mask:0xf bound_ctrl:1
	v_cvt_f32_i32_dpp v10, v12 row_shr:4 row_mask:0xf bank_mask:0xf bound_ctrl:1
	v_mov_b32_dpp v6, v9 row_bcast:31 row_mask:0xf bank_mask:0xf bound_ctrl:1
	v_cvt_f32_i32_dpp v9, v13 row_shr:1 row_mask:0xf bank_mask:0xf bound_ctrl:1
	v_cvt_i32_f32_e32 v12, v59
	v_add_f32_e32 v10, v11, v10
	v_cvt_i32_f32_e32 v11, v41
	v_add_f32_e32 v8, v8, v9
	v_cvt_f32_i32_dpp v12, v12 row_shr:8 row_mask:0xf bank_mask:0xf bound_ctrl:1
	v_cvt_i32_f32_e32 v13, v10
	v_cvt_f32_i32_dpp v9, v11 row_shr:8 row_mask:0xf bank_mask:0xf bound_ctrl:1
	v_cvt_i32_f32_e32 v15, v8
	v_add_f32_e32 v12, v59, v12
	v_cvt_f32_i32_dpp v11, v13 row_shr:2 row_mask:0xf bank_mask:0xf bound_ctrl:1
	v_add_f32_e32 v9, v41, v9
	v_cvt_i32_f32_e32 v13, v12
	v_cvt_i32_f32_e32 v14, v9
	v_add_f32_e32 v10, v10, v11
	v_cvt_f32_i32_dpp v15, v15 row_bcast:15 row_mask:0xf bank_mask:0xf bound_ctrl:1
	v_cvt_f32_i32_dpp v13, v13 row_shr:4 row_mask:0xf bank_mask:0xf bound_ctrl:1
	v_cvt_f32_i32_dpp v11, v14 row_shr:4 row_mask:0xf bank_mask:0xf bound_ctrl:1
	v_cvt_i32_f32_e32 v14, v10
	v_mov_b32_dpp v2, v2 row_bcast:31 row_mask:0xf bank_mask:0xf bound_ctrl:1
	v_add_f32_e32 v12, v12, v13
	v_add_f32_e32 v9, v9, v11
	v_cvt_i32_f32_e32 v13, v12
	v_cvt_i32_f32_e32 v11, v9
	v_cvt_f32_i32_dpp v14, v14 row_shr:1 row_mask:0xf bank_mask:0xf bound_ctrl:1
	v_cvt_f32_i32_dpp v13, v13 row_shr:2 row_mask:0xf bank_mask:0xf bound_ctrl:1
	;; [unrolled: 1-line block ×3, first 2 shown]
	v_add_f32_e32 v10, v10, v14
	v_cvt_i32_f32_e32 v16, v10
	v_add_f32_e32 v12, v12, v13
	v_add_f32_e32 v11, v9, v11
	v_cvt_i32_f32_e32 v13, v12
	v_cvt_i32_f32_e32 v14, v11
	v_add_f32_e32 v9, v8, v15
	v_cvt_f32_i32_dpp v13, v13 row_shr:1 row_mask:0xf bank_mask:0xf bound_ctrl:1
	v_cvt_f32_i32_dpp v8, v14 row_shr:1 row_mask:0xf bank_mask:0xf bound_ctrl:1
	v_cvt_f32_i32_dpp v14, v16 row_bcast:15 row_mask:0xf bank_mask:0xf bound_ctrl:1
	v_cvt_i32_f32_e32 v16, v9
	v_add_f32_e32 v12, v12, v13
	v_add_f32_e32 v8, v11, v8
	v_cvt_i32_f32_e32 v13, v12
	v_cvt_i32_f32_e32 v15, v8
	v_add_f32_e32 v11, v10, v14
	v_cvt_i32_f32_e32 v17, v11
	v_cvt_f32_i32_dpp v13, v13 row_bcast:15 row_mask:0xf bank_mask:0xf bound_ctrl:1
	v_cvt_f32_i32_dpp v14, v15 row_bcast:15 row_mask:0xf bank_mask:0xf bound_ctrl:1
	v_mov_b32_dpp v15, v16 row_bcast:31 row_mask:0xf bank_mask:0xf bound_ctrl:1
	v_add_f32_e32 v10, v12, v13
	v_add_f32_e32 v8, v8, v14
	v_cvt_i32_f32_e32 v12, v10
	v_cvt_i32_f32_e32 v18, v8
	v_mov_b32_dpp v14, v17 row_bcast:31 row_mask:0xf bank_mask:0xf bound_ctrl:1
	v_mov_b32_dpp v13, v12 row_bcast:31 row_mask:0xf bank_mask:0xf bound_ctrl:1
	;; [unrolled: 1-line block ×3, first 2 shown]
	s_and_saveexec_b64 s[20:21], s[0:1]
	s_cbranch_execz .LBB101_13
; %bb.22:                               ;   in Loop: Header=BB101_14 Depth=1
	s_and_b64 vcc, exec, s[18:19]
	s_cbranch_vccz .LBB101_24
; %bb.23:                               ;   in Loop: Header=BB101_14 Depth=1
	v_mul_hi_u32 v16, v40, v57
	v_mul_lo_u32 v16, v16, s12
	v_sub_u32_e32 v16, v40, v16
	v_subrev_u32_e32 v17, s12, v16
	v_cmp_le_u32_e32 vcc, s12, v16
	v_mov_b32_e32 v19, v43
	v_mov_b32_e32 v41, v43
	v_cndmask_b32_e32 v16, v16, v17, vcc
	v_subrev_u32_e32 v17, s12, v16
	v_cmp_le_u32_e32 vcc, s12, v16
	s_nop 1
	v_cndmask_b32_e32 v42, v16, v17, vcc
	v_or_b32_e32 v16, 1, v40
	v_mul_hi_u32 v17, v16, v57
	v_mul_lo_u32 v17, v17, s12
	v_sub_u32_e32 v16, v16, v17
	v_subrev_u32_e32 v17, s12, v16
	v_cmp_le_u32_e32 vcc, s12, v16
	v_add_u32_e32 v18, s27, v42
	v_lshl_add_u64 v[28:29], v[18:19], 1, s[8:9]
	v_cndmask_b32_e32 v16, v16, v17, vcc
	v_subrev_u32_e32 v17, s12, v16
	v_cmp_le_u32_e32 vcc, s12, v16
	v_lshl_add_u64 v[24:25], v[42:43], 1, s[8:9]
	s_nop 0
	v_cndmask_b32_e32 v16, v16, v17, vcc
	v_add_u32_e32 v18, s27, v16
	v_lshl_add_u64 v[30:31], v[18:19], 1, s[8:9]
	v_add_u32_e32 v18, s28, v42
	v_add_u32_e32 v42, s29, v42
	v_mov_b32_e32 v17, v43
	v_lshl_add_u64 v[32:33], v[18:19], 1, s[8:9]
	v_add_u32_e32 v18, s28, v16
	v_lshl_add_u64 v[36:37], v[42:43], 1, s[8:9]
	v_add_u32_e32 v42, s29, v16
	v_lshl_add_u64 v[26:27], v[16:17], 1, s[8:9]
	v_lshl_add_u64 v[34:35], v[18:19], 1, s[8:9]
	;; [unrolled: 1-line block ×3, first 2 shown]
	global_load_ushort v23, v[24:25], off
	global_load_ushort v22, v[26:27], off
	;; [unrolled: 1-line block ×8, first 2 shown]
	s_cbranch_execnz .LBB101_12
	s_branch .LBB101_25
.LBB101_24:                             ;   in Loop: Header=BB101_14 Depth=1
                                        ; implicit-def: $vgpr16
                                        ; implicit-def: $vgpr17
                                        ; implicit-def: $vgpr18
                                        ; implicit-def: $vgpr19
                                        ; implicit-def: $vgpr20
                                        ; implicit-def: $vgpr21
                                        ; implicit-def: $vgpr22
                                        ; implicit-def: $vgpr23
.LBB101_25:                             ;   in Loop: Header=BB101_14 Depth=1
	v_mov_b32_e32 v41, v43
	s_waitcnt vmcnt(7)
	v_mov_b32_e32 v23, 0
	s_waitcnt vmcnt(6)
	;; [unrolled: 2-line block ×8, first 2 shown]
	v_mov_b32_e32 v16, 0
	s_branch .LBB101_12
.LBB101_26:
	s_endpgm
	.section	.rodata,"a",@progbits
	.p2align	6, 0x0
	.amdhsa_kernel _Z16wvSplitK_hf_sml_I6__halfLi32ELi2ELi16ELi8ELi2ELi4EEviiiiiiPKT_S3_S3_PS1_ii
		.amdhsa_group_segment_fixed_size 65536
		.amdhsa_private_segment_fixed_size 0
		.amdhsa_kernarg_size 64
		.amdhsa_user_sgpr_count 2
		.amdhsa_user_sgpr_dispatch_ptr 0
		.amdhsa_user_sgpr_queue_ptr 0
		.amdhsa_user_sgpr_kernarg_segment_ptr 1
		.amdhsa_user_sgpr_dispatch_id 0
		.amdhsa_user_sgpr_kernarg_preload_length 0
		.amdhsa_user_sgpr_kernarg_preload_offset 0
		.amdhsa_user_sgpr_private_segment_size 0
		.amdhsa_uses_dynamic_stack 0
		.amdhsa_enable_private_segment 0
		.amdhsa_system_sgpr_workgroup_id_x 1
		.amdhsa_system_sgpr_workgroup_id_y 0
		.amdhsa_system_sgpr_workgroup_id_z 0
		.amdhsa_system_sgpr_workgroup_info 0
		.amdhsa_system_vgpr_workitem_id 1
		.amdhsa_next_free_vgpr 70
		.amdhsa_next_free_sgpr 32
		.amdhsa_accum_offset 72
		.amdhsa_reserve_vcc 1
		.amdhsa_float_round_mode_32 0
		.amdhsa_float_round_mode_16_64 0
		.amdhsa_float_denorm_mode_32 3
		.amdhsa_float_denorm_mode_16_64 3
		.amdhsa_dx10_clamp 1
		.amdhsa_ieee_mode 1
		.amdhsa_fp16_overflow 0
		.amdhsa_tg_split 0
		.amdhsa_exception_fp_ieee_invalid_op 0
		.amdhsa_exception_fp_denorm_src 0
		.amdhsa_exception_fp_ieee_div_zero 0
		.amdhsa_exception_fp_ieee_overflow 0
		.amdhsa_exception_fp_ieee_underflow 0
		.amdhsa_exception_fp_ieee_inexact 0
		.amdhsa_exception_int_div_zero 0
	.end_amdhsa_kernel
	.section	.text._Z16wvSplitK_hf_sml_I6__halfLi32ELi2ELi16ELi8ELi2ELi4EEviiiiiiPKT_S3_S3_PS1_ii,"axG",@progbits,_Z16wvSplitK_hf_sml_I6__halfLi32ELi2ELi16ELi8ELi2ELi4EEviiiiiiPKT_S3_S3_PS1_ii,comdat
.Lfunc_end101:
	.size	_Z16wvSplitK_hf_sml_I6__halfLi32ELi2ELi16ELi8ELi2ELi4EEviiiiiiPKT_S3_S3_PS1_ii, .Lfunc_end101-_Z16wvSplitK_hf_sml_I6__halfLi32ELi2ELi16ELi8ELi2ELi4EEviiiiiiPKT_S3_S3_PS1_ii
                                        ; -- End function
	.section	.AMDGPU.csdata,"",@progbits
; Kernel info:
; codeLenInByte = 3472
; NumSgprs: 38
; NumVgprs: 70
; NumAgprs: 0
; TotalNumVgprs: 70
; ScratchSize: 0
; MemoryBound: 0
; FloatMode: 240
; IeeeMode: 1
; LDSByteSize: 65536 bytes/workgroup (compile time only)
; SGPRBlocks: 4
; VGPRBlocks: 8
; NumSGPRsForWavesPerEU: 38
; NumVGPRsForWavesPerEU: 70
; AccumOffset: 72
; Occupancy: 2
; WaveLimiterHint : 0
; COMPUTE_PGM_RSRC2:SCRATCH_EN: 0
; COMPUTE_PGM_RSRC2:USER_SGPR: 2
; COMPUTE_PGM_RSRC2:TRAP_HANDLER: 0
; COMPUTE_PGM_RSRC2:TGID_X_EN: 1
; COMPUTE_PGM_RSRC2:TGID_Y_EN: 0
; COMPUTE_PGM_RSRC2:TGID_Z_EN: 0
; COMPUTE_PGM_RSRC2:TIDIG_COMP_CNT: 1
; COMPUTE_PGM_RSRC3_GFX90A:ACCUM_OFFSET: 17
; COMPUTE_PGM_RSRC3_GFX90A:TG_SPLIT: 0
	.section	.text._Z12wvSplitK_hf_I6__halfLi32ELi2ELi16ELi8ELi2ELi4EEviiiiiiPKT_S3_S3_PS1_ii,"axG",@progbits,_Z12wvSplitK_hf_I6__halfLi32ELi2ELi16ELi8ELi2ELi4EEviiiiiiPKT_S3_S3_PS1_ii,comdat
	.protected	_Z12wvSplitK_hf_I6__halfLi32ELi2ELi16ELi8ELi2ELi4EEviiiiiiPKT_S3_S3_PS1_ii ; -- Begin function _Z12wvSplitK_hf_I6__halfLi32ELi2ELi16ELi8ELi2ELi4EEviiiiiiPKT_S3_S3_PS1_ii
	.globl	_Z12wvSplitK_hf_I6__halfLi32ELi2ELi16ELi8ELi2ELi4EEviiiiiiPKT_S3_S3_PS1_ii
	.p2align	8
	.type	_Z12wvSplitK_hf_I6__halfLi32ELi2ELi16ELi8ELi2ELi4EEviiiiiiPKT_S3_S3_PS1_ii,@function
_Z12wvSplitK_hf_I6__halfLi32ELi2ELi16ELi8ELi2ELi4EEviiiiiiPKT_S3_S3_PS1_ii: ; @_Z12wvSplitK_hf_I6__halfLi32ELi2ELi16ELi8ELi2ELi4EEviiiiiiPKT_S3_S3_PS1_ii
; %bb.0:
	s_load_dwordx2 s[4:5], s[0:1], 0x38
	s_load_dwordx2 s[6:7], s[0:1], 0x20
	s_load_dwordx4 s[8:11], s[0:1], 0x0
	s_load_dwordx2 s[16:17], s[0:1], 0x10
	v_bfe_u32 v4, v0, 10, 10
	s_waitcnt lgkmcnt(0)
	s_mul_i32 s2, s2, s4
	v_add_lshl_u32 v50, s2, v4, 1
	s_mov_b32 s12, 1
	v_add_u32_e32 v1, 2, v50
	v_cmp_gt_u32_e32 vcc, s11, v50
	v_cmp_le_u32_e64 s[2:3], s11, v1
	s_mov_b32 s13, s12
	s_and_b64 s[14:15], vcc, s[2:3]
	v_mov_b64_e32 v[48:49], s[12:13]
	s_and_saveexec_b64 s[2:3], s[14:15]
	s_cbranch_execz .LBB102_6
; %bb.1:
	s_add_i32 s22, s11, -2
	v_cmp_ne_u32_e32 vcc, s22, v50
	v_mov_b64_e32 v[48:49], s[12:13]
	s_and_saveexec_b64 s[12:13], vcc
	s_cbranch_execz .LBB102_5
; %bb.2:
	v_subrev_u32_e32 v1, s22, v50
	s_mov_b32 s14, 1
	v_cmp_lt_u32_e32 vcc, 1, v1
	s_mov_b64 s[18:19], 0
	s_mov_b64 s[20:21], 0
	v_cndmask_b32_e32 v2, 1, v1, vcc
	s_mov_b32 s15, s14
.LBB102_3:                              ; =>This Inner Loop Header: Depth=1
	s_cmp_lg_u32 s20, 1
	s_cselect_b32 s15, s15, 0
	s_cmp_lg_u32 s20, 0
	s_cselect_b32 s14, s14, 0
	s_add_u32 s20, s20, 1
	s_addc_u32 s21, s21, 0
	v_cmp_eq_u32_e32 vcc, s20, v2
	s_or_b64 s[18:19], vcc, s[18:19]
	v_mov_b64_e32 v[48:49], s[14:15]
	s_andn2_b64 exec, exec, s[18:19]
	s_cbranch_execnz .LBB102_3
; %bb.4:
	s_or_b64 exec, exec, s[18:19]
	v_mov_b32_e32 v50, s22
.LBB102_5:
	s_or_b64 exec, exec, s[12:13]
.LBB102_6:
	s_or_b64 exec, exec, s[2:3]
	v_and_b32_e32 v5, 0x3ff, v0
	v_lshlrev_b32_e32 v52, 3, v5
	s_lshl_b32 s33, s10, 2
	v_lshl_add_u32 v6, v4, 8, v52
	s_min_u32 s12, s33, 0x8000
	v_cmp_gt_u32_e32 vcc, s12, v6
	s_and_saveexec_b64 s[2:3], vcc
	s_cbranch_execz .LBB102_15
; %bb.7:
	v_lshlrev_b32_e32 v0, 1, v6
	global_load_dwordx4 v[8:11], v0, s[6:7]
	v_add_u32_e32 v1, 0x1000, v6
	v_cmp_gt_u32_e32 vcc, s12, v1
	s_waitcnt vmcnt(0)
	ds_write_b128 v0, v[8:11]
	s_and_saveexec_b64 s[14:15], vcc
	s_xor_b64 s[14:15], exec, s[14:15]
	s_cbranch_execz .LBB102_15
; %bb.8:
	v_mov_b32_e32 v1, 0
	v_lshl_add_u64 v[2:3], s[6:7], 0, v[0:1]
	v_add_co_u32_e32 v8, vcc, 0x2000, v2
	v_add_u32_e32 v1, 0x2000, v6
	s_nop 0
	v_addc_co_u32_e32 v9, vcc, 0, v3, vcc
	global_load_dwordx4 v[8:11], v[8:9], off
	v_cmp_gt_u32_e32 vcc, s12, v1
	s_waitcnt vmcnt(0)
	ds_write_b128 v0, v[8:11] offset:8192
	s_and_saveexec_b64 s[14:15], vcc
	s_xor_b64 s[14:15], exec, s[14:15]
	s_cbranch_execz .LBB102_15
; %bb.9:
	v_add_co_u32_e32 v8, vcc, 0x4000, v2
	v_add_u32_e32 v1, 0x3000, v6
	s_nop 0
	v_addc_co_u32_e32 v9, vcc, 0, v3, vcc
	global_load_dwordx4 v[8:11], v[8:9], off
	v_cmp_gt_u32_e32 vcc, s12, v1
	s_waitcnt vmcnt(0)
	ds_write_b128 v0, v[8:11] offset:16384
	s_and_saveexec_b64 s[14:15], vcc
	s_xor_b64 s[14:15], exec, s[14:15]
	s_cbranch_execz .LBB102_15
; %bb.10:
	;; [unrolled: 12-line block ×6, first 2 shown]
	v_add_co_u32_e32 v2, vcc, 0xe000, v2
	s_nop 1
	v_addc_co_u32_e32 v3, vcc, 0, v3, vcc
	global_load_dwordx4 v[6:9], v[2:3], off
	s_waitcnt vmcnt(0)
	ds_write_b128 v0, v[6:9] offset:57344
.LBB102_15:
	s_or_b64 exec, exec, s[2:3]
	v_cmp_gt_u32_e32 vcc, s4, v4
	v_cmp_gt_u32_e64 s[2:3], s11, v50
	s_and_b64 s[2:3], vcc, s[2:3]
	s_waitcnt lgkmcnt(0)
	s_barrier
	s_and_saveexec_b64 s[12:13], s[2:3]
	s_cbranch_execz .LBB102_82
; %bb.16:
	s_load_dwordx4 s[12:15], s[0:1], 0x28
	s_load_dwordx2 s[18:19], s[0:1], 0x18
	s_cmp_lg_u32 s8, 0
	s_cselect_b64 s[2:3], -1, 0
	s_add_i32 s36, s8, -8
	s_add_i32 s37, s11, -1
	s_mul_i32 s4, s4, s5
	s_waitcnt lgkmcnt(0)
	s_cmp_lg_u64 s[12:13], 0
	s_cselect_b64 s[22:23], -1, 0
	s_lshl_b32 s38, s4, 1
	s_abs_i32 s4, s17
	v_cvt_f32_u32_e32 v0, s16
	v_cvt_f32_u32_e32 v1, s4
	s_sub_i32 s5, 0, s16
	s_add_i32 s17, s11, -2
	v_rcp_iflag_f32_e32 v0, v0
	v_rcp_iflag_f32_e32 v1, v1
	v_cmp_eq_u32_e64 s[0:1], 31, v5
	s_mov_b64 s[20:21], 0
	v_mul_f32_e32 v0, 0x4f7ffffe, v0
	v_mul_f32_e32 v1, 0x4f7ffffe, v1
	v_cvt_u32_f32_e32 v0, v0
	v_cvt_u32_f32_e32 v1, v1
	v_mov_b32_e32 v55, 0
	v_lshlrev_b32_e32 v70, 4, v5
	v_mul_lo_u32 v2, s5, v0
	s_sub_i32 s5, 0, s4
	v_readfirstlane_b32 s24, v1
	s_mul_i32 s5, s5, s24
	s_mul_hi_u32 s5, s24, s5
	s_add_i32 s24, s24, s5
	s_sub_i32 s5, 1, s4
	s_cmp_lt_u32 s4, 2
	s_cselect_b32 s5, s5, 1
	s_sub_i32 s25, s5, s4
	s_cmp_ge_u32 s5, s4
	s_cselect_b32 s39, s25, s5
	s_lshr_b32 s5, s24, 31
	s_mul_i32 s5, s5, s4
	s_sub_i32 s5, 2, s5
	s_sub_i32 s25, s5, s4
	s_cmp_ge_u32 s5, s4
	s_cselect_b32 s5, s25, s5
	s_sub_i32 s25, s5, s4
	s_cmp_ge_u32 s5, s4
	s_cselect_b32 s40, s25, s5
	s_mul_hi_u32 s5, s24, 3
	s_mul_i32 s5, s5, s4
	s_sub_i32 s5, 3, s5
	s_sub_i32 s24, s5, s4
	s_cmp_ge_u32 s5, s4
	s_cselect_b32 s5, s24, s5
	v_mul_hi_u32 v2, v0, v2
	s_sub_i32 s24, s5, s4
	v_add_u32_e32 v53, v0, v2
	s_cmp_ge_u32 s5, s4
	s_cselect_b32 s41, s24, s5
	s_lshl_b32 s42, s10, 1
	v_mad_u64_u32 v[56:57], s[4:5], s10, 3, v[52:53]
	v_cndmask_b32_e64 v0, 0, 1, s[2:3]
	s_mul_i32 s39, s39, s16
	s_mul_i32 s40, s40, s16
	;; [unrolled: 1-line block ×3, first 2 shown]
	v_add_u32_e32 v71, s42, v52
	s_mul_i32 s43, s10, 6
	v_add_u32_e32 v57, s10, v52
	v_cmp_ne_u32_e64 s[2:3], 1, v0
	s_movk_i32 s10, 0x7fff
	s_mov_b32 s24, 0
	s_branch .LBB102_19
.LBB102_17:                             ;   in Loop: Header=BB102_19 Depth=1
	s_or_b64 exec, exec, s[28:29]
	v_mov_b32_e32 v50, s17
.LBB102_18:                             ;   in Loop: Header=BB102_19 Depth=1
	s_or_b64 exec, exec, s[26:27]
	v_cmp_le_u32_e32 vcc, s11, v50
	s_or_b64 s[20:21], vcc, s[20:21]
	s_andn2_b64 exec, exec, s[20:21]
	s_cbranch_execz .LBB102_82
.LBB102_19:                             ; =>This Loop Header: Depth=1
                                        ;     Child Loop BB102_24 Depth 2
                                        ;     Child Loop BB102_73 Depth 2
	s_and_b64 vcc, exec, s[2:3]
	v_add_u32_e32 v58, 1, v50
	v_mov_b32_e32 v77, v55
	v_mov_b32_e32 v76, v55
	;; [unrolled: 1-line block ×8, first 2 shown]
	s_cbranch_vccnz .LBB102_58
; %bb.20:                               ;   in Loop: Header=BB102_19 Depth=1
	v_min_u32_e32 v0, s37, v50
	v_mul_lo_u32 v54, v0, s9
	v_min_u32_e32 v0, s37, v58
	v_mul_lo_u32 v0, v0, s9
	v_mov_b32_e32 v1, v55
	v_mov_b32_e32 v73, 0
	v_lshlrev_b64 v[60:61], 1, v[54:55]
	v_lshlrev_b64 v[62:63], 1, v[0:1]
	v_mov_b32_e32 v78, v70
	v_mov_b32_e32 v72, 0
	;; [unrolled: 1-line block ×8, first 2 shown]
	s_mov_b32 s30, s24
	s_branch .LBB102_24
.LBB102_21:                             ;   in Loop: Header=BB102_24 Depth=2
	s_or_b64 exec, exec, s[28:29]
.LBB102_22:                             ;   in Loop: Header=BB102_24 Depth=2
	s_or_b64 exec, exec, s[26:27]
.LBB102_23:                             ;   in Loop: Header=BB102_24 Depth=2
	s_or_b64 exec, exec, s[4:5]
	s_waitcnt vmcnt(0) lgkmcnt(0)
	;;#ASMSTART
	v_dot2c_f32_f16 v77, v28, v12
	;;#ASMEND
	;;#ASMSTART
	v_dot2c_f32_f16 v76, v28, v8
	;;#ASMEND
	;;#ASMSTART
	v_dot2c_f32_f16 v75, v24, v12
	;;#ASMEND
	;;#ASMSTART
	v_dot2c_f32_f16 v74, v24, v8
	;;#ASMEND
	;;#ASMSTART
	v_dot2c_f32_f16 v73, v20, v12
	;;#ASMEND
	;;#ASMSTART
	v_dot2c_f32_f16 v72, v20, v8
	;;#ASMEND
	;;#ASMSTART
	v_dot2c_f32_f16 v59, v16, v12
	;;#ASMEND
	;;#ASMSTART
	v_dot2c_f32_f16 v51, v16, v8
	;;#ASMEND
	s_nop 0
	;;#ASMSTART
	v_dot2c_f32_f16 v77, v29, v13
	;;#ASMEND
	;;#ASMSTART
	v_dot2c_f32_f16 v76, v29, v9
	;;#ASMEND
	;;#ASMSTART
	v_dot2c_f32_f16 v75, v25, v13
	;;#ASMEND
	;;#ASMSTART
	v_dot2c_f32_f16 v74, v25, v9
	;;#ASMEND
	;;#ASMSTART
	v_dot2c_f32_f16 v73, v21, v13
	;;#ASMEND
	;;#ASMSTART
	v_dot2c_f32_f16 v72, v21, v9
	;;#ASMEND
	;;#ASMSTART
	v_dot2c_f32_f16 v59, v17, v13
	;;#ASMEND
	;;#ASMSTART
	v_dot2c_f32_f16 v51, v17, v9
	;;#ASMEND
	s_nop 0
	;; [unrolled: 25-line block ×5, first 2 shown]
	;;#ASMSTART
	v_dot2c_f32_f16 v77, v45, v5
	;;#ASMEND
	;;#ASMSTART
	v_dot2c_f32_f16 v76, v45, v1
	;;#ASMEND
	;; [unrolled: 3-line block ×8, first 2 shown]
	s_addk_i32 s30, 0x200
	;;#ASMSTART
	v_dot2c_f32_f16 v77, v46, v6
	;;#ASMEND
	;;#ASMSTART
	v_dot2c_f32_f16 v76, v46, v2
	;;#ASMEND
	;; [unrolled: 3-line block ×8, first 2 shown]
	s_cmp_ge_u32 s30, s8
	v_add_u32_e32 v78, 0x400, v78
	;;#ASMSTART
	v_dot2c_f32_f16 v77, v47, v7
	;;#ASMEND
	;;#ASMSTART
	v_dot2c_f32_f16 v76, v47, v3
	;;#ASMEND
	;; [unrolled: 3-line block ×8, first 2 shown]
	s_cbranch_scc1 .LBB102_58
.LBB102_24:                             ;   Parent Loop BB102_19 Depth=1
                                        ; =>  This Inner Loop Header: Depth=2
	v_add_u32_e32 v66, s30, v52
	v_min_u32_e32 v54, s36, v66
	v_lshl_add_u64 v[0:1], v[54:55], 1, s[18:19]
	v_add_u32_e32 v64, 0x100, v66
	v_lshl_add_u64 v[2:3], v[0:1], 0, v[60:61]
	v_lshl_add_u64 v[0:1], v[0:1], 0, v[62:63]
	v_min_u32_e32 v54, s36, v64
	global_load_dwordx4 v[12:15], v[2:3], off nt
	global_load_dwordx4 v[8:11], v[0:1], off nt
	v_lshl_add_u64 v[0:1], v[54:55], 1, s[18:19]
	s_waitcnt vmcnt(2)
	v_lshl_add_u64 v[16:17], v[0:1], 0, v[60:61]
	v_lshl_add_u64 v[18:19], v[0:1], 0, v[62:63]
	global_load_dwordx4 v[4:7], v[16:17], off nt
	global_load_dwordx4 v[0:3], v[18:19], off nt
	s_mov_b32 s25, s24
	v_cmp_gt_u32_e32 vcc, s8, v66
	v_mov_b64_e32 v[34:35], s[24:25]
	v_mov_b32_e32 v39, 0
	v_mov_b32_e32 v38, 0
	;; [unrolled: 1-line block ×4, first 2 shown]
	v_mov_b64_e32 v[32:33], s[24:25]
	v_mov_b64_e32 v[42:43], s[24:25]
	v_mov_b64_e32 v[40:41], s[24:25]
	v_mov_b64_e32 v[46:47], s[24:25]
	v_mov_b64_e32 v[44:45], s[24:25]
	v_mov_b64_e32 v[18:19], s[24:25]
	v_mov_b64_e32 v[16:17], s[24:25]
	v_mov_b64_e32 v[22:23], s[24:25]
	v_mov_b64_e32 v[20:21], s[24:25]
	v_mov_b64_e32 v[26:27], s[24:25]
	v_mov_b64_e32 v[24:25], s[24:25]
	v_mov_b64_e32 v[30:31], s[24:25]
	v_mov_b64_e32 v[28:29], s[24:25]
	s_and_saveexec_b64 s[4:5], vcc
	s_cbranch_execz .LBB102_23
; %bb.25:                               ;   in Loop: Header=BB102_24 Depth=2
	v_cmp_lt_u32_e32 vcc, s10, v66
                                        ; implicit-def: $vgpr30_vgpr31
	s_and_saveexec_b64 s[26:27], vcc
	s_xor_b64 s[26:27], exec, s[26:27]
	s_cbranch_execz .LBB102_27
; %bb.26:                               ;   in Loop: Header=BB102_24 Depth=2
	v_mov_b32_e32 v67, v55
	v_lshl_add_u64 v[16:17], v[66:67], 1, s[6:7]
	global_load_dwordx4 v[28:31], v[16:17], off
.LBB102_27:                             ;   in Loop: Header=BB102_24 Depth=2
	s_andn2_saveexec_b64 s[26:27], s[26:27]
	s_cbranch_execz .LBB102_29
; %bb.28:                               ;   in Loop: Header=BB102_24 Depth=2
	s_waitcnt vmcnt(0)
	ds_read_b128 v[28:31], v78
.LBB102_29:                             ;   in Loop: Header=BB102_24 Depth=2
	s_or_b64 exec, exec, s[26:27]
	v_add_u32_e32 v54, s30, v57
	v_cmp_lt_u32_e32 vcc, s10, v54
                                        ; implicit-def: $vgpr26_vgpr27
	s_and_saveexec_b64 s[26:27], vcc
	s_xor_b64 s[26:27], exec, s[26:27]
	s_cbranch_execz .LBB102_31
; %bb.30:                               ;   in Loop: Header=BB102_24 Depth=2
	v_lshl_add_u64 v[16:17], v[54:55], 1, s[6:7]
	global_load_dwordx4 v[24:27], v[16:17], off
.LBB102_31:                             ;   in Loop: Header=BB102_24 Depth=2
	s_andn2_saveexec_b64 s[26:27], s[26:27]
	s_cbranch_execz .LBB102_33
; %bb.32:                               ;   in Loop: Header=BB102_24 Depth=2
	v_add_u32_e32 v16, s42, v78
	s_waitcnt vmcnt(0)
	ds_read_b128 v[24:27], v16
.LBB102_33:                             ;   in Loop: Header=BB102_24 Depth=2
	s_or_b64 exec, exec, s[26:27]
	v_add_u32_e32 v68, s30, v71
	v_cmp_lt_u32_e32 vcc, s10, v68
                                        ; implicit-def: $vgpr22_vgpr23
	s_and_saveexec_b64 s[26:27], vcc
	s_xor_b64 s[26:27], exec, s[26:27]
	s_cbranch_execz .LBB102_35
; %bb.34:                               ;   in Loop: Header=BB102_24 Depth=2
	v_mov_b32_e32 v69, v55
	v_lshl_add_u64 v[16:17], v[68:69], 1, s[6:7]
	global_load_dwordx4 v[20:23], v[16:17], off
.LBB102_35:                             ;   in Loop: Header=BB102_24 Depth=2
	s_andn2_saveexec_b64 s[26:27], s[26:27]
	s_cbranch_execz .LBB102_37
; %bb.36:                               ;   in Loop: Header=BB102_24 Depth=2
	v_add_u32_e32 v16, s33, v78
	s_waitcnt vmcnt(0)
	ds_read2_b32 v[20:21], v16 offset1:1
	ds_read2_b32 v[22:23], v16 offset0:2 offset1:3
.LBB102_37:                             ;   in Loop: Header=BB102_24 Depth=2
	s_or_b64 exec, exec, s[26:27]
	v_add_u32_e32 v66, s30, v56
	v_cmp_lt_u32_e32 vcc, s10, v66
                                        ; implicit-def: $vgpr18_vgpr19
	s_and_saveexec_b64 s[26:27], vcc
	s_xor_b64 s[26:27], exec, s[26:27]
	s_cbranch_execz .LBB102_39
; %bb.38:                               ;   in Loop: Header=BB102_24 Depth=2
	v_mov_b32_e32 v67, v55
	v_lshl_add_u64 v[16:17], v[66:67], 1, s[6:7]
	global_load_dwordx4 v[16:19], v[16:17], off
.LBB102_39:                             ;   in Loop: Header=BB102_24 Depth=2
	s_andn2_saveexec_b64 s[26:27], s[26:27]
	s_cbranch_execz .LBB102_41
; %bb.40:                               ;   in Loop: Header=BB102_24 Depth=2
	s_waitcnt vmcnt(0)
	v_add_u32_e32 v16, s43, v78
	ds_read_b128 v[16:19], v16
.LBB102_41:                             ;   in Loop: Header=BB102_24 Depth=2
	s_or_b64 exec, exec, s[26:27]
	s_mov_b32 s25, s24
	v_cmp_gt_u32_e32 vcc, s8, v64
	v_mov_b32_e32 v39, 0
	v_mov_b64_e32 v[34:35], s[24:25]
	v_mov_b32_e32 v38, 0
	v_mov_b32_e32 v37, 0
	;; [unrolled: 1-line block ×3, first 2 shown]
	v_mov_b64_e32 v[32:33], s[24:25]
	v_mov_b64_e32 v[42:43], s[24:25]
	;; [unrolled: 1-line block ×5, first 2 shown]
	s_and_saveexec_b64 s[26:27], vcc
	s_cbranch_execz .LBB102_22
; %bb.42:                               ;   in Loop: Header=BB102_24 Depth=2
	v_cmp_lt_u32_e32 vcc, s10, v64
                                        ; implicit-def: $vgpr46_vgpr47
	s_and_saveexec_b64 s[28:29], vcc
	s_xor_b64 s[28:29], exec, s[28:29]
	s_cbranch_execz .LBB102_44
; %bb.43:                               ;   in Loop: Header=BB102_24 Depth=2
	v_mov_b32_e32 v65, v55
	v_lshl_add_u64 v[32:33], v[64:65], 1, s[6:7]
	global_load_dwordx4 v[44:47], v[32:33], off
.LBB102_44:                             ;   in Loop: Header=BB102_24 Depth=2
	s_andn2_saveexec_b64 s[28:29], s[28:29]
	s_cbranch_execz .LBB102_46
; %bb.45:                               ;   in Loop: Header=BB102_24 Depth=2
	s_waitcnt vmcnt(0)
	ds_read_b128 v[44:47], v78 offset:512
.LBB102_46:                             ;   in Loop: Header=BB102_24 Depth=2
	s_or_b64 exec, exec, s[28:29]
	v_add_u32_e32 v54, 0x100, v54
	v_cmp_lt_u32_e32 vcc, s10, v54
                                        ; implicit-def: $vgpr42_vgpr43
	s_and_saveexec_b64 s[28:29], vcc
	s_xor_b64 s[28:29], exec, s[28:29]
	s_cbranch_execz .LBB102_48
; %bb.47:                               ;   in Loop: Header=BB102_24 Depth=2
	v_lshl_add_u64 v[32:33], v[54:55], 1, s[6:7]
	global_load_dwordx4 v[40:43], v[32:33], off
.LBB102_48:                             ;   in Loop: Header=BB102_24 Depth=2
	s_andn2_saveexec_b64 s[28:29], s[28:29]
	s_cbranch_execz .LBB102_50
; %bb.49:                               ;   in Loop: Header=BB102_24 Depth=2
	v_add_u32_e32 v32, s42, v78
	s_waitcnt vmcnt(0)
	ds_read_b128 v[40:43], v32 offset:512
.LBB102_50:                             ;   in Loop: Header=BB102_24 Depth=2
	s_or_b64 exec, exec, s[28:29]
	v_add_u32_e32 v54, 0x100, v68
	v_cmp_lt_u32_e32 vcc, s10, v54
                                        ; implicit-def: $vgpr34_vgpr35
	s_and_saveexec_b64 s[28:29], vcc
	s_xor_b64 s[28:29], exec, s[28:29]
	s_cbranch_execz .LBB102_52
; %bb.51:                               ;   in Loop: Header=BB102_24 Depth=2
	v_lshl_add_u64 v[32:33], v[54:55], 1, s[6:7]
	global_load_dwordx4 v[32:35], v[32:33], off
.LBB102_52:                             ;   in Loop: Header=BB102_24 Depth=2
	s_andn2_saveexec_b64 s[28:29], s[28:29]
	s_cbranch_execz .LBB102_54
; %bb.53:                               ;   in Loop: Header=BB102_24 Depth=2
	s_waitcnt vmcnt(0)
	v_add_u32_e32 v34, s33, v78
	ds_read2_b32 v[32:33], v34 offset0:128 offset1:129
	ds_read2_b32 v[34:35], v34 offset0:130 offset1:131
.LBB102_54:                             ;   in Loop: Header=BB102_24 Depth=2
	s_or_b64 exec, exec, s[28:29]
	v_add_u32_e32 v54, 0x100, v66
	v_cmp_lt_u32_e32 vcc, s10, v54
                                        ; implicit-def: $vgpr39
	s_and_saveexec_b64 s[28:29], vcc
	s_xor_b64 s[28:29], exec, s[28:29]
	s_cbranch_execz .LBB102_56
; %bb.55:                               ;   in Loop: Header=BB102_24 Depth=2
	v_lshl_add_u64 v[36:37], v[54:55], 1, s[6:7]
	global_load_dwordx4 v[36:39], v[36:37], off
.LBB102_56:                             ;   in Loop: Header=BB102_24 Depth=2
	s_andn2_saveexec_b64 s[28:29], s[28:29]
	s_cbranch_execz .LBB102_21
; %bb.57:                               ;   in Loop: Header=BB102_24 Depth=2
	s_waitcnt vmcnt(0)
	v_add_u32_e32 v36, s43, v78
	ds_read_b128 v[36:39], v36 offset:512
	s_branch .LBB102_21
.LBB102_58:                             ;   in Loop: Header=BB102_19 Depth=1
	v_cvt_i32_f32_e32 v0, v77
	v_cvt_i32_f32_e32 v1, v76
	;; [unrolled: 1-line block ×4, first 2 shown]
	v_cvt_f32_i32_dpp v0, v0 row_shr:8 row_mask:0xf bank_mask:0xf bound_ctrl:1
	v_cvt_f32_i32_dpp v1, v1 row_shr:8 row_mask:0xf bank_mask:0xf bound_ctrl:1
	;; [unrolled: 1-line block ×4, first 2 shown]
	v_add_f32_e32 v0, v77, v0
	v_cvt_i32_f32_e32 v4, v0
	v_add_f32_e32 v1, v76, v1
	v_cvt_i32_f32_e32 v5, v1
	v_add_f32_e32 v2, v75, v2
	v_cvt_f32_i32_dpp v4, v4 row_shr:4 row_mask:0xf bank_mask:0xf bound_ctrl:1
	v_add_f32_e32 v3, v74, v3
	v_cvt_f32_i32_dpp v5, v5 row_shr:4 row_mask:0xf bank_mask:0xf bound_ctrl:1
	v_cvt_i32_f32_e32 v6, v2
	v_add_f32_e32 v0, v0, v4
	v_cvt_i32_f32_e32 v4, v0
	v_add_f32_e32 v1, v1, v5
	v_cvt_i32_f32_e32 v5, v1
	v_cvt_i32_f32_e32 v7, v3
	v_cvt_f32_i32_dpp v4, v4 row_shr:2 row_mask:0xf bank_mask:0xf bound_ctrl:1
	v_cvt_f32_i32_dpp v6, v6 row_shr:4 row_mask:0xf bank_mask:0xf bound_ctrl:1
	;; [unrolled: 1-line block ×4, first 2 shown]
	v_add_f32_e32 v0, v0, v4
	v_cvt_i32_f32_e32 v4, v0
	v_add_f32_e32 v2, v2, v6
	v_add_f32_e32 v1, v1, v5
	;; [unrolled: 1-line block ×3, first 2 shown]
	v_cvt_f32_i32_dpp v4, v4 row_shr:1 row_mask:0xf bank_mask:0xf bound_ctrl:1
	v_cvt_i32_f32_e32 v3, v2
	v_cvt_i32_f32_e32 v5, v1
	;; [unrolled: 1-line block ×3, first 2 shown]
	v_add_f32_e32 v0, v0, v4
	v_cvt_f32_i32_dpp v3, v3 row_shr:2 row_mask:0xf bank_mask:0xf bound_ctrl:1
	v_cvt_i32_f32_e32 v4, v0
	v_cvt_f32_i32_dpp v5, v5 row_shr:1 row_mask:0xf bank_mask:0xf bound_ctrl:1
	v_cvt_f32_i32_dpp v8, v6 row_shr:2 row_mask:0xf bank_mask:0xf bound_ctrl:1
	v_add_f32_e32 v2, v2, v3
	v_cvt_f32_i32_dpp v3, v4 row_bcast:15 row_mask:0xf bank_mask:0xf bound_ctrl:1
	v_add_f32_e32 v1, v1, v5
	v_cvt_i32_f32_e32 v4, v1
	v_cvt_i32_f32_e32 v5, v2
	v_add_f32_e32 v3, v0, v3
	v_cvt_i32_f32_e32 v0, v3
	v_cvt_f32_i32_dpp v4, v4 row_bcast:15 row_mask:0xf bank_mask:0xf bound_ctrl:1
	v_cvt_f32_i32_dpp v5, v5 row_shr:1 row_mask:0xf bank_mask:0xf bound_ctrl:1
	v_mov_b32_dpp v6, v0 row_bcast:31 row_mask:0xf bank_mask:0xf bound_ctrl:1
	v_add_f32_e32 v0, v1, v4
	v_add_f32_e32 v1, v2, v5
	v_cvt_i32_f32_e32 v2, v73
	v_add_f32_e32 v4, v7, v8
	v_cvt_i32_f32_e32 v5, v4
	v_cvt_i32_f32_e32 v7, v1
	v_cvt_f32_i32_dpp v2, v2 row_shr:8 row_mask:0xf bank_mask:0xf bound_ctrl:1
	v_cvt_i32_f32_e32 v8, v0
	v_cvt_f32_i32_dpp v5, v5 row_shr:1 row_mask:0xf bank_mask:0xf bound_ctrl:1
	v_cvt_f32_i32_dpp v7, v7 row_bcast:15 row_mask:0xf bank_mask:0xf bound_ctrl:1
	v_add_f32_e32 v2, v73, v2
	v_cvt_i32_f32_e32 v9, v2
	v_add_f32_e32 v4, v4, v5
	v_cvt_i32_f32_e32 v5, v4
	v_add_f32_e32 v1, v1, v7
	v_cvt_f32_i32_dpp v9, v9 row_shr:4 row_mask:0xf bank_mask:0xf bound_ctrl:1
	v_cvt_i32_f32_e32 v7, v72
	v_cvt_f32_i32_dpp v5, v5 row_bcast:15 row_mask:0xf bank_mask:0xf bound_ctrl:1
	v_cvt_i32_f32_e32 v11, v1
	v_add_f32_e32 v9, v2, v9
	v_cvt_i32_f32_e32 v10, v9
	v_cvt_f32_i32_dpp v7, v7 row_shr:8 row_mask:0xf bank_mask:0xf bound_ctrl:1
	v_add_f32_e32 v2, v4, v5
	v_cvt_i32_f32_e32 v5, v2
	v_cvt_f32_i32_dpp v4, v10 row_shr:2 row_mask:0xf bank_mask:0xf bound_ctrl:1
	v_add_f32_e32 v7, v72, v7
	v_cvt_i32_f32_e32 v12, v7
	v_mov_b32_dpp v10, v11 row_bcast:31 row_mask:0xf bank_mask:0xf bound_ctrl:1
	v_add_f32_e32 v4, v9, v4
	v_cvt_i32_f32_e32 v9, v4
	v_cvt_f32_i32_dpp v11, v12 row_shr:4 row_mask:0xf bank_mask:0xf bound_ctrl:1
	v_cvt_i32_f32_e32 v12, v59
	v_mov_b32_dpp v8, v8 row_bcast:31 row_mask:0xf bank_mask:0xf bound_ctrl:1
	v_cvt_f32_i32_dpp v9, v9 row_shr:1 row_mask:0xf bank_mask:0xf bound_ctrl:1
	v_add_f32_e32 v7, v7, v11
	v_cvt_i32_f32_e32 v11, v51
	v_cvt_f32_i32_dpp v12, v12 row_shr:8 row_mask:0xf bank_mask:0xf bound_ctrl:1
	v_add_f32_e32 v4, v4, v9
	v_cvt_i32_f32_e32 v13, v7
	;; [unrolled: 3-line block ×4, first 2 shown]
	v_cvt_i32_f32_e32 v14, v9
	v_add_f32_e32 v7, v7, v11
	v_cvt_f32_i32_dpp v15, v15 row_bcast:15 row_mask:0xf bank_mask:0xf bound_ctrl:1
	v_cvt_f32_i32_dpp v13, v13 row_shr:4 row_mask:0xf bank_mask:0xf bound_ctrl:1
	v_cvt_f32_i32_dpp v11, v14 row_shr:4 row_mask:0xf bank_mask:0xf bound_ctrl:1
	v_cvt_i32_f32_e32 v14, v7
	v_mov_b32_dpp v5, v5 row_bcast:31 row_mask:0xf bank_mask:0xf bound_ctrl:1
	v_add_f32_e32 v12, v12, v13
	v_add_f32_e32 v9, v9, v11
	v_cvt_i32_f32_e32 v13, v12
	v_cvt_i32_f32_e32 v11, v9
	v_cvt_f32_i32_dpp v14, v14 row_shr:1 row_mask:0xf bank_mask:0xf bound_ctrl:1
	v_cvt_f32_i32_dpp v13, v13 row_shr:2 row_mask:0xf bank_mask:0xf bound_ctrl:1
	;; [unrolled: 1-line block ×3, first 2 shown]
	v_add_f32_e32 v7, v7, v14
	v_cvt_i32_f32_e32 v14, v7
	v_add_f32_e32 v12, v12, v13
	v_add_f32_e32 v9, v9, v11
	v_cvt_i32_f32_e32 v13, v12
	v_cvt_i32_f32_e32 v11, v9
	s_waitcnt vmcnt(0)
	v_cvt_f32_i32_dpp v16, v13 row_shr:1 row_mask:0xf bank_mask:0xf bound_ctrl:1
	v_add_f32_e32 v13, v4, v15
	v_cvt_f32_i32_dpp v4, v11 row_shr:1 row_mask:0xf bank_mask:0xf bound_ctrl:1
	v_cvt_f32_i32_dpp v11, v14 row_bcast:15 row_mask:0xf bank_mask:0xf bound_ctrl:1
	v_add_f32_e32 v14, v12, v16
	v_cvt_i32_f32_e32 v12, v14
	v_add_f32_e32 v4, v9, v4
	v_cvt_i32_f32_e32 v9, v4
	v_cvt_i32_f32_e32 v15, v13
	v_cvt_f32_i32_dpp v16, v12 row_bcast:15 row_mask:0xf bank_mask:0xf bound_ctrl:1
	v_add_f32_e32 v12, v7, v11
	v_cvt_f32_i32_dpp v7, v9 row_bcast:15 row_mask:0xf bank_mask:0xf bound_ctrl:1
	v_cvt_i32_f32_e32 v11, v12
	v_add_f32_e32 v9, v14, v16
	v_cvt_i32_f32_e32 v16, v9
	v_add_f32_e32 v4, v4, v7
	v_cvt_i32_f32_e32 v7, v4
	v_mov_b32_dpp v15, v15 row_bcast:31 row_mask:0xf bank_mask:0xf bound_ctrl:1
	v_mov_b32_dpp v14, v11 row_bcast:31 row_mask:0xf bank_mask:0xf bound_ctrl:1
	;; [unrolled: 1-line block ×4, first 2 shown]
	s_and_saveexec_b64 s[26:27], s[0:1]
	s_cbranch_execz .LBB102_70
; %bb.59:                               ;   in Loop: Header=BB102_19 Depth=1
	s_andn2_b64 vcc, exec, s[22:23]
	v_mov_b32_e32 v23, 0
	v_mov_b32_e32 v22, 0
	v_mov_b32_e32 v21, 0
	v_mov_b32_e32 v20, 0
	v_mov_b32_e32 v19, 0
	v_mov_b32_e32 v18, 0
	v_mov_b32_e32 v17, 0
	v_mov_b32_e32 v16, 0
	s_cbranch_vccnz .LBB102_61
; %bb.60:                               ;   in Loop: Header=BB102_19 Depth=1
	v_mul_hi_u32 v16, v50, v53
	v_mul_lo_u32 v16, v16, s16
	v_sub_u32_e32 v16, v50, v16
	v_subrev_u32_e32 v17, s16, v16
	v_cmp_le_u32_e32 vcc, s16, v16
	v_mov_b32_e32 v19, v55
	s_nop 0
	v_cndmask_b32_e32 v16, v16, v17, vcc
	v_subrev_u32_e32 v17, s16, v16
	v_cmp_le_u32_e32 vcc, s16, v16
	s_nop 1
	v_cndmask_b32_e32 v54, v16, v17, vcc
	v_mul_hi_u32 v16, v58, v53
	v_mul_lo_u32 v16, v16, s16
	v_sub_u32_e32 v16, v58, v16
	v_subrev_u32_e32 v17, s16, v16
	v_cmp_le_u32_e32 vcc, s16, v16
	v_add_u32_e32 v18, s39, v54
	v_lshl_add_u64 v[28:29], v[18:19], 1, s[12:13]
	v_cndmask_b32_e32 v16, v16, v17, vcc
	v_subrev_u32_e32 v17, s16, v16
	v_cmp_le_u32_e32 vcc, s16, v16
	v_lshl_add_u64 v[24:25], v[54:55], 1, s[12:13]
	s_nop 0
	v_cndmask_b32_e32 v16, v16, v17, vcc
	v_add_u32_e32 v18, s39, v16
	v_lshl_add_u64 v[30:31], v[18:19], 1, s[12:13]
	v_add_u32_e32 v18, s40, v54
	v_add_u32_e32 v54, s41, v54
	v_mov_b32_e32 v17, v55
	v_lshl_add_u64 v[32:33], v[18:19], 1, s[12:13]
	v_add_u32_e32 v18, s40, v16
	v_lshl_add_u64 v[36:37], v[54:55], 1, s[12:13]
	v_add_u32_e32 v54, s41, v16
	v_lshl_add_u64 v[26:27], v[16:17], 1, s[12:13]
	v_lshl_add_u64 v[34:35], v[18:19], 1, s[12:13]
	;; [unrolled: 1-line block ×3, first 2 shown]
	global_load_ushort v23, v[24:25], off
	global_load_ushort v22, v[26:27], off
	;; [unrolled: 1-line block ×8, first 2 shown]
.LBB102_61:                             ;   in Loop: Header=BB102_19 Depth=1
	v_cmp_ne_u32_e32 vcc, 0, v48
	s_and_saveexec_b64 s[4:5], vcc
	s_cbranch_execnz .LBB102_75
; %bb.62:                               ;   in Loop: Header=BB102_19 Depth=1
	s_or_b64 exec, exec, s[4:5]
	v_cmp_ne_u32_e64 s[4:5], 0, v49
	s_and_saveexec_b64 s[28:29], s[4:5]
	s_cbranch_execnz .LBB102_76
.LBB102_63:                             ;   in Loop: Header=BB102_19 Depth=1
	s_or_b64 exec, exec, s[28:29]
	v_add_u32_e32 v54, s11, v50
	s_and_saveexec_b64 s[28:29], vcc
	s_cbranch_execnz .LBB102_77
.LBB102_64:                             ;   in Loop: Header=BB102_19 Depth=1
	s_or_b64 exec, exec, s[28:29]
	s_and_saveexec_b64 s[28:29], s[4:5]
	s_cbranch_execnz .LBB102_78
.LBB102_65:                             ;   in Loop: Header=BB102_19 Depth=1
	s_or_b64 exec, exec, s[28:29]
	v_add_u32_e32 v54, s11, v54
	s_and_saveexec_b64 s[28:29], vcc
	s_cbranch_execnz .LBB102_79
.LBB102_66:                             ;   in Loop: Header=BB102_19 Depth=1
	s_or_b64 exec, exec, s[28:29]
	s_and_saveexec_b64 s[28:29], s[4:5]
	s_cbranch_execnz .LBB102_80
.LBB102_67:                             ;   in Loop: Header=BB102_19 Depth=1
	s_or_b64 exec, exec, s[28:29]
	v_add_u32_e32 v54, s11, v54
	s_and_saveexec_b64 s[28:29], vcc
	s_cbranch_execnz .LBB102_81
.LBB102_68:                             ;   in Loop: Header=BB102_19 Depth=1
	s_or_b64 exec, exec, s[28:29]
	s_and_b64 exec, exec, s[4:5]
	s_cbranch_execz .LBB102_70
.LBB102_69:                             ;   in Loop: Header=BB102_19 Depth=1
	v_cvt_f32_i32_e32 v0, v7
	s_waitcnt vmcnt(0)
	v_cvt_f32_f16_e32 v1, v16
	v_add_u32_e32 v54, 1, v54
	v_add_f32_e32 v0, v4, v0
	v_add_f32_e32 v0, v0, v1
	v_cvt_f16_f32_e32 v2, v0
	v_lshl_add_u64 v[0:1], v[54:55], 1, s[14:15]
	global_store_short v[0:1], v2, off
.LBB102_70:                             ;   in Loop: Header=BB102_19 Depth=1
	s_or_b64 exec, exec, s[26:27]
	v_add_u32_e32 v50, s38, v50
	v_add_u32_e32 v0, 2, v50
	v_cmp_gt_u32_e32 vcc, s11, v50
	v_cmp_le_u32_e64 s[4:5], s11, v0
	s_and_b64 s[4:5], vcc, s[4:5]
	s_and_saveexec_b64 s[26:27], s[4:5]
	s_cbranch_execz .LBB102_18
; %bb.71:                               ;   in Loop: Header=BB102_19 Depth=1
	v_cmp_ne_u32_e32 vcc, s17, v50
	s_and_saveexec_b64 s[28:29], vcc
	s_cbranch_execz .LBB102_17
; %bb.72:                               ;   in Loop: Header=BB102_19 Depth=1
	v_subrev_u32_e32 v0, s17, v50
	v_cmp_lt_u32_e32 vcc, 1, v0
	s_mov_b64 s[30:31], 0
	s_mov_b64 s[34:35], 0
	v_cndmask_b32_e32 v0, 1, v0, vcc
.LBB102_73:                             ;   Parent Loop BB102_19 Depth=1
                                        ; =>  This Inner Loop Header: Depth=2
	s_cmp_lg_u32 s34, 1
	s_cselect_b64 vcc, -1, 0
	s_cmp_lg_u32 s34, 0
	v_cndmask_b32_e32 v49, 0, v49, vcc
	s_cselect_b64 vcc, -1, 0
	s_add_u32 s34, s34, 1
	s_addc_u32 s35, s35, 0
	v_cmp_eq_u32_e64 s[4:5], s34, v0
	s_or_b64 s[30:31], s[4:5], s[30:31]
	v_cndmask_b32_e32 v48, 0, v48, vcc
	s_andn2_b64 exec, exec, s[30:31]
	s_cbranch_execnz .LBB102_73
; %bb.74:                               ;   in Loop: Header=BB102_19 Depth=1
	s_or_b64 exec, exec, s[30:31]
	s_branch .LBB102_17
.LBB102_75:                             ;   in Loop: Header=BB102_19 Depth=1
	v_cvt_f32_i32_e32 v6, v6
	s_waitcnt vmcnt(7)
	v_cvt_f32_f16_e32 v23, v23
	v_mov_b32_e32 v51, v55
	v_lshl_add_u64 v[24:25], v[50:51], 1, s[14:15]
	v_add_f32_e32 v3, v3, v6
	v_add_f32_e32 v3, v3, v23
	v_cvt_f16_f32_e32 v3, v3
	global_store_short v[24:25], v3, off
	s_or_b64 exec, exec, s[4:5]
	v_cmp_ne_u32_e64 s[4:5], 0, v49
	s_and_saveexec_b64 s[28:29], s[4:5]
	s_cbranch_execz .LBB102_63
.LBB102_76:                             ;   in Loop: Header=BB102_19 Depth=1
	v_cvt_f32_i32_e32 v3, v8
	s_waitcnt vmcnt(6)
	v_cvt_f32_f16_e32 v6, v22
	v_mov_b32_e32 v59, v55
	v_lshl_add_u64 v[22:23], v[58:59], 1, s[14:15]
	v_add_f32_e32 v0, v0, v3
	v_add_f32_e32 v0, v0, v6
	v_cvt_f16_f32_e32 v0, v0
	global_store_short v[22:23], v0, off
	s_or_b64 exec, exec, s[28:29]
	v_add_u32_e32 v54, s11, v50
	s_and_saveexec_b64 s[28:29], vcc
	s_cbranch_execz .LBB102_64
.LBB102_77:                             ;   in Loop: Header=BB102_19 Depth=1
	v_cvt_f32_i32_e32 v0, v10
	s_waitcnt vmcnt(5)
	v_cvt_f32_f16_e32 v3, v21
	v_add_f32_e32 v0, v1, v0
	v_add_f32_e32 v0, v0, v3
	v_cvt_f16_f32_e32 v3, v0
	v_lshl_add_u64 v[0:1], v[54:55], 1, s[14:15]
	global_store_short v[0:1], v3, off
	s_or_b64 exec, exec, s[28:29]
	s_and_saveexec_b64 s[28:29], s[4:5]
	s_cbranch_execz .LBB102_65
.LBB102_78:                             ;   in Loop: Header=BB102_19 Depth=1
	v_cvt_f32_i32_e32 v0, v5
	s_waitcnt vmcnt(4)
	v_cvt_f32_f16_e32 v1, v20
	v_add_f32_e32 v0, v2, v0
	v_add_f32_e32 v0, v0, v1
	v_cvt_f16_f32_e32 v2, v0
	v_add_u32_e32 v0, 1, v54
	v_mov_b32_e32 v1, v55
	v_lshl_add_u64 v[0:1], v[0:1], 1, s[14:15]
	global_store_short v[0:1], v2, off
	s_or_b64 exec, exec, s[28:29]
	v_add_u32_e32 v54, s11, v54
	s_and_saveexec_b64 s[28:29], vcc
	s_cbranch_execz .LBB102_66
.LBB102_79:                             ;   in Loop: Header=BB102_19 Depth=1
	v_cvt_f32_i32_e32 v0, v15
	s_waitcnt vmcnt(3)
	v_cvt_f32_f16_e32 v1, v19
	v_add_f32_e32 v0, v13, v0
	v_add_f32_e32 v0, v0, v1
	v_cvt_f16_f32_e32 v2, v0
	v_lshl_add_u64 v[0:1], v[54:55], 1, s[14:15]
	global_store_short v[0:1], v2, off
	s_or_b64 exec, exec, s[28:29]
	s_and_saveexec_b64 s[28:29], s[4:5]
	s_cbranch_execz .LBB102_67
.LBB102_80:                             ;   in Loop: Header=BB102_19 Depth=1
	v_cvt_f32_i32_e32 v0, v14
	s_waitcnt vmcnt(2)
	v_cvt_f32_f16_e32 v1, v18
	v_add_f32_e32 v0, v12, v0
	v_add_f32_e32 v0, v0, v1
	v_cvt_f16_f32_e32 v2, v0
	v_add_u32_e32 v0, 1, v54
	v_mov_b32_e32 v1, v55
	v_lshl_add_u64 v[0:1], v[0:1], 1, s[14:15]
	global_store_short v[0:1], v2, off
	s_or_b64 exec, exec, s[28:29]
	v_add_u32_e32 v54, s11, v54
	s_and_saveexec_b64 s[28:29], vcc
	s_cbranch_execz .LBB102_68
.LBB102_81:                             ;   in Loop: Header=BB102_19 Depth=1
	v_cvt_f32_i32_e32 v0, v11
	s_waitcnt vmcnt(1)
	v_cvt_f32_f16_e32 v1, v17
	v_add_f32_e32 v0, v9, v0
	v_add_f32_e32 v0, v0, v1
	v_cvt_f16_f32_e32 v2, v0
	v_lshl_add_u64 v[0:1], v[54:55], 1, s[14:15]
	global_store_short v[0:1], v2, off
	s_or_b64 exec, exec, s[28:29]
	s_and_b64 exec, exec, s[4:5]
	s_cbranch_execnz .LBB102_69
	s_branch .LBB102_70
.LBB102_82:
	s_endpgm
	.section	.rodata,"a",@progbits
	.p2align	6, 0x0
	.amdhsa_kernel _Z12wvSplitK_hf_I6__halfLi32ELi2ELi16ELi8ELi2ELi4EEviiiiiiPKT_S3_S3_PS1_ii
		.amdhsa_group_segment_fixed_size 65536
		.amdhsa_private_segment_fixed_size 0
		.amdhsa_kernarg_size 64
		.amdhsa_user_sgpr_count 2
		.amdhsa_user_sgpr_dispatch_ptr 0
		.amdhsa_user_sgpr_queue_ptr 0
		.amdhsa_user_sgpr_kernarg_segment_ptr 1
		.amdhsa_user_sgpr_dispatch_id 0
		.amdhsa_user_sgpr_kernarg_preload_length 0
		.amdhsa_user_sgpr_kernarg_preload_offset 0
		.amdhsa_user_sgpr_private_segment_size 0
		.amdhsa_uses_dynamic_stack 0
		.amdhsa_enable_private_segment 0
		.amdhsa_system_sgpr_workgroup_id_x 1
		.amdhsa_system_sgpr_workgroup_id_y 0
		.amdhsa_system_sgpr_workgroup_id_z 0
		.amdhsa_system_sgpr_workgroup_info 0
		.amdhsa_system_vgpr_workitem_id 1
		.amdhsa_next_free_vgpr 79
		.amdhsa_next_free_sgpr 44
		.amdhsa_accum_offset 80
		.amdhsa_reserve_vcc 1
		.amdhsa_float_round_mode_32 0
		.amdhsa_float_round_mode_16_64 0
		.amdhsa_float_denorm_mode_32 3
		.amdhsa_float_denorm_mode_16_64 3
		.amdhsa_dx10_clamp 1
		.amdhsa_ieee_mode 1
		.amdhsa_fp16_overflow 0
		.amdhsa_tg_split 0
		.amdhsa_exception_fp_ieee_invalid_op 0
		.amdhsa_exception_fp_denorm_src 0
		.amdhsa_exception_fp_ieee_div_zero 0
		.amdhsa_exception_fp_ieee_overflow 0
		.amdhsa_exception_fp_ieee_underflow 0
		.amdhsa_exception_fp_ieee_inexact 0
		.amdhsa_exception_int_div_zero 0
	.end_amdhsa_kernel
	.section	.text._Z12wvSplitK_hf_I6__halfLi32ELi2ELi16ELi8ELi2ELi4EEviiiiiiPKT_S3_S3_PS1_ii,"axG",@progbits,_Z12wvSplitK_hf_I6__halfLi32ELi2ELi16ELi8ELi2ELi4EEviiiiiiPKT_S3_S3_PS1_ii,comdat
.Lfunc_end102:
	.size	_Z12wvSplitK_hf_I6__halfLi32ELi2ELi16ELi8ELi2ELi4EEviiiiiiPKT_S3_S3_PS1_ii, .Lfunc_end102-_Z12wvSplitK_hf_I6__halfLi32ELi2ELi16ELi8ELi2ELi4EEviiiiiiPKT_S3_S3_PS1_ii
                                        ; -- End function
	.section	.AMDGPU.csdata,"",@progbits
; Kernel info:
; codeLenInByte = 4332
; NumSgprs: 50
; NumVgprs: 79
; NumAgprs: 0
; TotalNumVgprs: 79
; ScratchSize: 0
; MemoryBound: 1
; FloatMode: 240
; IeeeMode: 1
; LDSByteSize: 65536 bytes/workgroup (compile time only)
; SGPRBlocks: 6
; VGPRBlocks: 9
; NumSGPRsForWavesPerEU: 50
; NumVGPRsForWavesPerEU: 79
; AccumOffset: 80
; Occupancy: 2
; WaveLimiterHint : 0
; COMPUTE_PGM_RSRC2:SCRATCH_EN: 0
; COMPUTE_PGM_RSRC2:USER_SGPR: 2
; COMPUTE_PGM_RSRC2:TRAP_HANDLER: 0
; COMPUTE_PGM_RSRC2:TGID_X_EN: 1
; COMPUTE_PGM_RSRC2:TGID_Y_EN: 0
; COMPUTE_PGM_RSRC2:TGID_Z_EN: 0
; COMPUTE_PGM_RSRC2:TIDIG_COMP_CNT: 1
; COMPUTE_PGM_RSRC3_GFX90A:ACCUM_OFFSET: 19
; COMPUTE_PGM_RSRC3_GFX90A:TG_SPLIT: 0
	.section	.text._Z16wvSplitK_hf_big_I6__halfLi32ELi2ELi16ELi8ELi2ELi4EEviiiiiiPKT_S3_S3_PS1_ii,"axG",@progbits,_Z16wvSplitK_hf_big_I6__halfLi32ELi2ELi16ELi8ELi2ELi4EEviiiiiiPKT_S3_S3_PS1_ii,comdat
	.protected	_Z16wvSplitK_hf_big_I6__halfLi32ELi2ELi16ELi8ELi2ELi4EEviiiiiiPKT_S3_S3_PS1_ii ; -- Begin function _Z16wvSplitK_hf_big_I6__halfLi32ELi2ELi16ELi8ELi2ELi4EEviiiiiiPKT_S3_S3_PS1_ii
	.globl	_Z16wvSplitK_hf_big_I6__halfLi32ELi2ELi16ELi8ELi2ELi4EEviiiiiiPKT_S3_S3_PS1_ii
	.p2align	8
	.type	_Z16wvSplitK_hf_big_I6__halfLi32ELi2ELi16ELi8ELi2ELi4EEviiiiiiPKT_S3_S3_PS1_ii,@function
_Z16wvSplitK_hf_big_I6__halfLi32ELi2ELi16ELi8ELi2ELi4EEviiiiiiPKT_S3_S3_PS1_ii: ; @_Z16wvSplitK_hf_big_I6__halfLi32ELi2ELi16ELi8ELi2ELi4EEviiiiiiPKT_S3_S3_PS1_ii
; %bb.0:
	s_load_dwordx2 s[4:5], s[0:1], 0x38
	v_bfe_u32 v1, v0, 10, 10
	s_waitcnt lgkmcnt(0)
	v_cmp_gt_u32_e32 vcc, s4, v1
	s_and_saveexec_b64 s[6:7], vcc
	s_cbranch_execz .LBB103_56
; %bb.1:
	s_load_dwordx4 s[20:23], s[0:1], 0x0
	s_mul_i32 s2, s2, s4
	v_add_lshl_u32 v50, s2, v1, 1
	s_mov_b32 s6, 1
	v_add_u32_e32 v2, 2, v50
	s_waitcnt lgkmcnt(0)
	v_cmp_gt_u32_e32 vcc, s23, v50
	v_cmp_le_u32_e64 s[2:3], s23, v2
	s_mov_b32 s7, s6
	s_and_b64 s[8:9], vcc, s[2:3]
	v_mov_b64_e32 v[48:49], s[6:7]
	s_and_saveexec_b64 s[2:3], s[8:9]
	s_cbranch_execz .LBB103_7
; %bb.2:
	s_add_i32 s14, s23, -2
	v_cmp_ne_u32_e32 vcc, s14, v50
	v_mov_b64_e32 v[48:49], s[6:7]
	s_and_saveexec_b64 s[6:7], vcc
	s_cbranch_execz .LBB103_6
; %bb.3:
	v_subrev_u32_e32 v2, s14, v50
	s_mov_b32 s8, 1
	v_cmp_lt_u32_e32 vcc, 1, v2
	s_mov_b64 s[10:11], 0
	s_mov_b64 s[12:13], 0
	v_cndmask_b32_e32 v2, 1, v2, vcc
	s_mov_b32 s9, s8
.LBB103_4:                              ; =>This Inner Loop Header: Depth=1
	s_cmp_lg_u32 s12, 1
	s_cselect_b32 s9, s9, 0
	s_cmp_lg_u32 s12, 0
	s_cselect_b32 s8, s8, 0
	s_add_u32 s12, s12, 1
	s_addc_u32 s13, s13, 0
	v_cmp_eq_u32_e32 vcc, s12, v2
	s_or_b64 s[10:11], vcc, s[10:11]
	v_mov_b64_e32 v[48:49], s[8:9]
	s_andn2_b64 exec, exec, s[10:11]
	s_cbranch_execnz .LBB103_4
; %bb.5:
	s_or_b64 exec, exec, s[10:11]
	v_mov_b32_e32 v50, s14
.LBB103_6:
	s_or_b64 exec, exec, s[6:7]
.LBB103_7:
	s_or_b64 exec, exec, s[2:3]
	s_lshl_b32 s2, s4, 1
	s_abs_i32 s3, s2
	v_cvt_f32_u32_e32 v2, s3
	s_sub_i32 s8, 0, s3
	s_abs_i32 s7, s23
	s_ashr_i32 s6, s23, 31
	v_rcp_iflag_f32_e32 v2, v2
	s_nop 0
	v_mul_f32_e32 v2, 0x4f7ffffe, v2
	v_cvt_u32_f32_e32 v2, v2
	s_nop 0
	v_readfirstlane_b32 s9, v2
	s_mul_i32 s8, s8, s9
	s_mul_hi_u32 s8, s9, s8
	s_add_i32 s9, s9, s8
	s_mul_hi_u32 s8, s7, s9
	s_mul_i32 s8, s8, s3
	s_sub_i32 s7, s7, s8
	s_sub_i32 s8, s7, s3
	s_cmp_ge_u32 s7, s3
	s_cselect_b32 s7, s8, s7
	s_sub_i32 s8, s7, s3
	s_cmp_ge_u32 s7, s3
	s_cselect_b32 s3, s8, s7
	s_xor_b32 s3, s3, s6
	s_sub_i32 s3, s3, s6
	s_add_i32 s2, s2, s23
	s_sub_i32 s2, s2, s3
	s_cmp_eq_u32 s3, 0
	s_cselect_b32 s33, s23, s2
	v_cmp_gt_u32_e32 vcc, s33, v50
	s_and_b64 exec, exec, vcc
	s_cbranch_execz .LBB103_56
; %bb.8:
	s_load_dwordx8 s[12:19], s[0:1], 0x10
	s_min_u32 s40, s22, 0x2000
	s_cmp_lg_u32 s20, 0
	s_load_dwordx2 s[10:11], s[0:1], 0x30
	s_cselect_b64 s[2:3], -1, 0
	s_cmp_lg_u32 s22, 0
	s_mul_i32 s0, s5, s4
	s_cselect_b64 s[6:7], -1, 0
	s_lshl_b32 s41, s4, 8
	s_add_i32 s42, s20, -8
	s_add_i32 s43, s23, -1
	s_lshl_b32 s44, s0, 1
	s_waitcnt lgkmcnt(0)
	s_cmp_lg_u64 s[18:19], 0
	s_cselect_b64 s[26:27], -1, 0
	s_abs_i32 s5, s13
	v_cvt_f32_u32_e32 v2, s12
	v_cvt_f32_u32_e32 v3, s5
	s_sub_i32 s8, 0, s12
	s_add_i32 s13, s23, -2
	v_rcp_iflag_f32_e32 v2, v2
	v_rcp_iflag_f32_e32 v3, v3
	v_and_b32_e32 v0, 0x3ff, v0
	v_lshlrev_b32_e32 v55, 3, v0
	v_mul_f32_e32 v2, 0x4f7ffffe, v2
	v_mul_f32_e32 v3, 0x4f7ffffe, v3
	v_cvt_u32_f32_e32 v2, v2
	v_cvt_u32_f32_e32 v3, v3
	v_cmp_eq_u32_e64 s[0:1], 31, v0
	v_lshlrev_b32_e32 v0, 4, v0
	v_mul_lo_u32 v4, s8, v2
	s_sub_i32 s8, 0, s5
	v_readfirstlane_b32 s9, v3
	s_mul_i32 s8, s8, s9
	s_mul_hi_u32 s8, s9, s8
	s_add_i32 s9, s9, s8
	s_sub_i32 s8, 1, s5
	s_cmp_lt_u32 s5, 2
	s_cselect_b32 s8, s8, 1
	s_sub_i32 s28, s8, s5
	s_cmp_ge_u32 s8, s5
	s_cselect_b32 s45, s28, s8
	s_lshr_b32 s8, s9, 31
	s_mul_i32 s8, s8, s5
	s_sub_i32 s8, 2, s8
	s_sub_i32 s28, s8, s5
	s_cmp_ge_u32 s8, s5
	s_cselect_b32 s8, s28, s8
	s_sub_i32 s28, s8, s5
	s_cmp_ge_u32 s8, s5
	s_cselect_b32 s46, s28, s8
	s_mul_hi_u32 s8, s9, 3
	s_mul_i32 s8, s8, s5
	s_sub_i32 s8, 3, s8
	s_sub_i32 s9, s8, s5
	s_cmp_ge_u32 s8, s5
	s_cselect_b32 s8, s9, s8
	s_sub_i32 s9, s8, s5
	s_cmp_ge_u32 s8, s5
	s_cselect_b32 s47, s9, s8
	s_add_u32 s28, s10, 2
	v_lshl_add_u32 v63, v1, 9, v0
	v_lshl_add_u32 v54, v1, 8, v55
	v_cndmask_b32_e64 v0, 0, 1, s[2:3]
	v_mul_hi_u32 v4, v2, v4
	s_addc_u32 s29, s11, 0
	s_lshl_b32 s49, s4, 9
	v_mad_u64_u32 v[56:57], s[4:5], s22, 3, v[54:55]
	v_cmp_ne_u32_e64 s[2:3], 1, v0
	v_cndmask_b32_e64 v0, 0, 1, s[6:7]
	s_mov_b64 s[24:25], 0
	v_add_u32_e32 v62, v2, v4
	v_mov_b32_e32 v53, 0
	s_mul_i32 s45, s45, s12
	s_mul_i32 s46, s46, s12
	s_mul_i32 s47, s47, s12
	s_mul_i32 s48, s40, 6
	s_lshl_b32 s50, s40, 2
	s_lshl_b32 s51, s40, 1
	v_lshl_add_u32 v64, s22, 1, v54
	v_add_u32_e32 v57, s22, v54
	v_cmp_ne_u32_e64 s[4:5], 1, v0
	s_branch .LBB103_12
.LBB103_9:                              ;   in Loop: Header=BB103_12 Depth=1
	s_or_b64 exec, exec, s[34:35]
	v_mov_b32_e32 v50, s13
.LBB103_10:                             ;   in Loop: Header=BB103_12 Depth=1
	s_or_b64 exec, exec, s[30:31]
.LBB103_11:                             ;   in Loop: Header=BB103_12 Depth=1
	s_or_b64 exec, exec, s[8:9]
	v_cmp_le_u32_e32 vcc, s33, v50
	s_or_b64 s[24:25], vcc, s[24:25]
	s_andn2_b64 exec, exec, s[24:25]
	s_cbranch_execz .LBB103_56
.LBB103_12:                             ; =>This Loop Header: Depth=1
                                        ;     Child Loop BB103_17 Depth 2
                                        ;       Child Loop BB103_22 Depth 3
                                        ;     Child Loop BB103_47 Depth 2
	s_mov_b32 s36, 0
	s_and_b64 vcc, exec, s[2:3]
	v_mov_b32_e32 v71, v53
	v_mov_b32_e32 v70, v53
	;; [unrolled: 1-line block ×8, first 2 shown]
	s_cbranch_vccnz .LBB103_29
; %bb.13:                               ;   in Loop: Header=BB103_12 Depth=1
	v_min_u32_e32 v0, s43, v50
	v_mul_lo_u32 v52, v0, s21
	v_add_u32_e32 v0, 1, v50
	v_min_u32_e32 v0, s43, v0
	v_mul_lo_u32 v0, v0, s21
	v_mov_b32_e32 v1, v53
	v_cmp_gt_u32_e64 s[6:7], s23, v50
	v_mov_b32_e32 v67, 0
	v_lshlrev_b64 v[58:59], 1, v[52:53]
	v_lshlrev_b64 v[60:61], 1, v[0:1]
	v_mov_b32_e32 v66, 0
	v_mov_b32_e32 v65, 0
	;; [unrolled: 1-line block ×7, first 2 shown]
	s_mov_b32 s37, 0
	s_branch .LBB103_17
.LBB103_14:                             ;   in Loop: Header=BB103_17 Depth=2
	s_or_b64 exec, exec, s[34:35]
.LBB103_15:                             ;   in Loop: Header=BB103_17 Depth=2
	s_or_b64 exec, exec, s[30:31]
	s_waitcnt vmcnt(3) lgkmcnt(3)
	;;#ASMSTART
	v_dot2c_f32_f16 v71, v44, v24
	;;#ASMEND
	s_waitcnt vmcnt(2)
	;;#ASMSTART
	v_dot2c_f32_f16 v70, v44, v20
	;;#ASMEND
	s_waitcnt lgkmcnt(2)
	;;#ASMSTART
	v_dot2c_f32_f16 v69, v40, v24
	;;#ASMEND
	;;#ASMSTART
	v_dot2c_f32_f16 v68, v40, v20
	;;#ASMEND
	s_waitcnt lgkmcnt(1)
	;;#ASMSTART
	v_dot2c_f32_f16 v67, v36, v24
	;;#ASMEND
	;; [unrolled: 7-line block ×3, first 2 shown]
	;;#ASMSTART
	v_dot2c_f32_f16 v51, v32, v20
	;;#ASMEND
	;;#ASMSTART
	v_dot2c_f32_f16 v71, v45, v25
	;;#ASMEND
	;;#ASMSTART
	v_dot2c_f32_f16 v70, v45, v21
	;;#ASMEND
	;;#ASMSTART
	v_dot2c_f32_f16 v69, v41, v25
	;;#ASMEND
	;;#ASMSTART
	v_dot2c_f32_f16 v68, v41, v21
	;;#ASMEND
	;;#ASMSTART
	v_dot2c_f32_f16 v67, v37, v25
	;;#ASMEND
	;;#ASMSTART
	v_dot2c_f32_f16 v66, v37, v21
	;;#ASMEND
	s_nop 0
	;;#ASMSTART
	v_dot2c_f32_f16 v65, v33, v25
	;;#ASMEND
	;;#ASMSTART
	v_dot2c_f32_f16 v51, v33, v21
	;;#ASMEND
	;;#ASMSTART
	v_dot2c_f32_f16 v71, v46, v26
	;;#ASMEND
	;;#ASMSTART
	v_dot2c_f32_f16 v70, v46, v22
	;;#ASMEND
	;;#ASMSTART
	v_dot2c_f32_f16 v69, v42, v26
	;;#ASMEND
	;;#ASMSTART
	v_dot2c_f32_f16 v68, v42, v22
	;;#ASMEND
	;;#ASMSTART
	v_dot2c_f32_f16 v67, v38, v26
	;;#ASMEND
	;;#ASMSTART
	v_dot2c_f32_f16 v66, v38, v22
	;;#ASMEND
	s_nop 0
	;;#ASMSTART
	v_dot2c_f32_f16 v65, v34, v26
	;;#ASMEND
	;; [unrolled: 25-line block ×3, first 2 shown]
	;;#ASMSTART
	v_dot2c_f32_f16 v51, v35, v23
	;;#ASMEND
	s_waitcnt vmcnt(1)
	;;#ASMSTART
	v_dot2c_f32_f16 v71, v28, v4
	;;#ASMEND
	s_waitcnt vmcnt(0)
	;;#ASMSTART
	v_dot2c_f32_f16 v70, v28, v0
	;;#ASMEND
	;;#ASMSTART
	v_dot2c_f32_f16 v69, v16, v4
	;;#ASMEND
	;;#ASMSTART
	v_dot2c_f32_f16 v68, v16, v0
	;;#ASMEND
	;;#ASMSTART
	v_dot2c_f32_f16 v67, v12, v4
	;;#ASMEND
	;;#ASMSTART
	v_dot2c_f32_f16 v66, v12, v0
	;;#ASMEND
	;;#ASMSTART
	v_dot2c_f32_f16 v65, v8, v4
	;;#ASMEND
	;;#ASMSTART
	v_dot2c_f32_f16 v51, v8, v0
	;;#ASMEND
	;;#ASMSTART
	v_dot2c_f32_f16 v71, v29, v5
	;;#ASMEND
	s_nop 0
	;;#ASMSTART
	v_dot2c_f32_f16 v70, v29, v1
	;;#ASMEND
	;;#ASMSTART
	v_dot2c_f32_f16 v69, v17, v5
	;;#ASMEND
	;;#ASMSTART
	v_dot2c_f32_f16 v68, v17, v1
	;;#ASMEND
	;;#ASMSTART
	v_dot2c_f32_f16 v67, v13, v5
	;;#ASMEND
	;;#ASMSTART
	v_dot2c_f32_f16 v66, v13, v1
	;;#ASMEND
	;;#ASMSTART
	v_dot2c_f32_f16 v65, v9, v5
	;;#ASMEND
	;;#ASMSTART
	v_dot2c_f32_f16 v51, v9, v1
	;;#ASMEND
	;;#ASMSTART
	v_dot2c_f32_f16 v71, v30, v6
	;;#ASMEND
	s_nop 0
	;; [unrolled: 25-line block ×3, first 2 shown]
	;;#ASMSTART
	v_dot2c_f32_f16 v70, v31, v3
	;;#ASMEND
	;;#ASMSTART
	v_dot2c_f32_f16 v69, v19, v7
	;;#ASMEND
	;; [unrolled: 3-line block ×7, first 2 shown]
.LBB103_16:                             ;   in Loop: Header=BB103_17 Depth=2
	s_or_b64 exec, exec, s[8:9]
	s_addk_i32 s37, 0x200
	s_cmp_ge_u32 s37, s20
	s_cbranch_scc1 .LBB103_29
.LBB103_17:                             ;   Parent Loop BB103_12 Depth=1
                                        ; =>  This Loop Header: Depth=2
                                        ;       Child Loop BB103_22 Depth 3
	s_cmp_eq_u32 s37, 0
	s_cselect_b64 s[8:9], -1, 0
	s_add_i32 s30, s36, s40
	s_cmp_eq_u32 s37, s30
	s_cselect_b64 s[34:35], -1, 0
	s_or_b64 s[34:35], s[8:9], s[34:35]
	s_andn2_b64 vcc, exec, s[34:35]
	s_cbranch_vccz .LBB103_19
; %bb.18:                               ;   in Loop: Header=BB103_17 Depth=2
	s_and_saveexec_b64 s[8:9], s[6:7]
	s_cbranch_execz .LBB103_16
	s_branch .LBB103_26
.LBB103_19:                             ;   in Loop: Header=BB103_17 Depth=2
	s_and_b64 s[8:9], s[8:9], exec
	s_cselect_b32 s36, s36, s30
	s_and_b64 vcc, exec, s[4:5]
	s_barrier
	s_cbranch_vccnz .LBB103_25
; %bb.20:                               ;   in Loop: Header=BB103_17 Depth=2
	v_add_u32_e32 v0, s36, v64
	v_add_u32_e32 v1, s36, v56
	v_add_u32_e32 v2, s36, v57
	v_add_u32_e32 v3, s36, v54
	s_mov_b32 s38, 0
	s_mov_b64 s[30:31], 0
	v_mov_b32_e32 v4, v63
                                        ; implicit-def: $sgpr34_sgpr35
	s_branch .LBB103_22
.LBB103_21:                             ;   in Loop: Header=BB103_22 Depth=3
	s_or_b64 exec, exec, s[8:9]
	s_and_b64 s[8:9], exec, s[34:35]
	s_or_b64 s[30:31], s[8:9], s[30:31]
	s_andn2_b64 exec, exec, s[30:31]
	s_cbranch_execz .LBB103_24
.LBB103_22:                             ;   Parent Loop BB103_12 Depth=1
                                        ;     Parent Loop BB103_17 Depth=2
                                        ; =>    This Inner Loop Header: Depth=3
	v_add_u32_e32 v5, s38, v54
	v_add_u32_e32 v52, s38, v3
	v_cmp_gt_u32_e32 vcc, s22, v52
	v_cmp_gt_u32_e64 s[8:9], s40, v5
	s_and_b64 s[52:53], s[8:9], vcc
	s_or_b64 s[34:35], s[34:35], exec
	s_and_saveexec_b64 s[8:9], s[52:53]
	s_cbranch_execz .LBB103_21
; %bb.23:                               ;   in Loop: Header=BB103_22 Depth=3
	v_lshl_add_u64 v[6:7], v[52:53], 1, s[16:17]
	v_add_u32_e32 v52, s38, v2
	v_lshl_add_u64 v[10:11], v[52:53], 1, s[16:17]
	v_add_u32_e32 v52, s38, v0
	global_load_dwordx4 v[6:9], v[6:7], off
	s_nop 0
	global_load_dwordx4 v[10:13], v[10:11], off
	v_lshl_add_u64 v[14:15], v[52:53], 1, s[16:17]
	v_add_u32_e32 v52, s38, v1
	global_load_dwordx4 v[14:17], v[14:15], off
	s_waitcnt vmcnt(5)
	v_lshl_add_u64 v[18:19], v[52:53], 1, s[16:17]
	global_load_dwordx4 v[18:21], v[18:19], off
	s_add_i32 s38, s38, s41
	s_cmp_ge_u32 s38, s40
	s_cselect_b64 s[52:53], -1, 0
	s_andn2_b64 s[34:35], s[34:35], exec
	s_and_b64 s[52:53], s[52:53], exec
	v_add_u32_e32 v5, s51, v4
	v_add_u32_e32 v22, s50, v4
	;; [unrolled: 1-line block ×3, first 2 shown]
	s_or_b64 s[34:35], s[34:35], s[52:53]
	s_waitcnt vmcnt(3)
	ds_write_b128 v4, v[6:9]
	v_add_u32_e32 v4, s49, v4
	s_waitcnt vmcnt(2)
	ds_write2_b64 v5, v[10:11], v[12:13] offset1:1
	s_waitcnt vmcnt(1)
	ds_write2_b32 v22, v14, v15 offset1:1
	ds_write2_b32 v22, v16, v17 offset0:2 offset1:3
	s_waitcnt vmcnt(0)
	ds_write2_b64 v23, v[18:19], v[20:21] offset1:1
	s_branch .LBB103_21
.LBB103_24:                             ;   in Loop: Header=BB103_17 Depth=2
	s_or_b64 exec, exec, s[30:31]
.LBB103_25:                             ;   in Loop: Header=BB103_17 Depth=2
	s_waitcnt lgkmcnt(0)
	s_barrier
	s_and_saveexec_b64 s[8:9], s[6:7]
	s_cbranch_execz .LBB103_16
.LBB103_26:                             ;   in Loop: Header=BB103_17 Depth=2
	v_add_u32_e32 v72, s37, v55
	v_min_u32_e32 v52, s42, v72
	v_lshl_add_u64 v[0:1], v[52:53], 1, s[14:15]
	v_add_u32_e32 v73, 0x100, v72
	v_lshl_add_u64 v[2:3], v[0:1], 0, v[58:59]
	v_lshl_add_u64 v[0:1], v[0:1], 0, v[60:61]
	v_min_u32_e32 v52, s42, v73
	global_load_dwordx4 v[24:27], v[2:3], off nt
	global_load_dwordx4 v[20:23], v[0:1], off nt
	v_lshl_add_u64 v[0:1], v[52:53], 1, s[14:15]
	v_lshl_add_u64 v[8:9], v[0:1], 0, v[58:59]
	;; [unrolled: 1-line block ×3, first 2 shown]
	global_load_dwordx4 v[4:7], v[8:9], off nt
	global_load_dwordx4 v[0:3], v[10:11], off nt
	v_cmp_gt_u32_e32 vcc, s20, v72
	v_mov_b32_e32 v44, 0
	v_mov_b32_e32 v45, 0
	v_mov_b32_e32 v46, 0
	v_mov_b32_e32 v47, 0
	v_mov_b32_e32 v40, 0
	v_mov_b32_e32 v41, 0
	v_mov_b32_e32 v42, 0
	v_mov_b32_e32 v43, 0
	v_mov_b32_e32 v36, 0
	v_mov_b32_e32 v37, 0
	v_mov_b32_e32 v38, 0
	v_mov_b32_e32 v39, 0
	v_mov_b32_e32 v32, 0
	v_mov_b32_e32 v33, 0
	v_mov_b32_e32 v34, 0
	v_mov_b32_e32 v35, 0
	v_mov_b32_e32 v28, 0
	v_mov_b32_e32 v29, 0
	v_mov_b32_e32 v30, 0
	v_mov_b32_e32 v31, 0
	s_waitcnt vmcnt(4)
	v_mov_b32_e32 v16, 0
	v_mov_b32_e32 v17, 0
	v_mov_b32_e32 v18, 0
	v_mov_b32_e32 v19, 0
	v_mov_b32_e32 v12, 0
	v_mov_b32_e32 v13, 0
	v_mov_b32_e32 v14, 0
	v_mov_b32_e32 v15, 0
	v_mov_b32_e32 v8, 0
	v_mov_b32_e32 v9, 0
	v_mov_b32_e32 v10, 0
	v_mov_b32_e32 v11, 0
	s_and_saveexec_b64 s[30:31], vcc
	s_cbranch_execz .LBB103_15
; %bb.27:                               ;   in Loop: Header=BB103_17 Depth=2
	v_subrev_u32_e32 v8, s36, v72
	v_lshlrev_b32_e32 v75, 1, v8
	v_add_u32_e32 v74, s51, v75
	v_add_u32_e32 v72, s51, v74
	ds_read_b128 v[44:47], v75
	ds_read_b128 v[40:43], v74
	v_add_u32_e32 v52, s51, v72
	ds_read_b128 v[36:39], v72
	ds_read_b128 v[32:35], v52
	v_cmp_gt_u32_e32 vcc, s20, v73
	v_mov_b32_e32 v11, 0
	v_mov_b32_e32 v10, 0
	;; [unrolled: 1-line block ×16, first 2 shown]
	s_and_saveexec_b64 s[34:35], vcc
	s_cbranch_execz .LBB103_14
; %bb.28:                               ;   in Loop: Header=BB103_17 Depth=2
	ds_read_b128 v[28:31], v75 offset:512
	ds_read_b128 v[16:19], v74 offset:512
	;; [unrolled: 1-line block ×4, first 2 shown]
	s_branch .LBB103_14
.LBB103_29:                             ;   in Loop: Header=BB103_12 Depth=1
	v_cmp_le_u32_e32 vcc, s23, v50
	s_and_saveexec_b64 s[6:7], vcc
	s_xor_b64 s[6:7], exec, s[6:7]
; %bb.30:                               ;   in Loop: Header=BB103_12 Depth=1
	v_add_u32_e32 v50, s44, v50
                                        ; implicit-def: $vgpr71
                                        ; implicit-def: $vgpr70
                                        ; implicit-def: $vgpr69
                                        ; implicit-def: $vgpr68
                                        ; implicit-def: $vgpr51
                                        ; implicit-def: $vgpr65
                                        ; implicit-def: $vgpr66
                                        ; implicit-def: $vgpr67
; %bb.31:                               ;   in Loop: Header=BB103_12 Depth=1
	s_andn2_saveexec_b64 s[8:9], s[6:7]
	s_cbranch_execz .LBB103_11
; %bb.32:                               ;   in Loop: Header=BB103_12 Depth=1
	v_cvt_i32_f32_e32 v0, v71
	v_cvt_i32_f32_e32 v1, v70
	;; [unrolled: 1-line block ×4, first 2 shown]
	v_cvt_f32_i32_dpp v0, v0 row_shr:8 row_mask:0xf bank_mask:0xf bound_ctrl:1
	v_cvt_f32_i32_dpp v1, v1 row_shr:8 row_mask:0xf bank_mask:0xf bound_ctrl:1
	;; [unrolled: 1-line block ×4, first 2 shown]
	v_add_f32_e32 v0, v71, v0
	v_cvt_i32_f32_e32 v4, v0
	v_add_f32_e32 v1, v70, v1
	v_cvt_i32_f32_e32 v5, v1
	v_add_f32_e32 v2, v69, v2
	v_cvt_f32_i32_dpp v4, v4 row_shr:4 row_mask:0xf bank_mask:0xf bound_ctrl:1
	v_add_f32_e32 v3, v68, v3
	v_cvt_f32_i32_dpp v5, v5 row_shr:4 row_mask:0xf bank_mask:0xf bound_ctrl:1
	v_cvt_i32_f32_e32 v6, v2
	v_add_f32_e32 v0, v0, v4
	v_cvt_i32_f32_e32 v4, v0
	v_add_f32_e32 v1, v1, v5
	v_cvt_i32_f32_e32 v5, v1
	v_cvt_i32_f32_e32 v7, v3
	v_cvt_f32_i32_dpp v4, v4 row_shr:2 row_mask:0xf bank_mask:0xf bound_ctrl:1
	v_cvt_f32_i32_dpp v6, v6 row_shr:4 row_mask:0xf bank_mask:0xf bound_ctrl:1
	;; [unrolled: 1-line block ×4, first 2 shown]
	v_add_f32_e32 v0, v0, v4
	v_cvt_i32_f32_e32 v4, v0
	v_add_f32_e32 v2, v2, v6
	v_add_f32_e32 v1, v1, v5
	;; [unrolled: 1-line block ×3, first 2 shown]
	v_cvt_f32_i32_dpp v4, v4 row_shr:1 row_mask:0xf bank_mask:0xf bound_ctrl:1
	v_cvt_i32_f32_e32 v3, v2
	v_cvt_i32_f32_e32 v5, v1
	;; [unrolled: 1-line block ×3, first 2 shown]
	v_add_f32_e32 v0, v0, v4
	v_cvt_f32_i32_dpp v3, v3 row_shr:2 row_mask:0xf bank_mask:0xf bound_ctrl:1
	v_cvt_i32_f32_e32 v4, v0
	v_cvt_f32_i32_dpp v5, v5 row_shr:1 row_mask:0xf bank_mask:0xf bound_ctrl:1
	v_cvt_f32_i32_dpp v8, v6 row_shr:2 row_mask:0xf bank_mask:0xf bound_ctrl:1
	v_add_f32_e32 v2, v2, v3
	v_cvt_f32_i32_dpp v3, v4 row_bcast:15 row_mask:0xf bank_mask:0xf bound_ctrl:1
	v_add_f32_e32 v1, v1, v5
	v_cvt_i32_f32_e32 v4, v1
	v_cvt_i32_f32_e32 v5, v2
	v_add_f32_e32 v3, v0, v3
	v_cvt_i32_f32_e32 v0, v3
	v_cvt_f32_i32_dpp v4, v4 row_bcast:15 row_mask:0xf bank_mask:0xf bound_ctrl:1
	v_cvt_f32_i32_dpp v5, v5 row_shr:1 row_mask:0xf bank_mask:0xf bound_ctrl:1
	v_mov_b32_dpp v6, v0 row_bcast:31 row_mask:0xf bank_mask:0xf bound_ctrl:1
	v_add_f32_e32 v0, v1, v4
	v_add_f32_e32 v1, v2, v5
	v_cvt_i32_f32_e32 v2, v67
	v_add_f32_e32 v4, v7, v8
	v_cvt_i32_f32_e32 v5, v4
	v_cvt_i32_f32_e32 v7, v1
	v_cvt_f32_i32_dpp v2, v2 row_shr:8 row_mask:0xf bank_mask:0xf bound_ctrl:1
	v_cvt_i32_f32_e32 v8, v0
	v_cvt_f32_i32_dpp v5, v5 row_shr:1 row_mask:0xf bank_mask:0xf bound_ctrl:1
	v_cvt_f32_i32_dpp v7, v7 row_bcast:15 row_mask:0xf bank_mask:0xf bound_ctrl:1
	v_add_f32_e32 v2, v67, v2
	v_cvt_i32_f32_e32 v9, v2
	v_add_f32_e32 v4, v4, v5
	v_cvt_i32_f32_e32 v5, v4
	v_add_f32_e32 v1, v1, v7
	v_cvt_f32_i32_dpp v9, v9 row_shr:4 row_mask:0xf bank_mask:0xf bound_ctrl:1
	v_cvt_i32_f32_e32 v7, v66
	v_cvt_f32_i32_dpp v5, v5 row_bcast:15 row_mask:0xf bank_mask:0xf bound_ctrl:1
	v_cvt_i32_f32_e32 v11, v1
	v_add_f32_e32 v9, v2, v9
	v_cvt_i32_f32_e32 v10, v9
	v_cvt_f32_i32_dpp v7, v7 row_shr:8 row_mask:0xf bank_mask:0xf bound_ctrl:1
	v_add_f32_e32 v2, v4, v5
	v_cvt_i32_f32_e32 v5, v2
	v_cvt_f32_i32_dpp v4, v10 row_shr:2 row_mask:0xf bank_mask:0xf bound_ctrl:1
	v_add_f32_e32 v7, v66, v7
	v_cvt_i32_f32_e32 v12, v7
	v_mov_b32_dpp v10, v11 row_bcast:31 row_mask:0xf bank_mask:0xf bound_ctrl:1
	v_add_f32_e32 v4, v9, v4
	v_cvt_i32_f32_e32 v9, v4
	v_cvt_f32_i32_dpp v11, v12 row_shr:4 row_mask:0xf bank_mask:0xf bound_ctrl:1
	v_cvt_i32_f32_e32 v12, v65
	v_mov_b32_dpp v8, v8 row_bcast:31 row_mask:0xf bank_mask:0xf bound_ctrl:1
	v_cvt_f32_i32_dpp v9, v9 row_shr:1 row_mask:0xf bank_mask:0xf bound_ctrl:1
	v_add_f32_e32 v7, v7, v11
	v_cvt_i32_f32_e32 v11, v51
	v_cvt_f32_i32_dpp v12, v12 row_shr:8 row_mask:0xf bank_mask:0xf bound_ctrl:1
	v_add_f32_e32 v4, v4, v9
	v_cvt_i32_f32_e32 v13, v7
	;; [unrolled: 3-line block ×4, first 2 shown]
	v_cvt_i32_f32_e32 v14, v9
	v_add_f32_e32 v7, v7, v11
	v_cvt_f32_i32_dpp v15, v15 row_bcast:15 row_mask:0xf bank_mask:0xf bound_ctrl:1
	v_cvt_f32_i32_dpp v13, v13 row_shr:4 row_mask:0xf bank_mask:0xf bound_ctrl:1
	v_cvt_f32_i32_dpp v11, v14 row_shr:4 row_mask:0xf bank_mask:0xf bound_ctrl:1
	v_cvt_i32_f32_e32 v14, v7
	v_mov_b32_dpp v5, v5 row_bcast:31 row_mask:0xf bank_mask:0xf bound_ctrl:1
	v_add_f32_e32 v12, v12, v13
	v_add_f32_e32 v9, v9, v11
	v_cvt_i32_f32_e32 v13, v12
	v_cvt_i32_f32_e32 v11, v9
	v_cvt_f32_i32_dpp v14, v14 row_shr:1 row_mask:0xf bank_mask:0xf bound_ctrl:1
	v_cvt_f32_i32_dpp v13, v13 row_shr:2 row_mask:0xf bank_mask:0xf bound_ctrl:1
	;; [unrolled: 1-line block ×3, first 2 shown]
	v_add_f32_e32 v7, v7, v14
	v_cvt_i32_f32_e32 v14, v7
	v_add_f32_e32 v12, v12, v13
	v_add_f32_e32 v9, v9, v11
	v_cvt_i32_f32_e32 v13, v12
	v_cvt_i32_f32_e32 v11, v9
	s_waitcnt vmcnt(0)
	v_cvt_f32_i32_dpp v16, v13 row_shr:1 row_mask:0xf bank_mask:0xf bound_ctrl:1
	v_add_f32_e32 v13, v4, v15
	v_cvt_f32_i32_dpp v4, v11 row_shr:1 row_mask:0xf bank_mask:0xf bound_ctrl:1
	v_cvt_f32_i32_dpp v11, v14 row_bcast:15 row_mask:0xf bank_mask:0xf bound_ctrl:1
	v_add_f32_e32 v14, v12, v16
	v_cvt_i32_f32_e32 v12, v14
	v_add_f32_e32 v4, v9, v4
	v_cvt_i32_f32_e32 v9, v4
	v_cvt_i32_f32_e32 v15, v13
	v_cvt_f32_i32_dpp v16, v12 row_bcast:15 row_mask:0xf bank_mask:0xf bound_ctrl:1
	v_add_f32_e32 v12, v7, v11
	v_cvt_f32_i32_dpp v7, v9 row_bcast:15 row_mask:0xf bank_mask:0xf bound_ctrl:1
	v_cvt_i32_f32_e32 v11, v12
	v_add_f32_e32 v9, v14, v16
	v_cvt_i32_f32_e32 v16, v9
	v_add_f32_e32 v4, v4, v7
	v_cvt_i32_f32_e32 v7, v4
	v_mov_b32_dpp v15, v15 row_bcast:31 row_mask:0xf bank_mask:0xf bound_ctrl:1
	v_mov_b32_dpp v14, v11 row_bcast:31 row_mask:0xf bank_mask:0xf bound_ctrl:1
	;; [unrolled: 1-line block ×4, first 2 shown]
	s_and_saveexec_b64 s[30:31], s[0:1]
	s_cbranch_execz .LBB103_44
; %bb.33:                               ;   in Loop: Header=BB103_12 Depth=1
	s_andn2_b64 vcc, exec, s[26:27]
	v_mov_b32_e32 v23, 0
	v_mov_b32_e32 v22, 0
	;; [unrolled: 1-line block ×8, first 2 shown]
	s_cbranch_vccnz .LBB103_35
; %bb.34:                               ;   in Loop: Header=BB103_12 Depth=1
	v_mul_hi_u32 v16, v50, v62
	v_mul_lo_u32 v16, v16, s12
	v_sub_u32_e32 v16, v50, v16
	v_subrev_u32_e32 v17, s12, v16
	v_cmp_le_u32_e32 vcc, s12, v16
	v_mov_b32_e32 v19, v53
	s_nop 0
	v_cndmask_b32_e32 v16, v16, v17, vcc
	v_subrev_u32_e32 v17, s12, v16
	v_cmp_le_u32_e32 vcc, s12, v16
	s_nop 1
	v_cndmask_b32_e32 v52, v16, v17, vcc
	v_add_u32_e32 v16, 1, v50
	v_mul_hi_u32 v17, v16, v62
	v_mul_lo_u32 v17, v17, s12
	v_sub_u32_e32 v16, v16, v17
	v_subrev_u32_e32 v17, s12, v16
	v_cmp_le_u32_e32 vcc, s12, v16
	v_add_u32_e32 v18, s45, v52
	v_lshl_add_u64 v[28:29], v[18:19], 1, s[18:19]
	v_cndmask_b32_e32 v16, v16, v17, vcc
	v_subrev_u32_e32 v17, s12, v16
	v_cmp_le_u32_e32 vcc, s12, v16
	v_lshl_add_u64 v[24:25], v[52:53], 1, s[18:19]
	s_nop 0
	v_cndmask_b32_e32 v16, v16, v17, vcc
	v_add_u32_e32 v18, s45, v16
	v_lshl_add_u64 v[30:31], v[18:19], 1, s[18:19]
	v_add_u32_e32 v18, s46, v52
	v_add_u32_e32 v52, s47, v52
	v_mov_b32_e32 v17, v53
	v_lshl_add_u64 v[32:33], v[18:19], 1, s[18:19]
	v_add_u32_e32 v18, s46, v16
	v_lshl_add_u64 v[36:37], v[52:53], 1, s[18:19]
	v_add_u32_e32 v52, s47, v16
	v_lshl_add_u64 v[26:27], v[16:17], 1, s[18:19]
	v_lshl_add_u64 v[34:35], v[18:19], 1, s[18:19]
	;; [unrolled: 1-line block ×3, first 2 shown]
	global_load_ushort v23, v[24:25], off
	global_load_ushort v22, v[26:27], off
	;; [unrolled: 1-line block ×8, first 2 shown]
.LBB103_35:                             ;   in Loop: Header=BB103_12 Depth=1
	v_cmp_ne_u32_e32 vcc, 0, v48
	s_and_saveexec_b64 s[6:7], vcc
	s_cbranch_execnz .LBB103_49
; %bb.36:                               ;   in Loop: Header=BB103_12 Depth=1
	s_or_b64 exec, exec, s[6:7]
	v_cmp_ne_u32_e64 s[6:7], 0, v49
	s_and_saveexec_b64 s[34:35], s[6:7]
	s_cbranch_execnz .LBB103_50
.LBB103_37:                             ;   in Loop: Header=BB103_12 Depth=1
	s_or_b64 exec, exec, s[34:35]
	v_add_u32_e32 v52, s23, v50
	s_and_saveexec_b64 s[34:35], vcc
	s_cbranch_execnz .LBB103_51
.LBB103_38:                             ;   in Loop: Header=BB103_12 Depth=1
	s_or_b64 exec, exec, s[34:35]
	s_and_saveexec_b64 s[34:35], s[6:7]
	s_cbranch_execnz .LBB103_52
.LBB103_39:                             ;   in Loop: Header=BB103_12 Depth=1
	s_or_b64 exec, exec, s[34:35]
	v_add_u32_e32 v52, s23, v52
	s_and_saveexec_b64 s[34:35], vcc
	s_cbranch_execnz .LBB103_53
.LBB103_40:                             ;   in Loop: Header=BB103_12 Depth=1
	s_or_b64 exec, exec, s[34:35]
	s_and_saveexec_b64 s[34:35], s[6:7]
	s_cbranch_execnz .LBB103_54
.LBB103_41:                             ;   in Loop: Header=BB103_12 Depth=1
	s_or_b64 exec, exec, s[34:35]
	v_add_u32_e32 v52, s23, v52
	s_and_saveexec_b64 s[34:35], vcc
	s_cbranch_execnz .LBB103_55
.LBB103_42:                             ;   in Loop: Header=BB103_12 Depth=1
	s_or_b64 exec, exec, s[34:35]
	s_and_b64 exec, exec, s[6:7]
	s_cbranch_execz .LBB103_44
.LBB103_43:                             ;   in Loop: Header=BB103_12 Depth=1
	v_cvt_f32_i32_e32 v0, v7
	s_waitcnt vmcnt(0)
	v_cvt_f32_f16_e32 v1, v16
	v_add_u32_e32 v52, 1, v52
	v_add_f32_e32 v0, v4, v0
	v_add_f32_e32 v0, v0, v1
	v_cvt_f16_f32_e32 v2, v0
	v_lshl_add_u64 v[0:1], v[52:53], 1, s[10:11]
	global_store_short v[0:1], v2, off
.LBB103_44:                             ;   in Loop: Header=BB103_12 Depth=1
	s_or_b64 exec, exec, s[30:31]
	v_add_u32_e32 v50, s44, v50
	v_add_u32_e32 v0, 2, v50
	v_cmp_gt_u32_e32 vcc, s23, v50
	v_cmp_le_u32_e64 s[6:7], s23, v0
	s_and_b64 s[6:7], vcc, s[6:7]
	s_and_saveexec_b64 s[30:31], s[6:7]
	s_cbranch_execz .LBB103_10
; %bb.45:                               ;   in Loop: Header=BB103_12 Depth=1
	v_cmp_ne_u32_e32 vcc, s13, v50
	s_and_saveexec_b64 s[34:35], vcc
	s_cbranch_execz .LBB103_9
; %bb.46:                               ;   in Loop: Header=BB103_12 Depth=1
	v_subrev_u32_e32 v0, s13, v50
	v_cmp_lt_u32_e32 vcc, 1, v0
	s_mov_b64 s[36:37], 0
	s_mov_b64 s[38:39], 0
	v_cndmask_b32_e32 v0, 1, v0, vcc
.LBB103_47:                             ;   Parent Loop BB103_12 Depth=1
                                        ; =>  This Inner Loop Header: Depth=2
	s_cmp_lg_u32 s38, 1
	s_cselect_b64 vcc, -1, 0
	s_cmp_lg_u32 s38, 0
	v_cndmask_b32_e32 v49, 0, v49, vcc
	s_cselect_b64 vcc, -1, 0
	s_add_u32 s38, s38, 1
	s_addc_u32 s39, s39, 0
	v_cmp_eq_u32_e64 s[6:7], s38, v0
	s_or_b64 s[36:37], s[6:7], s[36:37]
	v_cndmask_b32_e32 v48, 0, v48, vcc
	s_andn2_b64 exec, exec, s[36:37]
	s_cbranch_execnz .LBB103_47
; %bb.48:                               ;   in Loop: Header=BB103_12 Depth=1
	s_or_b64 exec, exec, s[36:37]
	s_branch .LBB103_9
.LBB103_49:                             ;   in Loop: Header=BB103_12 Depth=1
	v_cvt_f32_i32_e32 v6, v6
	s_waitcnt vmcnt(7)
	v_cvt_f32_f16_e32 v23, v23
	v_mov_b32_e32 v51, v53
	v_lshl_add_u64 v[24:25], v[50:51], 1, s[10:11]
	v_add_f32_e32 v3, v3, v6
	v_add_f32_e32 v3, v3, v23
	v_cvt_f16_f32_e32 v3, v3
	global_store_short v[24:25], v3, off
	s_or_b64 exec, exec, s[6:7]
	v_cmp_ne_u32_e64 s[6:7], 0, v49
	s_and_saveexec_b64 s[34:35], s[6:7]
	s_cbranch_execz .LBB103_37
.LBB103_50:                             ;   in Loop: Header=BB103_12 Depth=1
	v_cvt_f32_i32_e32 v3, v8
	s_waitcnt vmcnt(6)
	v_cvt_f32_f16_e32 v6, v22
	v_mov_b32_e32 v51, v53
	v_lshl_add_u64 v[22:23], v[50:51], 1, s[28:29]
	v_add_f32_e32 v0, v0, v3
	v_add_f32_e32 v0, v0, v6
	v_cvt_f16_f32_e32 v0, v0
	global_store_short v[22:23], v0, off
	s_or_b64 exec, exec, s[34:35]
	v_add_u32_e32 v52, s23, v50
	s_and_saveexec_b64 s[34:35], vcc
	s_cbranch_execz .LBB103_38
.LBB103_51:                             ;   in Loop: Header=BB103_12 Depth=1
	v_cvt_f32_i32_e32 v0, v10
	s_waitcnt vmcnt(5)
	v_cvt_f32_f16_e32 v3, v21
	v_add_f32_e32 v0, v1, v0
	v_add_f32_e32 v0, v0, v3
	v_cvt_f16_f32_e32 v3, v0
	v_lshl_add_u64 v[0:1], v[52:53], 1, s[10:11]
	global_store_short v[0:1], v3, off
	s_or_b64 exec, exec, s[34:35]
	s_and_saveexec_b64 s[34:35], s[6:7]
	s_cbranch_execz .LBB103_39
.LBB103_52:                             ;   in Loop: Header=BB103_12 Depth=1
	v_cvt_f32_i32_e32 v0, v5
	s_waitcnt vmcnt(4)
	v_cvt_f32_f16_e32 v1, v20
	v_add_f32_e32 v0, v2, v0
	v_add_f32_e32 v0, v0, v1
	v_cvt_f16_f32_e32 v2, v0
	v_add_u32_e32 v0, 1, v52
	v_mov_b32_e32 v1, v53
	v_lshl_add_u64 v[0:1], v[0:1], 1, s[10:11]
	global_store_short v[0:1], v2, off
	s_or_b64 exec, exec, s[34:35]
	v_add_u32_e32 v52, s23, v52
	s_and_saveexec_b64 s[34:35], vcc
	s_cbranch_execz .LBB103_40
.LBB103_53:                             ;   in Loop: Header=BB103_12 Depth=1
	v_cvt_f32_i32_e32 v0, v15
	s_waitcnt vmcnt(3)
	v_cvt_f32_f16_e32 v1, v19
	v_add_f32_e32 v0, v13, v0
	v_add_f32_e32 v0, v0, v1
	v_cvt_f16_f32_e32 v2, v0
	v_lshl_add_u64 v[0:1], v[52:53], 1, s[10:11]
	global_store_short v[0:1], v2, off
	s_or_b64 exec, exec, s[34:35]
	s_and_saveexec_b64 s[34:35], s[6:7]
	s_cbranch_execz .LBB103_41
.LBB103_54:                             ;   in Loop: Header=BB103_12 Depth=1
	v_cvt_f32_i32_e32 v0, v14
	s_waitcnt vmcnt(2)
	v_cvt_f32_f16_e32 v1, v18
	v_add_f32_e32 v0, v12, v0
	v_add_f32_e32 v0, v0, v1
	v_cvt_f16_f32_e32 v2, v0
	v_add_u32_e32 v0, 1, v52
	v_mov_b32_e32 v1, v53
	v_lshl_add_u64 v[0:1], v[0:1], 1, s[10:11]
	global_store_short v[0:1], v2, off
	s_or_b64 exec, exec, s[34:35]
	v_add_u32_e32 v52, s23, v52
	s_and_saveexec_b64 s[34:35], vcc
	s_cbranch_execz .LBB103_42
.LBB103_55:                             ;   in Loop: Header=BB103_12 Depth=1
	v_cvt_f32_i32_e32 v0, v11
	s_waitcnt vmcnt(1)
	v_cvt_f32_f16_e32 v1, v17
	v_add_f32_e32 v0, v9, v0
	v_add_f32_e32 v0, v0, v1
	v_cvt_f16_f32_e32 v2, v0
	v_lshl_add_u64 v[0:1], v[52:53], 1, s[10:11]
	global_store_short v[0:1], v2, off
	s_or_b64 exec, exec, s[34:35]
	s_and_b64 exec, exec, s[6:7]
	s_cbranch_execnz .LBB103_43
	s_branch .LBB103_44
.LBB103_56:
	s_endpgm
	.section	.rodata,"a",@progbits
	.p2align	6, 0x0
	.amdhsa_kernel _Z16wvSplitK_hf_big_I6__halfLi32ELi2ELi16ELi8ELi2ELi4EEviiiiiiPKT_S3_S3_PS1_ii
		.amdhsa_group_segment_fixed_size 65536
		.amdhsa_private_segment_fixed_size 0
		.amdhsa_kernarg_size 64
		.amdhsa_user_sgpr_count 2
		.amdhsa_user_sgpr_dispatch_ptr 0
		.amdhsa_user_sgpr_queue_ptr 0
		.amdhsa_user_sgpr_kernarg_segment_ptr 1
		.amdhsa_user_sgpr_dispatch_id 0
		.amdhsa_user_sgpr_kernarg_preload_length 0
		.amdhsa_user_sgpr_kernarg_preload_offset 0
		.amdhsa_user_sgpr_private_segment_size 0
		.amdhsa_uses_dynamic_stack 0
		.amdhsa_enable_private_segment 0
		.amdhsa_system_sgpr_workgroup_id_x 1
		.amdhsa_system_sgpr_workgroup_id_y 0
		.amdhsa_system_sgpr_workgroup_id_z 0
		.amdhsa_system_sgpr_workgroup_info 0
		.amdhsa_system_vgpr_workitem_id 1
		.amdhsa_next_free_vgpr 76
		.amdhsa_next_free_sgpr 54
		.amdhsa_accum_offset 76
		.amdhsa_reserve_vcc 1
		.amdhsa_float_round_mode_32 0
		.amdhsa_float_round_mode_16_64 0
		.amdhsa_float_denorm_mode_32 3
		.amdhsa_float_denorm_mode_16_64 3
		.amdhsa_dx10_clamp 1
		.amdhsa_ieee_mode 1
		.amdhsa_fp16_overflow 0
		.amdhsa_tg_split 0
		.amdhsa_exception_fp_ieee_invalid_op 0
		.amdhsa_exception_fp_denorm_src 0
		.amdhsa_exception_fp_ieee_div_zero 0
		.amdhsa_exception_fp_ieee_overflow 0
		.amdhsa_exception_fp_ieee_underflow 0
		.amdhsa_exception_fp_ieee_inexact 0
		.amdhsa_exception_int_div_zero 0
	.end_amdhsa_kernel
	.section	.text._Z16wvSplitK_hf_big_I6__halfLi32ELi2ELi16ELi8ELi2ELi4EEviiiiiiPKT_S3_S3_PS1_ii,"axG",@progbits,_Z16wvSplitK_hf_big_I6__halfLi32ELi2ELi16ELi8ELi2ELi4EEviiiiiiPKT_S3_S3_PS1_ii,comdat
.Lfunc_end103:
	.size	_Z16wvSplitK_hf_big_I6__halfLi32ELi2ELi16ELi8ELi2ELi4EEviiiiiiPKT_S3_S3_PS1_ii, .Lfunc_end103-_Z16wvSplitK_hf_big_I6__halfLi32ELi2ELi16ELi8ELi2ELi4EEviiiiiiPKT_S3_S3_PS1_ii
                                        ; -- End function
	.section	.AMDGPU.csdata,"",@progbits
; Kernel info:
; codeLenInByte = 4044
; NumSgprs: 60
; NumVgprs: 76
; NumAgprs: 0
; TotalNumVgprs: 76
; ScratchSize: 0
; MemoryBound: 0
; FloatMode: 240
; IeeeMode: 1
; LDSByteSize: 65536 bytes/workgroup (compile time only)
; SGPRBlocks: 7
; VGPRBlocks: 9
; NumSGPRsForWavesPerEU: 60
; NumVGPRsForWavesPerEU: 76
; AccumOffset: 76
; Occupancy: 2
; WaveLimiterHint : 0
; COMPUTE_PGM_RSRC2:SCRATCH_EN: 0
; COMPUTE_PGM_RSRC2:USER_SGPR: 2
; COMPUTE_PGM_RSRC2:TRAP_HANDLER: 0
; COMPUTE_PGM_RSRC2:TGID_X_EN: 1
; COMPUTE_PGM_RSRC2:TGID_Y_EN: 0
; COMPUTE_PGM_RSRC2:TGID_Z_EN: 0
; COMPUTE_PGM_RSRC2:TIDIG_COMP_CNT: 1
; COMPUTE_PGM_RSRC3_GFX90A:ACCUM_OFFSET: 18
; COMPUTE_PGM_RSRC3_GFX90A:TG_SPLIT: 0
	.section	.text._Z16wvSplitK_hf_sml_I6__halfLi32ELi3ELi16ELi8ELi2ELi4EEviiiiiiPKT_S3_S3_PS1_ii,"axG",@progbits,_Z16wvSplitK_hf_sml_I6__halfLi32ELi3ELi16ELi8ELi2ELi4EEviiiiiiPKT_S3_S3_PS1_ii,comdat
	.protected	_Z16wvSplitK_hf_sml_I6__halfLi32ELi3ELi16ELi8ELi2ELi4EEviiiiiiPKT_S3_S3_PS1_ii ; -- Begin function _Z16wvSplitK_hf_sml_I6__halfLi32ELi3ELi16ELi8ELi2ELi4EEviiiiiiPKT_S3_S3_PS1_ii
	.globl	_Z16wvSplitK_hf_sml_I6__halfLi32ELi3ELi16ELi8ELi2ELi4EEviiiiiiPKT_S3_S3_PS1_ii
	.p2align	8
	.type	_Z16wvSplitK_hf_sml_I6__halfLi32ELi3ELi16ELi8ELi2ELi4EEviiiiiiPKT_S3_S3_PS1_ii,@function
_Z16wvSplitK_hf_sml_I6__halfLi32ELi3ELi16ELi8ELi2ELi4EEviiiiiiPKT_S3_S3_PS1_ii: ; @_Z16wvSplitK_hf_sml_I6__halfLi32ELi3ELi16ELi8ELi2ELi4EEviiiiiiPKT_S3_S3_PS1_ii
; %bb.0:
	s_load_dwordx4 s[4:7], s[0:1], 0x0
	v_and_b32_e32 v4, 0x3ff, v0
	v_bfe_u32 v5, v0, 10, 10
	v_lshlrev_b32_e32 v70, 3, v4
	v_lshl_add_u32 v6, v5, 8, v70
	s_waitcnt lgkmcnt(0)
	s_lshl_b32 s24, s6, 2
	s_min_u32 s3, s24, 0x8000
	v_cmp_gt_u32_e32 vcc, s3, v6
	s_and_saveexec_b64 s[8:9], vcc
	s_cbranch_execz .LBB104_9
; %bb.1:
	s_load_dwordx2 s[10:11], s[0:1], 0x20
	v_lshlrev_b32_e32 v0, 1, v6
	v_add_u32_e32 v1, 0x1000, v6
	v_cmp_gt_u32_e32 vcc, s3, v1
	s_waitcnt lgkmcnt(0)
	global_load_dwordx4 v[8:11], v0, s[10:11]
	s_waitcnt vmcnt(0)
	ds_write_b128 v0, v[8:11]
	s_and_saveexec_b64 s[12:13], vcc
	s_xor_b64 s[12:13], exec, s[12:13]
	s_cbranch_execz .LBB104_9
; %bb.2:
	v_mov_b32_e32 v1, 0
	v_lshl_add_u64 v[2:3], s[10:11], 0, v[0:1]
	v_add_co_u32_e32 v8, vcc, 0x2000, v2
	v_add_u32_e32 v1, 0x2000, v6
	s_nop 0
	v_addc_co_u32_e32 v9, vcc, 0, v3, vcc
	global_load_dwordx4 v[8:11], v[8:9], off
	v_cmp_gt_u32_e32 vcc, s3, v1
	s_waitcnt vmcnt(0)
	ds_write_b128 v0, v[8:11] offset:8192
	s_and_saveexec_b64 s[10:11], vcc
	s_xor_b64 s[10:11], exec, s[10:11]
	s_cbranch_execz .LBB104_9
; %bb.3:
	v_add_co_u32_e32 v8, vcc, 0x4000, v2
	v_add_u32_e32 v1, 0x3000, v6
	s_nop 0
	v_addc_co_u32_e32 v9, vcc, 0, v3, vcc
	global_load_dwordx4 v[8:11], v[8:9], off
	v_cmp_gt_u32_e32 vcc, s3, v1
	s_waitcnt vmcnt(0)
	ds_write_b128 v0, v[8:11] offset:16384
	s_and_saveexec_b64 s[10:11], vcc
	s_xor_b64 s[10:11], exec, s[10:11]
	s_cbranch_execz .LBB104_9
; %bb.4:
	;; [unrolled: 12-line block ×6, first 2 shown]
	v_add_co_u32_e32 v2, vcc, 0xe000, v2
	s_nop 1
	v_addc_co_u32_e32 v3, vcc, 0, v3, vcc
	global_load_dwordx4 v[6:9], v[2:3], off
	s_waitcnt vmcnt(0)
	ds_write_b128 v0, v[6:9] offset:57344
.LBB104_9:
	s_or_b64 exec, exec, s[8:9]
	s_load_dwordx2 s[16:17], s[0:1], 0x38
	s_waitcnt lgkmcnt(0)
	s_barrier
	v_cmp_gt_u32_e32 vcc, s16, v5
	s_and_saveexec_b64 s[8:9], vcc
	s_cbranch_execz .LBB104_26
; %bb.10:
	s_load_dwordx2 s[12:13], s[0:1], 0x10
	s_mul_i32 s2, s2, s16
	v_add_u32_e32 v0, s2, v5
	v_lshl_add_u32 v48, v0, 1, v0
	v_cmp_gt_u32_e32 vcc, s7, v48
	s_and_b64 exec, exec, vcc
	s_cbranch_execz .LBB104_26
; %bb.11:
	s_load_dwordx4 s[8:11], s[0:1], 0x28
	s_load_dwordx2 s[14:15], s[0:1], 0x18
	s_cmp_lg_u32 s4, 0
	s_cselect_b64 s[2:3], -1, 0
	s_add_i32 s25, s4, -8
	s_add_i32 s26, s7, -1
	s_waitcnt lgkmcnt(0)
	s_cmp_lg_u64 s[8:9], 0
	s_mul_i32 s20, s16, s17
	s_cselect_b64 s[16:17], -1, 0
	s_abs_i32 s21, s13
	v_cvt_f32_u32_e32 v0, s12
	v_cvt_f32_u32_e32 v1, s21
	s_mul_i32 s13, s20, 3
	s_sub_i32 s20, 0, s12
	v_rcp_iflag_f32_e32 v0, v0
	v_rcp_iflag_f32_e32 v1, v1
	v_cmp_eq_u32_e64 s[0:1], 31, v4
	s_mov_b64 s[18:19], 0
	v_mul_f32_e32 v0, 0x4f7ffffe, v0
	v_mul_f32_e32 v1, 0x4f7ffffe, v1
	v_cvt_u32_f32_e32 v0, v0
	v_cvt_u32_f32_e32 v1, v1
	s_mul_i32 s30, s6, 6
	v_lshlrev_b32_e32 v72, 4, v4
	v_mul_lo_u32 v2, s20, v0
	s_sub_i32 s20, 0, s21
	v_readfirstlane_b32 s22, v1
	s_mul_i32 s20, s20, s22
	s_mul_hi_u32 s20, s22, s20
	s_add_i32 s22, s22, s20
	s_sub_i32 s20, 1, s21
	s_cmp_lt_u32 s21, 2
	s_cselect_b32 s20, s20, 1
	s_sub_i32 s23, s20, s21
	s_cmp_ge_u32 s20, s21
	s_cselect_b32 s27, s23, s20
	s_lshr_b32 s20, s22, 31
	s_mul_i32 s20, s20, s21
	s_sub_i32 s20, 2, s20
	s_sub_i32 s23, s20, s21
	s_cmp_ge_u32 s20, s21
	s_cselect_b32 s20, s23, s20
	s_sub_i32 s23, s20, s21
	s_cmp_ge_u32 s20, s21
	s_cselect_b32 s28, s23, s20
	s_mul_hi_u32 s20, s22, 3
	s_mul_i32 s20, s20, s21
	s_sub_i32 s20, 3, s20
	s_sub_i32 s22, s20, s21
	s_cmp_ge_u32 s20, s21
	s_cselect_b32 s20, s22, s20
	s_sub_i32 s22, s20, s21
	v_mul_hi_u32 v2, v0, v2
	s_cmp_ge_u32 s20, s21
	v_add_u32_e32 v71, v0, v2
	s_cselect_b32 s29, s22, s20
	v_cndmask_b32_e64 v0, 0, 1, s[2:3]
	s_mul_i32 s27, s27, s12
	s_mul_i32 s28, s28, s12
	;; [unrolled: 1-line block ×3, first 2 shown]
	s_lshl_b32 s6, s6, 1
	v_cmp_ne_u32_e64 s[2:3], 1, v0
	v_mov_b32_e32 v51, 0
	s_branch .LBB104_14
.LBB104_12:                             ;   in Loop: Header=BB104_14 Depth=1
	v_cvt_f32_i32_e32 v2, v2
	v_cvt_f32_i32_e32 v4, v4
	;; [unrolled: 1-line block ×4, first 2 shown]
	v_add_f32_e32 v0, v0, v2
	v_add_f32_e32 v2, v1, v4
	v_cvt_f32_i32_e32 v1, v10
	v_add_f32_e32 v3, v3, v6
	v_add_f32_e32 v4, v5, v7
	v_cvt_f32_i32_e32 v5, v12
	v_add_f32_e32 v6, v8, v1
	v_cvt_f32_i32_e32 v1, v14
	v_cvt_f32_i32_e32 v7, v15
	v_add_f32_e32 v5, v9, v5
	s_waitcnt vmcnt(10)
	v_cvt_f32_f16_e32 v14, v34
	v_add_f32_e32 v9, v11, v1
	v_cvt_f32_i32_e32 v1, v22
	v_cvt_f32_f16_e32 v11, v35
	v_add_f32_e32 v7, v13, v7
	v_add_u32_e32 v50, s7, v48
	v_add_f32_e32 v12, v17, v1
	v_cvt_f32_i32_e32 v1, v20
	v_add_f32_e32 v0, v0, v11
	v_cvt_f16_f32_e32 v11, v0
	v_cvt_f32_i32_e32 v8, v23
	v_add_f32_e32 v13, v18, v1
	v_lshl_add_u64 v[0:1], v[48:49], 1, s[10:11]
	global_store_short v[0:1], v11, off
	s_waitcnt vmcnt(10)
	v_cvt_f32_f16_e32 v11, v33
	v_add_f32_e32 v0, v2, v14
	v_cvt_f16_f32_e32 v2, v0
	v_lshl_add_u64 v[0:1], v[54:55], 1, s[10:11]
	v_add_f32_e32 v3, v3, v11
	v_cvt_f16_f32_e32 v3, v3
	s_waitcnt vmcnt(9)
	v_cvt_f32_f16_e32 v11, v32
	global_store_short v[0:1], v2, off
	v_lshl_add_u64 v[0:1], v[52:53], 1, s[10:11]
	global_store_short v[0:1], v3, off
	v_add_f32_e32 v0, v4, v11
	v_cvt_f16_f32_e32 v2, v0
	s_waitcnt vmcnt(10)
	v_cvt_f32_f16_e32 v3, v31
	v_lshl_add_u64 v[0:1], v[50:51], 1, s[10:11]
	v_add_f32_e32 v8, v16, v8
	global_store_short v[0:1], v2, off
	v_add_f32_e32 v0, v6, v3
	v_cvt_f16_f32_e32 v2, v0
	s_waitcnt vmcnt(10)
	v_cvt_f32_f16_e32 v3, v30
	v_add_u32_e32 v0, 1, v50
	v_mov_b32_e32 v1, v51
	v_lshl_add_u64 v[0:1], v[0:1], 1, s[10:11]
	global_store_short v[0:1], v2, off
	v_add_f32_e32 v0, v5, v3
	v_cvt_f16_f32_e32 v2, v0
	s_waitcnt vmcnt(10)
	v_cvt_f32_f16_e32 v3, v28
	v_add_u32_e32 v0, 2, v50
	v_mov_b32_e32 v1, v51
	v_lshl_add_u64 v[0:1], v[0:1], 1, s[10:11]
	global_store_short v[0:1], v2, off
	v_add_f32_e32 v0, v9, v3
	v_cvt_f16_f32_e32 v2, v0
	s_waitcnt vmcnt(10)
	v_cvt_f32_f16_e32 v3, v26
	v_add_u32_e32 v50, s7, v50
	v_lshl_add_u64 v[0:1], v[50:51], 1, s[10:11]
	global_store_short v[0:1], v2, off
	v_add_f32_e32 v0, v7, v3
	v_cvt_f16_f32_e32 v2, v0
	s_waitcnt vmcnt(10)
	v_cvt_f32_f16_e32 v3, v29
	v_add_u32_e32 v0, 1, v50
	v_mov_b32_e32 v1, v51
	v_lshl_add_u64 v[0:1], v[0:1], 1, s[10:11]
	global_store_short v[0:1], v2, off
	v_add_f32_e32 v0, v8, v3
	v_cvt_f16_f32_e32 v2, v0
	s_waitcnt vmcnt(10)
	v_cvt_f32_f16_e32 v3, v27
	v_add_u32_e32 v0, 2, v50
	v_mov_b32_e32 v1, v51
	v_lshl_add_u64 v[0:1], v[0:1], 1, s[10:11]
	v_cvt_f32_i32_e32 v10, v21
	global_store_short v[0:1], v2, off
	v_add_f32_e32 v0, v12, v3
	v_cvt_f16_f32_e32 v2, v0
	s_waitcnt vmcnt(10)
	v_cvt_f32_f16_e32 v3, v25
	v_add_u32_e32 v50, s7, v50
	v_add_f32_e32 v10, v19, v10
	v_lshl_add_u64 v[0:1], v[50:51], 1, s[10:11]
	global_store_short v[0:1], v2, off
	v_add_f32_e32 v0, v10, v3
	s_waitcnt vmcnt(10)
	v_cvt_f32_f16_e32 v3, v24
	v_cvt_f16_f32_e32 v2, v0
	v_add_u32_e32 v0, 1, v50
	v_mov_b32_e32 v1, v51
	v_add_f32_e32 v3, v13, v3
	v_cvt_f16_f32_e32 v3, v3
	v_lshl_add_u64 v[0:1], v[0:1], 1, s[10:11]
	v_add_u32_e32 v50, 2, v50
	global_store_short v[0:1], v2, off
	v_lshl_add_u64 v[0:1], v[50:51], 1, s[10:11]
	global_store_short v[0:1], v3, off
.LBB104_13:                             ;   in Loop: Header=BB104_14 Depth=1
	s_or_b64 exec, exec, s[20:21]
	v_add_u32_e32 v48, s13, v48
	v_cmp_le_u32_e32 vcc, s7, v48
	s_or_b64 s[18:19], vcc, s[18:19]
	s_andn2_b64 exec, exec, s[18:19]
	s_cbranch_execz .LBB104_26
.LBB104_14:                             ; =>This Loop Header: Depth=1
                                        ;     Child Loop BB104_18 Depth 2
	s_mov_b32 s31, 0
	s_and_b64 vcc, exec, s[2:3]
	v_add_u32_e32 v54, 1, v48
	v_add_u32_e32 v52, 2, v48
	v_mov_b32_e32 v81, v51
	v_mov_b32_e32 v80, v51
	;; [unrolled: 1-line block ×12, first 2 shown]
	s_cbranch_vccnz .LBB104_21
; %bb.15:                               ;   in Loop: Header=BB104_14 Depth=1
	v_min_u32_e32 v0, s26, v48
	v_mul_lo_u32 v50, v0, s5
	v_min_u32_e32 v0, s26, v54
	v_min_u32_e32 v2, s26, v52
	v_mul_lo_u32 v0, v0, s5
	v_mov_b32_e32 v1, v51
	v_mul_lo_u32 v2, v2, s5
	v_mov_b32_e32 v3, v51
	v_mov_b32_e32 v75, 0
	v_lshlrev_b64 v[56:57], 1, v[50:51]
	v_lshlrev_b64 v[58:59], 1, v[0:1]
	;; [unrolled: 1-line block ×3, first 2 shown]
	v_mov_b32_e32 v82, v72
	v_mov_b32_e32 v74, 0
	;; [unrolled: 1-line block ×12, first 2 shown]
	s_branch .LBB104_18
.LBB104_16:                             ;   in Loop: Header=BB104_18 Depth=2
	s_or_b64 exec, exec, s[22:23]
.LBB104_17:                             ;   in Loop: Header=BB104_18 Depth=2
	s_or_b64 exec, exec, s[20:21]
	s_waitcnt vmcnt(5) lgkmcnt(4)
	;;#ASMSTART
	v_dot2c_f32_f16 v81, v44, v28
	;;#ASMEND
	s_waitcnt vmcnt(4)
	;;#ASMSTART
	v_dot2c_f32_f16 v80, v44, v20
	;;#ASMEND
	s_waitcnt vmcnt(3)
	;;#ASMSTART
	v_dot2c_f32_f16 v79, v44, v24
	;;#ASMEND
	s_waitcnt lgkmcnt(3)
	;;#ASMSTART
	v_dot2c_f32_f16 v78, v40, v28
	;;#ASMEND
	;;#ASMSTART
	v_dot2c_f32_f16 v77, v40, v20
	;;#ASMEND
	;;#ASMSTART
	v_dot2c_f32_f16 v76, v40, v24
	;;#ASMEND
	s_waitcnt lgkmcnt(2)
	;;#ASMSTART
	v_dot2c_f32_f16 v75, v66, v28
	;;#ASMEND
	;;#ASMSTART
	v_dot2c_f32_f16 v74, v66, v20
	;;#ASMEND
	;; [unrolled: 10-line block ×3, first 2 shown]
	;;#ASMSTART
	v_dot2c_f32_f16 v49, v36, v24
	;;#ASMEND
	;;#ASMSTART
	v_dot2c_f32_f16 v81, v45, v29
	;;#ASMEND
	;;#ASMSTART
	v_dot2c_f32_f16 v80, v45, v21
	;;#ASMEND
	;;#ASMSTART
	v_dot2c_f32_f16 v79, v45, v25
	;;#ASMEND
	;;#ASMSTART
	v_dot2c_f32_f16 v78, v41, v29
	;;#ASMEND
	;;#ASMSTART
	v_dot2c_f32_f16 v77, v41, v21
	;;#ASMEND
	;;#ASMSTART
	v_dot2c_f32_f16 v76, v41, v25
	;;#ASMEND
	;;#ASMSTART
	v_dot2c_f32_f16 v75, v67, v29
	;;#ASMEND
	;;#ASMSTART
	v_dot2c_f32_f16 v74, v67, v21
	;;#ASMEND
	;;#ASMSTART
	v_dot2c_f32_f16 v73, v67, v25
	;;#ASMEND
	s_nop 0
	;;#ASMSTART
	v_dot2c_f32_f16 v55, v37, v29
	;;#ASMEND
	;;#ASMSTART
	v_dot2c_f32_f16 v53, v37, v21
	;;#ASMEND
	;;#ASMSTART
	v_dot2c_f32_f16 v49, v37, v25
	;;#ASMEND
	;;#ASMSTART
	v_dot2c_f32_f16 v81, v46, v30
	;;#ASMEND
	;;#ASMSTART
	v_dot2c_f32_f16 v80, v46, v22
	;;#ASMEND
	;;#ASMSTART
	v_dot2c_f32_f16 v79, v46, v26
	;;#ASMEND
	;;#ASMSTART
	v_dot2c_f32_f16 v78, v42, v30
	;;#ASMEND
	;;#ASMSTART
	v_dot2c_f32_f16 v77, v42, v22
	;;#ASMEND
	;;#ASMSTART
	v_dot2c_f32_f16 v76, v42, v26
	;;#ASMEND
	;;#ASMSTART
	v_dot2c_f32_f16 v75, v68, v30
	;;#ASMEND
	;;#ASMSTART
	v_dot2c_f32_f16 v74, v68, v22
	;;#ASMEND
	;;#ASMSTART
	v_dot2c_f32_f16 v73, v68, v26
	;;#ASMEND
	s_nop 0
	;;#ASMSTART
	v_dot2c_f32_f16 v55, v38, v30
	;;#ASMEND
	;;#ASMSTART
	v_dot2c_f32_f16 v53, v38, v22
	;;#ASMEND
	;; [unrolled: 37-line block ×3, first 2 shown]
	;;#ASMSTART
	v_dot2c_f32_f16 v49, v39, v27
	;;#ASMEND
	s_waitcnt vmcnt(2)
	;;#ASMSTART
	v_dot2c_f32_f16 v81, v32, v8
	;;#ASMEND
	s_waitcnt vmcnt(1)
	;; [unrolled: 4-line block ×3, first 2 shown]
	;;#ASMSTART
	v_dot2c_f32_f16 v79, v32, v0
	;;#ASMEND
	;;#ASMSTART
	v_dot2c_f32_f16 v78, v16, v8
	;;#ASMEND
	;; [unrolled: 3-line block ×12, first 2 shown]
	s_nop 0
	;;#ASMSTART
	v_dot2c_f32_f16 v79, v33, v1
	;;#ASMEND
	;;#ASMSTART
	v_dot2c_f32_f16 v78, v17, v9
	;;#ASMEND
	;; [unrolled: 3-line block ×10, first 2 shown]
	s_addk_i32 s31, 0x200
	;;#ASMSTART
	v_dot2c_f32_f16 v81, v34, v10
	;;#ASMEND
	;;#ASMSTART
	v_dot2c_f32_f16 v80, v34, v6
	;;#ASMEND
	;; [unrolled: 3-line block ×12, first 2 shown]
	s_cmp_ge_u32 s31, s4
	v_add_u32_e32 v82, 0x400, v82
	;;#ASMSTART
	v_dot2c_f32_f16 v81, v35, v11
	;;#ASMEND
	;;#ASMSTART
	v_dot2c_f32_f16 v80, v35, v7
	;;#ASMEND
	;; [unrolled: 3-line block ×12, first 2 shown]
	s_cbranch_scc1 .LBB104_21
.LBB104_18:                             ;   Parent Loop BB104_14 Depth=1
                                        ; =>  This Inner Loop Header: Depth=2
	v_add_u32_e32 v16, s31, v70
	v_min_u32_e32 v50, s25, v16
	v_lshl_add_u64 v[0:1], v[50:51], 1, s[14:15]
	v_add_u32_e32 v83, 0x100, v16
	v_lshl_add_u64 v[2:3], v[0:1], 0, v[56:57]
	v_min_u32_e32 v50, s25, v83
	v_lshl_add_u64 v[4:5], v[0:1], 0, v[58:59]
	global_load_dwordx4 v[28:31], v[2:3], off nt
	global_load_dwordx4 v[20:23], v[4:5], off nt
	v_lshl_add_u64 v[2:3], v[50:51], 1, s[14:15]
	v_lshl_add_u64 v[0:1], v[0:1], 0, v[60:61]
	;; [unrolled: 1-line block ×4, first 2 shown]
	global_load_dwordx4 v[24:27], v[0:1], off nt
	global_load_dwordx4 v[8:11], v[4:5], off nt
	v_lshl_add_u64 v[14:15], v[2:3], 0, v[60:61]
	global_load_dwordx4 v[4:7], v[12:13], off nt
	global_load_dwordx4 v[0:3], v[14:15], off nt
	v_cmp_gt_u32_e32 vcc, s4, v16
	v_mov_b32_e32 v44, 0
	v_mov_b32_e32 v45, 0
	;; [unrolled: 1-line block ×32, first 2 shown]
	s_and_saveexec_b64 s[20:21], vcc
	s_cbranch_execz .LBB104_17
; %bb.19:                               ;   in Loop: Header=BB104_18 Depth=2
	v_add_u32_e32 v85, s6, v82
	v_add_u32_e32 v50, s24, v82
	ds_read_b128 v[44:47], v82
	ds_read_b128 v[40:43], v85
	ds_read2_b32 v[66:67], v50 offset1:1
	v_add_u32_e32 v84, s30, v82
	ds_read2_b32 v[68:69], v50 offset0:2 offset1:3
	ds_read_b128 v[36:39], v84
	v_cmp_gt_u32_e32 vcc, s4, v83
	v_mov_b32_e32 v15, 0
	v_mov_b32_e32 v14, 0
	;; [unrolled: 1-line block ×16, first 2 shown]
	s_and_saveexec_b64 s[22:23], vcc
	s_cbranch_execz .LBB104_16
; %bb.20:                               ;   in Loop: Header=BB104_18 Depth=2
	ds_read_b128 v[32:35], v82 offset:512
	ds_read_b128 v[16:19], v85 offset:512
	ds_read2_b32 v[64:65], v50 offset0:128 offset1:129
	ds_read2_b32 v[62:63], v50 offset0:130 offset1:131
	ds_read_b128 v[12:15], v84 offset:512
	s_branch .LBB104_16
.LBB104_21:                             ;   in Loop: Header=BB104_14 Depth=1
	; sched_barrier mask(0x00000000)
	v_cvt_i32_f32_e32 v0, v81
	v_cvt_i32_f32_e32 v1, v80
	;; [unrolled: 1-line block ×4, first 2 shown]
	v_cvt_f32_i32_dpp v0, v0 row_shr:8 row_mask:0xf bank_mask:0xf bound_ctrl:1
	v_cvt_f32_i32_dpp v1, v1 row_shr:8 row_mask:0xf bank_mask:0xf bound_ctrl:1
	;; [unrolled: 1-line block ×4, first 2 shown]
	v_add_f32_e32 v0, v81, v0
	v_cvt_i32_f32_e32 v5, v0
	v_add_f32_e32 v1, v80, v1
	v_cvt_i32_f32_e32 v6, v1
	v_add_f32_e32 v2, v79, v2
	v_cvt_f32_i32_dpp v5, v5 row_shr:4 row_mask:0xf bank_mask:0xf bound_ctrl:1
	v_cvt_i32_f32_e32 v7, v2
	v_cvt_f32_i32_dpp v6, v6 row_shr:4 row_mask:0xf bank_mask:0xf bound_ctrl:1
	v_add_f32_e32 v3, v78, v3
	v_add_f32_e32 v0, v0, v5
	v_cvt_i32_f32_e32 v5, v0
	v_add_f32_e32 v1, v1, v6
	v_cvt_i32_f32_e32 v6, v1
	v_cvt_f32_i32_dpp v7, v7 row_shr:4 row_mask:0xf bank_mask:0xf bound_ctrl:1
	v_cvt_f32_i32_dpp v5, v5 row_shr:2 row_mask:0xf bank_mask:0xf bound_ctrl:1
	v_cvt_i32_f32_e32 v8, v3
	v_cvt_f32_i32_dpp v6, v6 row_shr:2 row_mask:0xf bank_mask:0xf bound_ctrl:1
	v_add_f32_e32 v2, v2, v7
	v_add_f32_e32 v0, v0, v5
	v_cvt_i32_f32_e32 v5, v0
	v_cvt_i32_f32_e32 v7, v2
	v_add_f32_e32 v1, v1, v6
	v_cvt_i32_f32_e32 v6, v1
	v_cvt_f32_i32_dpp v5, v5 row_shr:1 row_mask:0xf bank_mask:0xf bound_ctrl:1
	v_cvt_f32_i32_dpp v7, v7 row_shr:2 row_mask:0xf bank_mask:0xf bound_ctrl:1
	;; [unrolled: 1-line block ×4, first 2 shown]
	v_add_f32_e32 v0, v0, v5
	v_cvt_i32_f32_e32 v5, v0
	v_add_f32_e32 v7, v2, v7
	v_cvt_i32_f32_e32 v4, v77
	v_cvt_i32_f32_e32 v2, v7
	v_cvt_f32_i32_dpp v5, v5 row_bcast:15 row_mask:0xf bank_mask:0xf bound_ctrl:1
	v_add_f32_e32 v1, v1, v6
	v_add_f32_e32 v3, v3, v8
	v_cvt_i32_f32_e32 v6, v1
	v_add_f32_e32 v0, v0, v5
	v_cvt_i32_f32_e32 v5, v0
	v_cvt_f32_i32_dpp v8, v2 row_shr:1 row_mask:0xf bank_mask:0xf bound_ctrl:1
	v_cvt_f32_i32_dpp v4, v4 row_shr:8 row_mask:0xf bank_mask:0xf bound_ctrl:1
	v_cvt_f32_i32_dpp v6, v6 row_bcast:15 row_mask:0xf bank_mask:0xf bound_ctrl:1
	v_mov_b32_dpp v2, v5 row_bcast:31 row_mask:0xf bank_mask:0xf bound_ctrl:1
	v_cvt_i32_f32_e32 v5, v3
	v_add_f32_e32 v7, v7, v8
	v_add_f32_e32 v9, v77, v4
	v_cvt_i32_f32_e32 v8, v7
	v_cvt_f32_i32_dpp v5, v5 row_shr:2 row_mask:0xf bank_mask:0xf bound_ctrl:1
	v_cvt_i32_f32_e32 v4, v9
	v_add_f32_e32 v1, v1, v6
	v_cvt_i32_f32_e32 v6, v1
	v_add_f32_e32 v5, v3, v5
	v_cvt_i32_f32_e32 v3, v5
	v_cvt_f32_i32_dpp v8, v8 row_bcast:15 row_mask:0xf bank_mask:0xf bound_ctrl:1
	v_cvt_f32_i32_dpp v10, v4 row_shr:4 row_mask:0xf bank_mask:0xf bound_ctrl:1
	v_mov_b32_dpp v4, v6 row_bcast:31 row_mask:0xf bank_mask:0xf bound_ctrl:1
	v_cvt_f32_i32_dpp v6, v3 row_shr:1 row_mask:0xf bank_mask:0xf bound_ctrl:1
	v_add_f32_e32 v3, v7, v8
	v_add_f32_e32 v7, v9, v10
	v_cvt_i32_f32_e32 v8, v7
	v_add_f32_e32 v5, v5, v6
	v_cvt_i32_f32_e32 v6, v76
	v_cvt_i32_f32_e32 v9, v5
	v_cvt_f32_i32_dpp v8, v8 row_shr:2 row_mask:0xf bank_mask:0xf bound_ctrl:1
	v_cvt_i32_f32_e32 v10, v3
	v_cvt_f32_i32_dpp v6, v6 row_shr:8 row_mask:0xf bank_mask:0xf bound_ctrl:1
	v_cvt_f32_i32_dpp v9, v9 row_bcast:15 row_mask:0xf bank_mask:0xf bound_ctrl:1
	v_add_f32_e32 v7, v7, v8
	v_cvt_i32_f32_e32 v8, v7
	v_add_f32_e32 v11, v76, v6
	v_cvt_i32_f32_e32 v12, v11
	v_add_f32_e32 v5, v5, v9
	v_cvt_f32_i32_dpp v8, v8 row_shr:1 row_mask:0xf bank_mask:0xf bound_ctrl:1
	v_mov_b32_dpp v6, v10 row_bcast:31 row_mask:0xf bank_mask:0xf bound_ctrl:1
	v_cvt_f32_i32_dpp v9, v12 row_shr:4 row_mask:0xf bank_mask:0xf bound_ctrl:1
	v_cvt_i32_f32_e32 v10, v5
	v_add_f32_e32 v8, v7, v8
	v_cvt_i32_f32_e32 v7, v75
	v_add_f32_e32 v9, v11, v9
	v_cvt_i32_f32_e32 v11, v9
	v_cvt_i32_f32_e32 v12, v8
	v_cvt_f32_i32_dpp v13, v7 row_shr:8 row_mask:0xf bank_mask:0xf bound_ctrl:1
	v_mov_b32_dpp v7, v10 row_bcast:31 row_mask:0xf bank_mask:0xf bound_ctrl:1
	v_cvt_f32_i32_dpp v10, v11 row_shr:2 row_mask:0xf bank_mask:0xf bound_ctrl:1
	v_cvt_f32_i32_dpp v11, v12 row_bcast:15 row_mask:0xf bank_mask:0xf bound_ctrl:1
	v_add_f32_e32 v12, v75, v13
	v_cvt_i32_f32_e32 v13, v12
	v_add_f32_e32 v9, v9, v10
	v_cvt_i32_f32_e32 v10, v74
	v_cvt_i32_f32_e32 v14, v9
	v_cvt_f32_i32_dpp v13, v13 row_shr:4 row_mask:0xf bank_mask:0xf bound_ctrl:1
	v_add_f32_e32 v8, v8, v11
	v_cvt_f32_i32_dpp v10, v10 row_shr:8 row_mask:0xf bank_mask:0xf bound_ctrl:1
	v_cvt_f32_i32_dpp v11, v14 row_shr:1 row_mask:0xf bank_mask:0xf bound_ctrl:1
	v_add_f32_e32 v12, v12, v13
	v_cvt_i32_f32_e32 v13, v12
	v_add_f32_e32 v10, v74, v10
	v_cvt_i32_f32_e32 v14, v10
	v_add_f32_e32 v9, v9, v11
	v_cvt_f32_i32_dpp v13, v13 row_shr:2 row_mask:0xf bank_mask:0xf bound_ctrl:1
	v_cvt_i32_f32_e32 v15, v8
	v_cvt_f32_i32_dpp v11, v14 row_shr:4 row_mask:0xf bank_mask:0xf bound_ctrl:1
	v_cvt_i32_f32_e32 v14, v9
	v_add_f32_e32 v12, v12, v13
	v_cvt_i32_f32_e32 v13, v12
	v_add_f32_e32 v11, v10, v11
	v_cvt_i32_f32_e32 v16, v11
	v_mov_b32_dpp v10, v15 row_bcast:31 row_mask:0xf bank_mask:0xf bound_ctrl:1
	v_cvt_f32_i32_dpp v13, v13 row_shr:1 row_mask:0xf bank_mask:0xf bound_ctrl:1
	v_cvt_f32_i32_dpp v14, v14 row_bcast:15 row_mask:0xf bank_mask:0xf bound_ctrl:1
	v_cvt_f32_i32_dpp v15, v16 row_shr:2 row_mask:0xf bank_mask:0xf bound_ctrl:1
	v_add_f32_e32 v13, v12, v13
	v_cvt_i32_f32_e32 v12, v73
	v_add_f32_e32 v11, v11, v15
	v_add_f32_e32 v9, v9, v14
	v_cvt_i32_f32_e32 v14, v11
	v_cvt_f32_i32_dpp v12, v12 row_shr:8 row_mask:0xf bank_mask:0xf bound_ctrl:1
	v_cvt_i32_f32_e32 v15, v13
	v_cvt_i32_f32_e32 v16, v9
	v_cvt_f32_i32_dpp v14, v14 row_shr:1 row_mask:0xf bank_mask:0xf bound_ctrl:1
	v_add_f32_e32 v17, v73, v12
	v_cvt_i32_f32_e32 v18, v17
	v_cvt_f32_i32_dpp v15, v15 row_bcast:15 row_mask:0xf bank_mask:0xf bound_ctrl:1
	v_add_f32_e32 v14, v11, v14
	v_mov_b32_dpp v12, v16 row_bcast:31 row_mask:0xf bank_mask:0xf bound_ctrl:1
	v_cvt_f32_i32_dpp v16, v18 row_shr:4 row_mask:0xf bank_mask:0xf bound_ctrl:1
	v_cvt_i32_f32_e32 v19, v14
	v_add_f32_e32 v11, v13, v15
	v_cvt_i32_f32_e32 v15, v55
	v_add_f32_e32 v16, v17, v16
	v_cvt_f32_i32_dpp v13, v19 row_bcast:15 row_mask:0xf bank_mask:0xf bound_ctrl:1
	v_cvt_i32_f32_e32 v17, v16
	v_cvt_f32_i32_dpp v15, v15 row_shr:8 row_mask:0xf bank_mask:0xf bound_ctrl:1
	v_cvt_i32_f32_e32 v18, v11
	v_add_f32_e32 v13, v14, v13
	v_cvt_f32_i32_dpp v14, v17 row_shr:2 row_mask:0xf bank_mask:0xf bound_ctrl:1
	v_add_f32_e32 v19, v55, v15
	v_cvt_i32_f32_e32 v15, v19
	v_cvt_i32_f32_e32 v17, v13
	v_add_f32_e32 v16, v16, v14
	v_cvt_i32_f32_e32 v20, v16
	v_mov_b32_dpp v14, v18 row_bcast:31 row_mask:0xf bank_mask:0xf bound_ctrl:1
	v_cvt_f32_i32_dpp v18, v15 row_shr:4 row_mask:0xf bank_mask:0xf bound_ctrl:1
	v_mov_b32_dpp v15, v17 row_bcast:31 row_mask:0xf bank_mask:0xf bound_ctrl:1
	v_cvt_f32_i32_dpp v17, v20 row_shr:1 row_mask:0xf bank_mask:0xf bound_ctrl:1
	v_cvt_i32_f32_e32 v20, v53
	v_add_f32_e32 v18, v19, v18
	v_cvt_i32_f32_e32 v19, v49
	v_add_f32_e32 v16, v16, v17
	v_cvt_f32_i32_dpp v20, v20 row_shr:8 row_mask:0xf bank_mask:0xf bound_ctrl:1
	v_cvt_i32_f32_e32 v21, v18
	v_cvt_f32_i32_dpp v17, v19 row_shr:8 row_mask:0xf bank_mask:0xf bound_ctrl:1
	v_cvt_i32_f32_e32 v23, v16
	v_add_f32_e32 v20, v53, v20
	v_cvt_f32_i32_dpp v19, v21 row_shr:2 row_mask:0xf bank_mask:0xf bound_ctrl:1
	v_add_f32_e32 v17, v49, v17
	v_cvt_i32_f32_e32 v21, v20
	v_cvt_i32_f32_e32 v22, v17
	v_add_f32_e32 v18, v18, v19
	v_cvt_f32_i32_dpp v23, v23 row_bcast:15 row_mask:0xf bank_mask:0xf bound_ctrl:1
	v_cvt_f32_i32_dpp v21, v21 row_shr:4 row_mask:0xf bank_mask:0xf bound_ctrl:1
	v_cvt_f32_i32_dpp v19, v22 row_shr:4 row_mask:0xf bank_mask:0xf bound_ctrl:1
	v_cvt_i32_f32_e32 v22, v18
	v_add_f32_e32 v16, v16, v23
	v_add_f32_e32 v20, v20, v21
	;; [unrolled: 1-line block ×3, first 2 shown]
	v_cvt_i32_f32_e32 v21, v20
	v_cvt_i32_f32_e32 v19, v17
	v_cvt_f32_i32_dpp v22, v22 row_shr:1 row_mask:0xf bank_mask:0xf bound_ctrl:1
	v_cvt_i32_f32_e32 v24, v16
	v_cvt_f32_i32_dpp v21, v21 row_shr:2 row_mask:0xf bank_mask:0xf bound_ctrl:1
	v_cvt_f32_i32_dpp v19, v19 row_shr:2 row_mask:0xf bank_mask:0xf bound_ctrl:1
	v_add_f32_e32 v18, v18, v22
	v_cvt_i32_f32_e32 v22, v18
	v_add_f32_e32 v20, v20, v21
	v_add_f32_e32 v17, v17, v19
	v_cvt_i32_f32_e32 v21, v20
	v_cvt_i32_f32_e32 v19, v17
	v_cvt_f32_i32_dpp v22, v22 row_bcast:15 row_mask:0xf bank_mask:0xf bound_ctrl:1
	v_cvt_f32_i32_dpp v21, v21 row_shr:1 row_mask:0xf bank_mask:0xf bound_ctrl:1
	v_cvt_f32_i32_dpp v19, v19 row_shr:1 row_mask:0xf bank_mask:0xf bound_ctrl:1
	v_add_f32_e32 v20, v20, v21
	v_add_f32_e32 v23, v17, v19
	v_cvt_i32_f32_e32 v21, v20
	v_cvt_i32_f32_e32 v19, v23
	v_add_f32_e32 v17, v18, v22
	v_cvt_i32_f32_e32 v22, v17
	v_cvt_f32_i32_dpp v21, v21 row_bcast:15 row_mask:0xf bank_mask:0xf bound_ctrl:1
	v_cvt_f32_i32_dpp v18, v19 row_bcast:15 row_mask:0xf bank_mask:0xf bound_ctrl:1
	v_mov_b32_dpp v22, v22 row_bcast:31 row_mask:0xf bank_mask:0xf bound_ctrl:1
	v_add_f32_e32 v19, v20, v21
	v_add_f32_e32 v18, v23, v18
	v_cvt_i32_f32_e32 v20, v19
	v_cvt_i32_f32_e32 v25, v18
	v_mov_b32_dpp v23, v24 row_bcast:31 row_mask:0xf bank_mask:0xf bound_ctrl:1
	v_mov_b32_dpp v21, v20 row_bcast:31 row_mask:0xf bank_mask:0xf bound_ctrl:1
	;; [unrolled: 1-line block ×3, first 2 shown]
	s_and_saveexec_b64 s[20:21], s[0:1]
	s_cbranch_execz .LBB104_13
; %bb.22:                               ;   in Loop: Header=BB104_14 Depth=1
	s_and_b64 vcc, exec, s[16:17]
	s_cbranch_vccz .LBB104_24
; %bb.23:                               ;   in Loop: Header=BB104_14 Depth=1
	v_mul_hi_u32 v24, v48, v71
	v_mul_lo_u32 v24, v24, s12
	v_sub_u32_e32 v24, v48, v24
	v_subrev_u32_e32 v25, s12, v24
	v_cmp_le_u32_e32 vcc, s12, v24
	v_mul_hi_u32 v26, v54, v71
	v_mul_lo_u32 v26, v26, s12
	v_cndmask_b32_e32 v24, v24, v25, vcc
	v_subrev_u32_e32 v25, s12, v24
	v_cmp_le_u32_e32 vcc, s12, v24
	v_sub_u32_e32 v26, v54, v26
	v_subrev_u32_e32 v27, s12, v26
	v_cndmask_b32_e32 v50, v24, v25, vcc
	v_cmp_le_u32_e32 vcc, s12, v26
	v_lshl_add_u64 v[24:25], v[50:51], 1, s[8:9]
	v_mov_b32_e32 v37, v51
	v_cndmask_b32_e32 v26, v26, v27, vcc
	v_subrev_u32_e32 v27, s12, v26
	v_cmp_le_u32_e32 vcc, s12, v26
	v_mov_b32_e32 v41, v51
	v_mov_b32_e32 v49, v51
	v_cndmask_b32_e32 v36, v26, v27, vcc
	v_mul_hi_u32 v26, v52, v71
	v_mul_lo_u32 v26, v26, s12
	v_sub_u32_e32 v26, v52, v26
	v_subrev_u32_e32 v27, s12, v26
	v_cmp_le_u32_e32 vcc, s12, v26
	v_lshl_add_u64 v[38:39], v[36:37], 1, s[8:9]
	v_mov_b32_e32 v55, v51
	v_cndmask_b32_e32 v26, v26, v27, vcc
	v_subrev_u32_e32 v27, s12, v26
	v_cmp_le_u32_e32 vcc, s12, v26
	v_mov_b32_e32 v53, v51
	s_nop 0
	v_cndmask_b32_e32 v40, v26, v27, vcc
	v_add_u32_e32 v26, s27, v50
	v_mov_b32_e32 v27, v51
	v_lshl_add_u64 v[44:45], v[26:27], 1, s[8:9]
	v_add_u32_e32 v26, s27, v36
	v_lshl_add_u64 v[46:47], v[26:27], 1, s[8:9]
	v_add_u32_e32 v26, s27, v40
	;; [unrolled: 2-line block ×4, first 2 shown]
	v_lshl_add_u64 v[42:43], v[40:41], 1, s[8:9]
	v_lshl_add_u64 v[60:61], v[26:27], 1, s[8:9]
	global_load_ushort v35, v[24:25], off
	global_load_ushort v34, v[38:39], off
	;; [unrolled: 1-line block ×8, first 2 shown]
	v_add_u32_e32 v50, s29, v50
	v_add_u32_e32 v24, s28, v40
	v_mov_b32_e32 v25, v51
	v_lshl_add_u64 v[42:43], v[50:51], 1, s[8:9]
	v_add_u32_e32 v50, s29, v36
	v_lshl_add_u64 v[38:39], v[24:25], 1, s[8:9]
	v_lshl_add_u64 v[36:37], v[50:51], 1, s[8:9]
	v_add_u32_e32 v50, s29, v40
	v_lshl_add_u64 v[40:41], v[50:51], 1, s[8:9]
	global_load_ushort v29, v[38:39], off
	global_load_ushort v27, v[42:43], off
	;; [unrolled: 1-line block ×4, first 2 shown]
	s_cbranch_execnz .LBB104_12
	s_branch .LBB104_25
.LBB104_24:                             ;   in Loop: Header=BB104_14 Depth=1
                                        ; implicit-def: $vgpr24
                                        ; implicit-def: $vgpr25
                                        ; implicit-def: $vgpr27
                                        ; implicit-def: $vgpr29
                                        ; implicit-def: $vgpr26
                                        ; implicit-def: $vgpr28
                                        ; implicit-def: $vgpr30
                                        ; implicit-def: $vgpr31
                                        ; implicit-def: $vgpr32
                                        ; implicit-def: $vgpr33
                                        ; implicit-def: $vgpr34
                                        ; implicit-def: $vgpr35
.LBB104_25:                             ;   in Loop: Header=BB104_14 Depth=1
	v_mov_b32_e32 v49, v51
	v_mov_b32_e32 v55, v51
	;; [unrolled: 1-line block ×3, first 2 shown]
	s_waitcnt vmcnt(11)
	v_mov_b32_e32 v35, 0
	s_waitcnt vmcnt(10)
	v_mov_b32_e32 v34, 0
	;; [unrolled: 2-line block ×12, first 2 shown]
	s_branch .LBB104_12
.LBB104_26:
	s_endpgm
	.section	.rodata,"a",@progbits
	.p2align	6, 0x0
	.amdhsa_kernel _Z16wvSplitK_hf_sml_I6__halfLi32ELi3ELi16ELi8ELi2ELi4EEviiiiiiPKT_S3_S3_PS1_ii
		.amdhsa_group_segment_fixed_size 65536
		.amdhsa_private_segment_fixed_size 0
		.amdhsa_kernarg_size 64
		.amdhsa_user_sgpr_count 2
		.amdhsa_user_sgpr_dispatch_ptr 0
		.amdhsa_user_sgpr_queue_ptr 0
		.amdhsa_user_sgpr_kernarg_segment_ptr 1
		.amdhsa_user_sgpr_dispatch_id 0
		.amdhsa_user_sgpr_kernarg_preload_length 0
		.amdhsa_user_sgpr_kernarg_preload_offset 0
		.amdhsa_user_sgpr_private_segment_size 0
		.amdhsa_uses_dynamic_stack 0
		.amdhsa_enable_private_segment 0
		.amdhsa_system_sgpr_workgroup_id_x 1
		.amdhsa_system_sgpr_workgroup_id_y 0
		.amdhsa_system_sgpr_workgroup_id_z 0
		.amdhsa_system_sgpr_workgroup_info 0
		.amdhsa_system_vgpr_workitem_id 1
		.amdhsa_next_free_vgpr 86
		.amdhsa_next_free_sgpr 32
		.amdhsa_accum_offset 88
		.amdhsa_reserve_vcc 1
		.amdhsa_float_round_mode_32 0
		.amdhsa_float_round_mode_16_64 0
		.amdhsa_float_denorm_mode_32 3
		.amdhsa_float_denorm_mode_16_64 3
		.amdhsa_dx10_clamp 1
		.amdhsa_ieee_mode 1
		.amdhsa_fp16_overflow 0
		.amdhsa_tg_split 0
		.amdhsa_exception_fp_ieee_invalid_op 0
		.amdhsa_exception_fp_denorm_src 0
		.amdhsa_exception_fp_ieee_div_zero 0
		.amdhsa_exception_fp_ieee_overflow 0
		.amdhsa_exception_fp_ieee_underflow 0
		.amdhsa_exception_fp_ieee_inexact 0
		.amdhsa_exception_int_div_zero 0
	.end_amdhsa_kernel
	.section	.text._Z16wvSplitK_hf_sml_I6__halfLi32ELi3ELi16ELi8ELi2ELi4EEviiiiiiPKT_S3_S3_PS1_ii,"axG",@progbits,_Z16wvSplitK_hf_sml_I6__halfLi32ELi3ELi16ELi8ELi2ELi4EEviiiiiiPKT_S3_S3_PS1_ii,comdat
.Lfunc_end104:
	.size	_Z16wvSplitK_hf_sml_I6__halfLi32ELi3ELi16ELi8ELi2ELi4EEviiiiiiPKT_S3_S3_PS1_ii, .Lfunc_end104-_Z16wvSplitK_hf_sml_I6__halfLi32ELi3ELi16ELi8ELi2ELi4EEviiiiiiPKT_S3_S3_PS1_ii
                                        ; -- End function
	.section	.AMDGPU.csdata,"",@progbits
; Kernel info:
; codeLenInByte = 4572
; NumSgprs: 38
; NumVgprs: 86
; NumAgprs: 0
; TotalNumVgprs: 86
; ScratchSize: 0
; MemoryBound: 0
; FloatMode: 240
; IeeeMode: 1
; LDSByteSize: 65536 bytes/workgroup (compile time only)
; SGPRBlocks: 4
; VGPRBlocks: 10
; NumSGPRsForWavesPerEU: 38
; NumVGPRsForWavesPerEU: 86
; AccumOffset: 88
; Occupancy: 2
; WaveLimiterHint : 0
; COMPUTE_PGM_RSRC2:SCRATCH_EN: 0
; COMPUTE_PGM_RSRC2:USER_SGPR: 2
; COMPUTE_PGM_RSRC2:TRAP_HANDLER: 0
; COMPUTE_PGM_RSRC2:TGID_X_EN: 1
; COMPUTE_PGM_RSRC2:TGID_Y_EN: 0
; COMPUTE_PGM_RSRC2:TGID_Z_EN: 0
; COMPUTE_PGM_RSRC2:TIDIG_COMP_CNT: 1
; COMPUTE_PGM_RSRC3_GFX90A:ACCUM_OFFSET: 21
; COMPUTE_PGM_RSRC3_GFX90A:TG_SPLIT: 0
	.section	.text._Z12wvSplitK_hf_I6__halfLi32ELi3ELi16ELi8ELi2ELi4EEviiiiiiPKT_S3_S3_PS1_ii,"axG",@progbits,_Z12wvSplitK_hf_I6__halfLi32ELi3ELi16ELi8ELi2ELi4EEviiiiiiPKT_S3_S3_PS1_ii,comdat
	.protected	_Z12wvSplitK_hf_I6__halfLi32ELi3ELi16ELi8ELi2ELi4EEviiiiiiPKT_S3_S3_PS1_ii ; -- Begin function _Z12wvSplitK_hf_I6__halfLi32ELi3ELi16ELi8ELi2ELi4EEviiiiiiPKT_S3_S3_PS1_ii
	.globl	_Z12wvSplitK_hf_I6__halfLi32ELi3ELi16ELi8ELi2ELi4EEviiiiiiPKT_S3_S3_PS1_ii
	.p2align	8
	.type	_Z12wvSplitK_hf_I6__halfLi32ELi3ELi16ELi8ELi2ELi4EEviiiiiiPKT_S3_S3_PS1_ii,@function
_Z12wvSplitK_hf_I6__halfLi32ELi3ELi16ELi8ELi2ELi4EEviiiiiiPKT_S3_S3_PS1_ii: ; @_Z12wvSplitK_hf_I6__halfLi32ELi3ELi16ELi8ELi2ELi4EEviiiiiiPKT_S3_S3_PS1_ii
; %bb.0:
	s_load_dwordx2 s[22:23], s[0:1], 0x38
	s_load_dwordx2 s[16:17], s[0:1], 0x20
	s_load_dwordx4 s[8:11], s[0:1], 0x0
	s_load_dwordx2 s[18:19], s[0:1], 0x10
	v_bfe_u32 v4, v0, 10, 10
	s_waitcnt lgkmcnt(0)
	s_mul_i32 s2, s2, s22
	v_add_u32_e32 v1, s2, v4
	v_lshl_add_u32 v62, v1, 1, v1
	s_mov_b32 s4, 1
	v_add_u32_e32 v1, 3, v62
	s_mov_b32 s6, s4
	v_cmp_gt_u32_e32 vcc, s11, v62
	v_cmp_le_u32_e64 s[2:3], s11, v1
	s_mov_b32 s5, s4
	v_mov_b32_e32 v58, s6
	s_and_b64 s[12:13], vcc, s[2:3]
	v_mov_b32_e32 v57, s5
	v_mov_b32_e32 v56, s4
	s_and_saveexec_b64 s[2:3], s[12:13]
	s_cbranch_execz .LBB105_6
; %bb.1:
	s_add_i32 s7, s11, -3
	v_mov_b32_e32 v58, s6
	v_cmp_ne_u32_e32 vcc, s7, v62
	v_mov_b32_e32 v57, s5
	v_mov_b32_e32 v56, s4
	s_and_saveexec_b64 s[12:13], vcc
	s_cbranch_execz .LBB105_5
; %bb.2:
	v_subrev_u32_e32 v1, s7, v62
	v_cmp_lt_u32_e32 vcc, 1, v1
	s_mov_b64 s[14:15], 0
	s_mov_b64 s[20:21], 0
	v_cndmask_b32_e32 v2, 1, v1, vcc
	s_mov_b32 s5, s4
	s_mov_b32 s6, s4
.LBB105_3:                              ; =>This Inner Loop Header: Depth=1
	s_cmp_lg_u32 s20, 2
	s_cselect_b32 s6, s6, 0
	s_cmp_lg_u32 s20, 1
	s_cselect_b32 s5, s5, 0
	;; [unrolled: 2-line block ×3, first 2 shown]
	s_add_u32 s20, s20, 1
	s_addc_u32 s21, s21, 0
	v_cmp_eq_u32_e32 vcc, s20, v2
	v_mov_b32_e32 v58, s6
	s_or_b64 s[14:15], vcc, s[14:15]
	v_mov_b32_e32 v57, s5
	v_mov_b32_e32 v56, s4
	s_andn2_b64 exec, exec, s[14:15]
	s_cbranch_execnz .LBB105_3
; %bb.4:
	s_or_b64 exec, exec, s[14:15]
	v_mov_b32_e32 v62, s7
.LBB105_5:
	s_or_b64 exec, exec, s[12:13]
.LBB105_6:
	s_or_b64 exec, exec, s[2:3]
	v_and_b32_e32 v5, 0x3ff, v0
	v_lshlrev_b32_e32 v60, 3, v5
	s_lshl_b32 s33, s10, 2
	v_lshl_add_u32 v6, v4, 8, v60
	s_min_u32 s4, s33, 0x8000
	v_cmp_gt_u32_e32 vcc, s4, v6
	s_and_saveexec_b64 s[2:3], vcc
	s_cbranch_execz .LBB105_15
; %bb.7:
	v_lshlrev_b32_e32 v0, 1, v6
	global_load_dwordx4 v[8:11], v0, s[16:17]
	v_add_u32_e32 v1, 0x1000, v6
	v_cmp_gt_u32_e32 vcc, s4, v1
	s_waitcnt vmcnt(0)
	ds_write_b128 v0, v[8:11]
	s_and_saveexec_b64 s[6:7], vcc
	s_xor_b64 s[6:7], exec, s[6:7]
	s_cbranch_execz .LBB105_15
; %bb.8:
	v_mov_b32_e32 v1, 0
	v_lshl_add_u64 v[2:3], s[16:17], 0, v[0:1]
	v_add_co_u32_e32 v8, vcc, 0x2000, v2
	v_add_u32_e32 v1, 0x2000, v6
	s_nop 0
	v_addc_co_u32_e32 v9, vcc, 0, v3, vcc
	global_load_dwordx4 v[8:11], v[8:9], off
	v_cmp_gt_u32_e32 vcc, s4, v1
	s_waitcnt vmcnt(0)
	ds_write_b128 v0, v[8:11] offset:8192
	s_and_saveexec_b64 s[6:7], vcc
	s_xor_b64 s[6:7], exec, s[6:7]
	s_cbranch_execz .LBB105_15
; %bb.9:
	v_add_co_u32_e32 v8, vcc, 0x4000, v2
	v_add_u32_e32 v1, 0x3000, v6
	s_nop 0
	v_addc_co_u32_e32 v9, vcc, 0, v3, vcc
	global_load_dwordx4 v[8:11], v[8:9], off
	v_cmp_gt_u32_e32 vcc, s4, v1
	s_waitcnt vmcnt(0)
	ds_write_b128 v0, v[8:11] offset:16384
	s_and_saveexec_b64 s[6:7], vcc
	s_xor_b64 s[6:7], exec, s[6:7]
	s_cbranch_execz .LBB105_15
; %bb.10:
	;; [unrolled: 12-line block ×6, first 2 shown]
	v_add_co_u32_e32 v2, vcc, 0xe000, v2
	s_nop 1
	v_addc_co_u32_e32 v3, vcc, 0, v3, vcc
	global_load_dwordx4 v[6:9], v[2:3], off
	s_waitcnt vmcnt(0)
	ds_write_b128 v0, v[6:9] offset:57344
.LBB105_15:
	s_or_b64 exec, exec, s[2:3]
	v_cmp_gt_u32_e32 vcc, s22, v4
	v_cmp_gt_u32_e64 s[2:3], s11, v62
	s_and_b64 s[2:3], vcc, s[2:3]
	s_waitcnt lgkmcnt(0)
	s_barrier
	s_and_saveexec_b64 s[4:5], s[2:3]
	s_cbranch_execz .LBB105_90
; %bb.16:
	s_load_dwordx4 s[12:15], s[0:1], 0x28
	s_load_dwordx2 s[20:21], s[0:1], 0x18
	s_cmp_lg_u32 s8, 0
	s_cselect_b64 s[2:3], -1, 0
	s_add_i32 s36, s8, -8
	s_add_i32 s37, s11, -1
	s_waitcnt lgkmcnt(0)
	s_cmp_lg_u64 s[12:13], 0
	s_cselect_b64 s[24:25], -1, 0
	s_abs_i32 s4, s19
	v_cvt_f32_u32_e32 v0, s18
	v_cvt_f32_u32_e32 v1, s4
	s_sub_i32 s5, 0, s18
	s_add_i32 s19, s11, -3
	v_rcp_iflag_f32_e32 v0, v0
	v_rcp_iflag_f32_e32 v1, v1
	v_lshlrev_b32_e32 v61, 4, v5
	s_mul_i32 s38, s22, s23
	v_mul_f32_e32 v0, 0x4f7ffffe, v0
	v_mul_f32_e32 v1, 0x4f7ffffe, v1
	v_cvt_u32_f32_e32 v0, v0
	v_cvt_u32_f32_e32 v1, v1
	v_cmp_eq_u32_e64 s[0:1], 31, v5
	s_mov_b64 s[22:23], 0
	v_mul_lo_u32 v2, s5, v0
	s_sub_i32 s5, 0, s4
	v_readfirstlane_b32 s6, v1
	s_mul_i32 s5, s5, s6
	s_mul_hi_u32 s5, s6, s5
	s_add_i32 s6, s6, s5
	s_sub_i32 s5, 1, s4
	s_cmp_lt_u32 s4, 2
	s_cselect_b32 s5, s5, 1
	s_sub_i32 s7, s5, s4
	s_cmp_ge_u32 s5, s4
	s_cselect_b32 s39, s7, s5
	s_lshr_b32 s5, s6, 31
	s_mul_i32 s5, s5, s4
	s_sub_i32 s5, 2, s5
	s_sub_i32 s7, s5, s4
	s_cmp_ge_u32 s5, s4
	s_cselect_b32 s5, s7, s5
	s_sub_i32 s7, s5, s4
	s_cmp_ge_u32 s5, s4
	s_cselect_b32 s40, s7, s5
	s_mul_hi_u32 s5, s6, 3
	s_mul_i32 s5, s5, s4
	s_sub_i32 s5, 3, s5
	s_sub_i32 s6, s5, s4
	s_cmp_ge_u32 s5, s4
	s_cselect_b32 s5, s6, s5
	s_sub_i32 s6, s5, s4
	v_mul_hi_u32 v2, v0, v2
	s_cmp_ge_u32 s5, s4
	v_add_u32_e32 v59, v0, v2
	s_cselect_b32 s41, s6, s5
	s_lshl_b32 s42, s10, 1
	v_mad_u64_u32 v[66:67], s[4:5], s10, 3, v[60:61]
	v_cndmask_b32_e64 v0, 0, 1, s[2:3]
	s_mul_i32 s38, s38, 3
	v_mov_b32_e32 v65, 0
	s_mul_i32 s39, s39, s18
	s_mul_i32 s40, s40, s18
	;; [unrolled: 1-line block ×3, first 2 shown]
	v_add_u32_e32 v84, s42, v60
	s_mul_i32 s43, s10, 6
	v_add_u32_e32 v67, s10, v60
	v_cmp_ne_u32_e64 s[2:3], 1, v0
	s_movk_i32 s10, 0x7fff
	s_mov_b32 s26, 0
	s_branch .LBB105_19
.LBB105_17:                             ;   in Loop: Header=BB105_19 Depth=1
	s_or_b64 exec, exec, s[28:29]
	v_mov_b32_e32 v62, s19
.LBB105_18:                             ;   in Loop: Header=BB105_19 Depth=1
	s_or_b64 exec, exec, s[6:7]
	v_cmp_le_u32_e32 vcc, s11, v62
	s_or_b64 s[22:23], vcc, s[22:23]
	s_andn2_b64 exec, exec, s[22:23]
	s_cbranch_execz .LBB105_90
.LBB105_19:                             ; =>This Loop Header: Depth=1
                                        ;     Child Loop BB105_24 Depth 2
                                        ;     Child Loop BB105_77 Depth 2
	s_and_b64 vcc, exec, s[2:3]
	v_add_u32_e32 v70, 1, v62
	v_add_u32_e32 v68, 2, v62
	v_mov_b32_e32 v93, v65
	v_mov_b32_e32 v92, v65
	;; [unrolled: 1-line block ×12, first 2 shown]
	s_cbranch_vccnz .LBB105_58
; %bb.20:                               ;   in Loop: Header=BB105_19 Depth=1
	v_min_u32_e32 v0, s37, v62
	v_mul_lo_u32 v64, v0, s9
	v_min_u32_e32 v0, s37, v70
	v_min_u32_e32 v2, s37, v68
	v_mul_lo_u32 v0, v0, s9
	v_mov_b32_e32 v1, v65
	v_mul_lo_u32 v2, v2, s9
	v_mov_b32_e32 v3, v65
	v_mov_b32_e32 v87, 0
	v_lshlrev_b64 v[72:73], 1, v[64:65]
	v_lshlrev_b64 v[74:75], 1, v[0:1]
	;; [unrolled: 1-line block ×3, first 2 shown]
	v_mov_b32_e32 v94, v61
	v_mov_b32_e32 v86, 0
	;; [unrolled: 1-line block ×12, first 2 shown]
	s_mov_b32 s30, s26
	s_branch .LBB105_24
.LBB105_21:                             ;   in Loop: Header=BB105_24 Depth=2
	s_or_b64 exec, exec, s[28:29]
.LBB105_22:                             ;   in Loop: Header=BB105_24 Depth=2
	s_or_b64 exec, exec, s[6:7]
.LBB105_23:                             ;   in Loop: Header=BB105_24 Depth=2
	s_or_b64 exec, exec, s[4:5]
	s_waitcnt vmcnt(0) lgkmcnt(0)
	;;#ASMSTART
	v_dot2c_f32_f16 v93, v36, v20
	;;#ASMEND
	;;#ASMSTART
	v_dot2c_f32_f16 v92, v36, v12
	;;#ASMEND
	;;#ASMSTART
	v_dot2c_f32_f16 v91, v36, v16
	;;#ASMEND
	;;#ASMSTART
	v_dot2c_f32_f16 v90, v32, v20
	;;#ASMEND
	;;#ASMSTART
	v_dot2c_f32_f16 v89, v32, v12
	;;#ASMEND
	;;#ASMSTART
	v_dot2c_f32_f16 v88, v32, v16
	;;#ASMEND
	;;#ASMSTART
	v_dot2c_f32_f16 v87, v28, v20
	;;#ASMEND
	;;#ASMSTART
	v_dot2c_f32_f16 v86, v28, v12
	;;#ASMEND
	;;#ASMSTART
	v_dot2c_f32_f16 v85, v28, v16
	;;#ASMEND
	;;#ASMSTART
	v_dot2c_f32_f16 v71, v24, v20
	;;#ASMEND
	;;#ASMSTART
	v_dot2c_f32_f16 v69, v24, v12
	;;#ASMEND
	;;#ASMSTART
	v_dot2c_f32_f16 v63, v24, v16
	;;#ASMEND
	s_nop 0
	;;#ASMSTART
	v_dot2c_f32_f16 v93, v37, v21
	;;#ASMEND
	;;#ASMSTART
	v_dot2c_f32_f16 v92, v37, v13
	;;#ASMEND
	;;#ASMSTART
	v_dot2c_f32_f16 v91, v37, v17
	;;#ASMEND
	;;#ASMSTART
	v_dot2c_f32_f16 v90, v33, v21
	;;#ASMEND
	;;#ASMSTART
	v_dot2c_f32_f16 v89, v33, v13
	;;#ASMEND
	;;#ASMSTART
	v_dot2c_f32_f16 v88, v33, v17
	;;#ASMEND
	;;#ASMSTART
	v_dot2c_f32_f16 v87, v29, v21
	;;#ASMEND
	;;#ASMSTART
	v_dot2c_f32_f16 v86, v29, v13
	;;#ASMEND
	;;#ASMSTART
	v_dot2c_f32_f16 v85, v29, v17
	;;#ASMEND
	;;#ASMSTART
	v_dot2c_f32_f16 v71, v25, v21
	;;#ASMEND
	;;#ASMSTART
	v_dot2c_f32_f16 v69, v25, v13
	;;#ASMEND
	;;#ASMSTART
	v_dot2c_f32_f16 v63, v25, v17
	;;#ASMEND
	s_nop 0
	;; [unrolled: 37-line block ×5, first 2 shown]
	;;#ASMSTART
	v_dot2c_f32_f16 v93, v53, v9
	;;#ASMEND
	;;#ASMSTART
	v_dot2c_f32_f16 v92, v53, v5
	;;#ASMEND
	;; [unrolled: 3-line block ×12, first 2 shown]
	s_addk_i32 s30, 0x200
	;;#ASMSTART
	v_dot2c_f32_f16 v93, v54, v10
	;;#ASMEND
	;;#ASMSTART
	v_dot2c_f32_f16 v92, v54, v6
	;;#ASMEND
	;;#ASMSTART
	v_dot2c_f32_f16 v91, v54, v2
	;;#ASMEND
	;;#ASMSTART
	v_dot2c_f32_f16 v90, v50, v10
	;;#ASMEND
	;;#ASMSTART
	v_dot2c_f32_f16 v89, v50, v6
	;;#ASMEND
	;;#ASMSTART
	v_dot2c_f32_f16 v88, v50, v2
	;;#ASMEND
	;;#ASMSTART
	v_dot2c_f32_f16 v87, v46, v10
	;;#ASMEND
	;;#ASMSTART
	v_dot2c_f32_f16 v86, v46, v6
	;;#ASMEND
	;;#ASMSTART
	v_dot2c_f32_f16 v85, v46, v2
	;;#ASMEND
	;;#ASMSTART
	v_dot2c_f32_f16 v71, v42, v10
	;;#ASMEND
	;;#ASMSTART
	v_dot2c_f32_f16 v69, v42, v6
	;;#ASMEND
	;;#ASMSTART
	v_dot2c_f32_f16 v63, v42, v2
	;;#ASMEND
	s_cmp_ge_u32 s30, s8
	v_add_u32_e32 v94, 0x400, v94
	;;#ASMSTART
	v_dot2c_f32_f16 v93, v55, v11
	;;#ASMEND
	;;#ASMSTART
	v_dot2c_f32_f16 v92, v55, v7
	;;#ASMEND
	;;#ASMSTART
	v_dot2c_f32_f16 v91, v55, v3
	;;#ASMEND
	;;#ASMSTART
	v_dot2c_f32_f16 v90, v51, v11
	;;#ASMEND
	;;#ASMSTART
	v_dot2c_f32_f16 v89, v51, v7
	;;#ASMEND
	;;#ASMSTART
	v_dot2c_f32_f16 v88, v51, v3
	;;#ASMEND
	;;#ASMSTART
	v_dot2c_f32_f16 v87, v47, v11
	;;#ASMEND
	;;#ASMSTART
	v_dot2c_f32_f16 v86, v47, v7
	;;#ASMEND
	;;#ASMSTART
	v_dot2c_f32_f16 v85, v47, v3
	;;#ASMEND
	;;#ASMSTART
	v_dot2c_f32_f16 v71, v43, v11
	;;#ASMEND
	;;#ASMSTART
	v_dot2c_f32_f16 v69, v43, v7
	;;#ASMEND
	;;#ASMSTART
	v_dot2c_f32_f16 v63, v43, v3
	;;#ASMEND
	s_cbranch_scc1 .LBB105_58
.LBB105_24:                             ;   Parent Loop BB105_19 Depth=1
                                        ; =>  This Inner Loop Header: Depth=2
	v_add_u32_e32 v80, s30, v60
	v_min_u32_e32 v64, s36, v80
	v_lshl_add_u64 v[0:1], v[64:65], 1, s[20:21]
	v_add_u32_e32 v78, 0x100, v80
	v_lshl_add_u64 v[2:3], v[0:1], 0, v[72:73]
	v_min_u32_e32 v64, s36, v78
	v_lshl_add_u64 v[4:5], v[0:1], 0, v[74:75]
	global_load_dwordx4 v[20:23], v[2:3], off nt
	global_load_dwordx4 v[12:15], v[4:5], off nt
	v_lshl_add_u64 v[2:3], v[64:65], 1, s[20:21]
	v_lshl_add_u64 v[0:1], v[0:1], 0, v[76:77]
	v_lshl_add_u64 v[4:5], v[2:3], 0, v[72:73]
	s_waitcnt vmcnt(2)
	v_lshl_add_u64 v[24:25], v[2:3], 0, v[74:75]
	global_load_dwordx4 v[16:19], v[0:1], off nt
	global_load_dwordx4 v[8:11], v[4:5], off nt
	v_lshl_add_u64 v[26:27], v[2:3], 0, v[76:77]
	global_load_dwordx4 v[4:7], v[24:25], off nt
	global_load_dwordx4 v[0:3], v[26:27], off nt
	s_mov_b32 s27, s26
	v_cmp_gt_u32_e32 vcc, s8, v80
	v_mov_b64_e32 v[46:47], s[26:27]
	v_mov_b32_e32 v43, 0
	v_mov_b32_e32 v42, 0
	;; [unrolled: 1-line block ×4, first 2 shown]
	v_mov_b64_e32 v[44:45], s[26:27]
	v_mov_b64_e32 v[50:51], s[26:27]
	;; [unrolled: 1-line block ×13, first 2 shown]
	s_and_saveexec_b64 s[4:5], vcc
	s_cbranch_execz .LBB105_23
; %bb.25:                               ;   in Loop: Header=BB105_24 Depth=2
	v_cmp_lt_u32_e32 vcc, s10, v80
                                        ; implicit-def: $vgpr38_vgpr39
	s_and_saveexec_b64 s[6:7], vcc
	s_xor_b64 s[6:7], exec, s[6:7]
	s_cbranch_execz .LBB105_27
; %bb.26:                               ;   in Loop: Header=BB105_24 Depth=2
	v_mov_b32_e32 v81, v65
	v_lshl_add_u64 v[24:25], v[80:81], 1, s[16:17]
	global_load_dwordx4 v[36:39], v[24:25], off
.LBB105_27:                             ;   in Loop: Header=BB105_24 Depth=2
	s_andn2_saveexec_b64 s[6:7], s[6:7]
	s_cbranch_execz .LBB105_29
; %bb.28:                               ;   in Loop: Header=BB105_24 Depth=2
	s_waitcnt vmcnt(0)
	ds_read_b128 v[36:39], v94
.LBB105_29:                             ;   in Loop: Header=BB105_24 Depth=2
	s_or_b64 exec, exec, s[6:7]
	v_add_u32_e32 v64, s30, v67
	v_cmp_lt_u32_e32 vcc, s10, v64
                                        ; implicit-def: $vgpr34_vgpr35
	s_and_saveexec_b64 s[6:7], vcc
	s_xor_b64 s[6:7], exec, s[6:7]
	s_cbranch_execz .LBB105_31
; %bb.30:                               ;   in Loop: Header=BB105_24 Depth=2
	v_lshl_add_u64 v[24:25], v[64:65], 1, s[16:17]
	global_load_dwordx4 v[32:35], v[24:25], off
.LBB105_31:                             ;   in Loop: Header=BB105_24 Depth=2
	s_andn2_saveexec_b64 s[6:7], s[6:7]
	s_cbranch_execz .LBB105_33
; %bb.32:                               ;   in Loop: Header=BB105_24 Depth=2
	v_add_u32_e32 v24, s42, v94
	s_waitcnt vmcnt(0)
	ds_read_b128 v[32:35], v24
.LBB105_33:                             ;   in Loop: Header=BB105_24 Depth=2
	s_or_b64 exec, exec, s[6:7]
	v_add_u32_e32 v82, s30, v84
	v_cmp_lt_u32_e32 vcc, s10, v82
                                        ; implicit-def: $vgpr30_vgpr31
	s_and_saveexec_b64 s[6:7], vcc
	s_xor_b64 s[6:7], exec, s[6:7]
	s_cbranch_execz .LBB105_35
; %bb.34:                               ;   in Loop: Header=BB105_24 Depth=2
	v_mov_b32_e32 v83, v65
	v_lshl_add_u64 v[24:25], v[82:83], 1, s[16:17]
	global_load_dwordx4 v[28:31], v[24:25], off
.LBB105_35:                             ;   in Loop: Header=BB105_24 Depth=2
	s_andn2_saveexec_b64 s[6:7], s[6:7]
	s_cbranch_execz .LBB105_37
; %bb.36:                               ;   in Loop: Header=BB105_24 Depth=2
	v_add_u32_e32 v24, s33, v94
	s_waitcnt vmcnt(0)
	ds_read2_b32 v[28:29], v24 offset1:1
	ds_read2_b32 v[30:31], v24 offset0:2 offset1:3
.LBB105_37:                             ;   in Loop: Header=BB105_24 Depth=2
	s_or_b64 exec, exec, s[6:7]
	v_add_u32_e32 v80, s30, v66
	v_cmp_lt_u32_e32 vcc, s10, v80
                                        ; implicit-def: $vgpr26_vgpr27
	s_and_saveexec_b64 s[6:7], vcc
	s_xor_b64 s[6:7], exec, s[6:7]
	s_cbranch_execz .LBB105_39
; %bb.38:                               ;   in Loop: Header=BB105_24 Depth=2
	v_mov_b32_e32 v81, v65
	v_lshl_add_u64 v[24:25], v[80:81], 1, s[16:17]
	global_load_dwordx4 v[24:27], v[24:25], off
.LBB105_39:                             ;   in Loop: Header=BB105_24 Depth=2
	s_andn2_saveexec_b64 s[6:7], s[6:7]
	s_cbranch_execz .LBB105_41
; %bb.40:                               ;   in Loop: Header=BB105_24 Depth=2
	s_waitcnt vmcnt(0)
	v_add_u32_e32 v24, s43, v94
	ds_read_b128 v[24:27], v24
.LBB105_41:                             ;   in Loop: Header=BB105_24 Depth=2
	s_or_b64 exec, exec, s[6:7]
	s_mov_b32 s27, s26
	v_cmp_gt_u32_e32 vcc, s8, v78
	v_mov_b32_e32 v43, 0
	v_mov_b64_e32 v[46:47], s[26:27]
	v_mov_b32_e32 v42, 0
	v_mov_b32_e32 v41, 0
	;; [unrolled: 1-line block ×3, first 2 shown]
	v_mov_b64_e32 v[44:45], s[26:27]
	v_mov_b64_e32 v[50:51], s[26:27]
	;; [unrolled: 1-line block ×5, first 2 shown]
	s_and_saveexec_b64 s[6:7], vcc
	s_cbranch_execz .LBB105_22
; %bb.42:                               ;   in Loop: Header=BB105_24 Depth=2
	v_cmp_lt_u32_e32 vcc, s10, v78
                                        ; implicit-def: $vgpr54_vgpr55
	s_and_saveexec_b64 s[28:29], vcc
	s_xor_b64 s[28:29], exec, s[28:29]
	s_cbranch_execz .LBB105_44
; %bb.43:                               ;   in Loop: Header=BB105_24 Depth=2
	v_mov_b32_e32 v79, v65
	v_lshl_add_u64 v[40:41], v[78:79], 1, s[16:17]
	global_load_dwordx4 v[52:55], v[40:41], off
.LBB105_44:                             ;   in Loop: Header=BB105_24 Depth=2
	s_andn2_saveexec_b64 s[28:29], s[28:29]
	s_cbranch_execz .LBB105_46
; %bb.45:                               ;   in Loop: Header=BB105_24 Depth=2
	s_waitcnt vmcnt(0)
	ds_read_b128 v[52:55], v94 offset:512
.LBB105_46:                             ;   in Loop: Header=BB105_24 Depth=2
	s_or_b64 exec, exec, s[28:29]
	v_add_u32_e32 v64, 0x100, v64
	v_cmp_lt_u32_e32 vcc, s10, v64
                                        ; implicit-def: $vgpr50_vgpr51
	s_and_saveexec_b64 s[28:29], vcc
	s_xor_b64 s[28:29], exec, s[28:29]
	s_cbranch_execz .LBB105_48
; %bb.47:                               ;   in Loop: Header=BB105_24 Depth=2
	v_lshl_add_u64 v[40:41], v[64:65], 1, s[16:17]
	global_load_dwordx4 v[48:51], v[40:41], off
.LBB105_48:                             ;   in Loop: Header=BB105_24 Depth=2
	s_andn2_saveexec_b64 s[28:29], s[28:29]
	s_cbranch_execz .LBB105_50
; %bb.49:                               ;   in Loop: Header=BB105_24 Depth=2
	v_add_u32_e32 v40, s42, v94
	s_waitcnt vmcnt(0)
	ds_read_b128 v[48:51], v40 offset:512
.LBB105_50:                             ;   in Loop: Header=BB105_24 Depth=2
	s_or_b64 exec, exec, s[28:29]
	v_add_u32_e32 v64, 0x100, v82
	v_cmp_lt_u32_e32 vcc, s10, v64
                                        ; implicit-def: $vgpr46_vgpr47
	s_and_saveexec_b64 s[28:29], vcc
	s_xor_b64 s[28:29], exec, s[28:29]
	s_cbranch_execz .LBB105_52
; %bb.51:                               ;   in Loop: Header=BB105_24 Depth=2
	v_lshl_add_u64 v[40:41], v[64:65], 1, s[16:17]
	global_load_dwordx4 v[44:47], v[40:41], off
.LBB105_52:                             ;   in Loop: Header=BB105_24 Depth=2
	s_andn2_saveexec_b64 s[28:29], s[28:29]
	s_cbranch_execz .LBB105_54
; %bb.53:                               ;   in Loop: Header=BB105_24 Depth=2
	v_add_u32_e32 v40, s33, v94
	s_waitcnt vmcnt(0)
	ds_read2_b32 v[44:45], v40 offset0:128 offset1:129
	ds_read2_b32 v[46:47], v40 offset0:130 offset1:131
.LBB105_54:                             ;   in Loop: Header=BB105_24 Depth=2
	s_or_b64 exec, exec, s[28:29]
	v_add_u32_e32 v64, 0x100, v80
	v_cmp_lt_u32_e32 vcc, s10, v64
                                        ; implicit-def: $vgpr43
	s_and_saveexec_b64 s[28:29], vcc
	s_xor_b64 s[28:29], exec, s[28:29]
	s_cbranch_execz .LBB105_56
; %bb.55:                               ;   in Loop: Header=BB105_24 Depth=2
	v_lshl_add_u64 v[40:41], v[64:65], 1, s[16:17]
	global_load_dwordx4 v[40:43], v[40:41], off
.LBB105_56:                             ;   in Loop: Header=BB105_24 Depth=2
	s_andn2_saveexec_b64 s[28:29], s[28:29]
	s_cbranch_execz .LBB105_21
; %bb.57:                               ;   in Loop: Header=BB105_24 Depth=2
	s_waitcnt vmcnt(0)
	v_add_u32_e32 v40, s43, v94
	ds_read_b128 v[40:43], v40 offset:512
	s_branch .LBB105_21
.LBB105_58:                             ;   in Loop: Header=BB105_19 Depth=1
	v_cvt_i32_f32_e32 v0, v93
	v_cvt_i32_f32_e32 v1, v92
	;; [unrolled: 1-line block ×4, first 2 shown]
	v_cvt_f32_i32_dpp v0, v0 row_shr:8 row_mask:0xf bank_mask:0xf bound_ctrl:1
	v_cvt_f32_i32_dpp v1, v1 row_shr:8 row_mask:0xf bank_mask:0xf bound_ctrl:1
	;; [unrolled: 1-line block ×4, first 2 shown]
	v_add_f32_e32 v0, v93, v0
	v_cvt_i32_f32_e32 v5, v0
	v_add_f32_e32 v1, v92, v1
	v_cvt_i32_f32_e32 v6, v1
	v_add_f32_e32 v7, v90, v3
	v_cvt_f32_i32_dpp v5, v5 row_shr:4 row_mask:0xf bank_mask:0xf bound_ctrl:1
	v_add_f32_e32 v2, v91, v2
	v_cvt_f32_i32_dpp v3, v6 row_shr:4 row_mask:0xf bank_mask:0xf bound_ctrl:1
	v_cvt_i32_f32_e32 v6, v2
	v_add_f32_e32 v0, v0, v5
	v_cvt_i32_f32_e32 v5, v0
	v_add_f32_e32 v1, v1, v3
	v_cvt_i32_f32_e32 v3, v1
	v_cvt_f32_i32_dpp v6, v6 row_shr:4 row_mask:0xf bank_mask:0xf bound_ctrl:1
	v_cvt_f32_i32_dpp v5, v5 row_shr:2 row_mask:0xf bank_mask:0xf bound_ctrl:1
	v_cvt_i32_f32_e32 v8, v7
	v_cvt_f32_i32_dpp v3, v3 row_shr:2 row_mask:0xf bank_mask:0xf bound_ctrl:1
	v_add_f32_e32 v2, v2, v6
	v_add_f32_e32 v0, v0, v5
	v_cvt_i32_f32_e32 v5, v0
	v_add_f32_e32 v1, v1, v3
	v_cvt_i32_f32_e32 v3, v1
	v_cvt_i32_f32_e32 v6, v2
	v_cvt_f32_i32_dpp v5, v5 row_shr:1 row_mask:0xf bank_mask:0xf bound_ctrl:1
	v_cvt_f32_i32_dpp v8, v8 row_shr:4 row_mask:0xf bank_mask:0xf bound_ctrl:1
	v_cvt_f32_i32_dpp v3, v3 row_shr:1 row_mask:0xf bank_mask:0xf bound_ctrl:1
	v_cvt_f32_i32_dpp v6, v6 row_shr:2 row_mask:0xf bank_mask:0xf bound_ctrl:1
	v_add_f32_e32 v0, v0, v5
	v_cvt_i32_f32_e32 v5, v0
	v_add_f32_e32 v1, v1, v3
	v_cvt_i32_f32_e32 v3, v1
	v_add_f32_e32 v2, v2, v6
	v_cvt_f32_i32_dpp v5, v5 row_bcast:15 row_mask:0xf bank_mask:0xf bound_ctrl:1
	v_cvt_i32_f32_e32 v4, v89
	v_cvt_f32_i32_dpp v9, v3 row_bcast:15 row_mask:0xf bank_mask:0xf bound_ctrl:1
	v_cvt_i32_f32_e32 v6, v2
	v_add_f32_e32 v3, v0, v5
	v_cvt_i32_f32_e32 v0, v3
	v_add_f32_e32 v7, v7, v8
	v_cvt_f32_i32_dpp v6, v6 row_shr:1 row_mask:0xf bank_mask:0xf bound_ctrl:1
	v_cvt_f32_i32_dpp v4, v4 row_shr:8 row_mask:0xf bank_mask:0xf bound_ctrl:1
	v_mov_b32_dpp v5, v0 row_bcast:31 row_mask:0xf bank_mask:0xf bound_ctrl:1
	v_cvt_i32_f32_e32 v0, v7
	v_add_f32_e32 v1, v1, v9
	v_add_f32_e32 v2, v2, v6
	;; [unrolled: 1-line block ×3, first 2 shown]
	v_cvt_f32_i32_dpp v0, v0 row_shr:2 row_mask:0xf bank_mask:0xf bound_ctrl:1
	v_cvt_i32_f32_e32 v6, v2
	v_cvt_i32_f32_e32 v4, v9
	;; [unrolled: 1-line block ×3, first 2 shown]
	v_add_f32_e32 v7, v7, v0
	v_cvt_i32_f32_e32 v0, v7
	v_cvt_f32_i32_dpp v6, v6 row_bcast:15 row_mask:0xf bank_mask:0xf bound_ctrl:1
	v_cvt_f32_i32_dpp v10, v4 row_shr:4 row_mask:0xf bank_mask:0xf bound_ctrl:1
	v_mov_b32_dpp v4, v8 row_bcast:31 row_mask:0xf bank_mask:0xf bound_ctrl:1
	v_cvt_f32_i32_dpp v8, v0 row_shr:1 row_mask:0xf bank_mask:0xf bound_ctrl:1
	v_add_f32_e32 v0, v2, v6
	v_add_f32_e32 v2, v9, v10
	v_cvt_i32_f32_e32 v6, v2
	v_add_f32_e32 v7, v7, v8
	v_cvt_i32_f32_e32 v8, v88
	v_cvt_i32_f32_e32 v9, v7
	v_cvt_f32_i32_dpp v6, v6 row_shr:2 row_mask:0xf bank_mask:0xf bound_ctrl:1
	v_cvt_i32_f32_e32 v10, v0
	v_cvt_f32_i32_dpp v8, v8 row_shr:8 row_mask:0xf bank_mask:0xf bound_ctrl:1
	v_cvt_f32_i32_dpp v9, v9 row_bcast:15 row_mask:0xf bank_mask:0xf bound_ctrl:1
	v_add_f32_e32 v11, v2, v6
	v_cvt_i32_f32_e32 v2, v11
	v_add_f32_e32 v8, v88, v8
	v_cvt_i32_f32_e32 v12, v8
	v_mov_b32_dpp v6, v10 row_bcast:31 row_mask:0xf bank_mask:0xf bound_ctrl:1
	v_cvt_f32_i32_dpp v10, v2 row_shr:1 row_mask:0xf bank_mask:0xf bound_ctrl:1
	v_add_f32_e32 v2, v7, v9
	v_cvt_f32_i32_dpp v7, v12 row_shr:4 row_mask:0xf bank_mask:0xf bound_ctrl:1
	v_cvt_i32_f32_e32 v9, v2
	v_add_f32_e32 v10, v11, v10
	v_cvt_i32_f32_e32 v11, v87
	v_add_f32_e32 v8, v8, v7
	v_cvt_i32_f32_e32 v12, v8
	v_cvt_i32_f32_e32 v13, v10
	v_cvt_f32_i32_dpp v11, v11 row_shr:8 row_mask:0xf bank_mask:0xf bound_ctrl:1
	v_mov_b32_dpp v7, v9 row_bcast:31 row_mask:0xf bank_mask:0xf bound_ctrl:1
	v_cvt_f32_i32_dpp v9, v12 row_shr:2 row_mask:0xf bank_mask:0xf bound_ctrl:1
	v_cvt_f32_i32_dpp v12, v13 row_bcast:15 row_mask:0xf bank_mask:0xf bound_ctrl:1
	v_add_f32_e32 v11, v87, v11
	v_cvt_i32_f32_e32 v13, v11
	v_cvt_i32_f32_e32 v14, v86
	v_add_f32_e32 v9, v8, v9
	v_add_f32_e32 v8, v10, v12
	v_cvt_f32_i32_dpp v13, v13 row_shr:4 row_mask:0xf bank_mask:0xf bound_ctrl:1
	v_cvt_f32_i32_dpp v10, v14 row_shr:8 row_mask:0xf bank_mask:0xf bound_ctrl:1
	v_cvt_i32_f32_e32 v15, v9
	v_add_f32_e32 v11, v11, v13
	v_cvt_i32_f32_e32 v13, v11
	v_add_f32_e32 v10, v86, v10
	v_cvt_f32_i32_dpp v12, v15 row_shr:1 row_mask:0xf bank_mask:0xf bound_ctrl:1
	v_cvt_i32_f32_e32 v14, v10
	v_cvt_f32_i32_dpp v13, v13 row_shr:2 row_mask:0xf bank_mask:0xf bound_ctrl:1
	v_cvt_i32_f32_e32 v15, v8
	v_add_f32_e32 v9, v9, v12
	v_cvt_f32_i32_dpp v12, v14 row_shr:4 row_mask:0xf bank_mask:0xf bound_ctrl:1
	v_add_f32_e32 v11, v11, v13
	v_cvt_i32_f32_e32 v13, v11
	v_cvt_i32_f32_e32 v14, v9
	v_add_f32_e32 v10, v10, v12
	v_cvt_i32_f32_e32 v12, v10
	v_cvt_f32_i32_dpp v13, v13 row_shr:1 row_mask:0xf bank_mask:0xf bound_ctrl:1
	v_cvt_f32_i32_dpp v16, v14 row_bcast:15 row_mask:0xf bank_mask:0xf bound_ctrl:1
	v_mov_b32_dpp v14, v15 row_bcast:31 row_mask:0xf bank_mask:0xf bound_ctrl:1
	v_cvt_f32_i32_dpp v12, v12 row_shr:2 row_mask:0xf bank_mask:0xf bound_ctrl:1
	v_add_f32_e32 v11, v11, v13
	v_cvt_i32_f32_e32 v13, v85
	v_cvt_i32_f32_e32 v15, v11
	v_add_f32_e32 v10, v10, v12
	v_cvt_i32_f32_e32 v12, v10
	v_cvt_f32_i32_dpp v13, v13 row_shr:8 row_mask:0xf bank_mask:0xf bound_ctrl:1
	v_cvt_f32_i32_dpp v15, v15 row_bcast:15 row_mask:0xf bank_mask:0xf bound_ctrl:1
	v_add_f32_e32 v9, v9, v16
	v_cvt_f32_i32_dpp v12, v12 row_shr:1 row_mask:0xf bank_mask:0xf bound_ctrl:1
	v_add_f32_e32 v13, v85, v13
	v_cvt_i32_f32_e32 v17, v13
	v_cvt_i32_f32_e32 v16, v9
	v_add_f32_e32 v12, v10, v12
	v_cvt_i32_f32_e32 v18, v12
	v_cvt_f32_i32_dpp v17, v17 row_shr:4 row_mask:0xf bank_mask:0xf bound_ctrl:1
	v_add_f32_e32 v10, v11, v15
	v_cvt_i32_f32_e32 v15, v71
	v_cvt_f32_i32_dpp v11, v18 row_bcast:15 row_mask:0xf bank_mask:0xf bound_ctrl:1
	v_add_f32_e32 v13, v13, v17
	v_cvt_i32_f32_e32 v17, v13
	v_cvt_f32_i32_dpp v15, v15 row_shr:8 row_mask:0xf bank_mask:0xf bound_ctrl:1
	v_add_f32_e32 v11, v12, v11
	v_cvt_i32_f32_e32 v18, v10
	v_cvt_f32_i32_dpp v12, v17 row_shr:2 row_mask:0xf bank_mask:0xf bound_ctrl:1
	v_add_f32_e32 v15, v71, v15
	v_cvt_i32_f32_e32 v19, v15
	v_cvt_i32_f32_e32 v17, v11
	v_add_f32_e32 v12, v13, v12
	v_cvt_i32_f32_e32 v20, v12
	v_cvt_f32_i32_dpp v19, v19 row_shr:4 row_mask:0xf bank_mask:0xf bound_ctrl:1
	v_mov_b32_dpp v13, v17 row_bcast:31 row_mask:0xf bank_mask:0xf bound_ctrl:1
	v_mov_b32_dpp v16, v16 row_bcast:31 row_mask:0xf bank_mask:0xf bound_ctrl:1
	v_cvt_f32_i32_dpp v17, v20 row_shr:1 row_mask:0xf bank_mask:0xf bound_ctrl:1
	v_cvt_i32_f32_e32 v20, v69
	v_add_f32_e32 v15, v15, v19
	v_cvt_i32_f32_e32 v19, v63
	v_add_f32_e32 v12, v12, v17
	v_cvt_f32_i32_dpp v20, v20 row_shr:8 row_mask:0xf bank_mask:0xf bound_ctrl:1
	v_cvt_i32_f32_e32 v21, v15
	v_cvt_f32_i32_dpp v17, v19 row_shr:8 row_mask:0xf bank_mask:0xf bound_ctrl:1
	v_cvt_i32_f32_e32 v23, v12
	v_add_f32_e32 v20, v69, v20
	v_cvt_f32_i32_dpp v19, v21 row_shr:2 row_mask:0xf bank_mask:0xf bound_ctrl:1
	v_add_f32_e32 v17, v63, v17
	v_cvt_i32_f32_e32 v21, v20
	v_cvt_i32_f32_e32 v22, v17
	v_add_f32_e32 v15, v15, v19
	v_cvt_f32_i32_dpp v23, v23 row_bcast:15 row_mask:0xf bank_mask:0xf bound_ctrl:1
	v_cvt_f32_i32_dpp v21, v21 row_shr:4 row_mask:0xf bank_mask:0xf bound_ctrl:1
	v_cvt_f32_i32_dpp v19, v22 row_shr:4 row_mask:0xf bank_mask:0xf bound_ctrl:1
	v_cvt_i32_f32_e32 v22, v15
	v_mov_b32_dpp v18, v18 row_bcast:31 row_mask:0xf bank_mask:0xf bound_ctrl:1
	v_add_f32_e32 v20, v20, v21
	v_add_f32_e32 v17, v17, v19
	v_cvt_i32_f32_e32 v21, v20
	v_cvt_i32_f32_e32 v19, v17
	v_cvt_f32_i32_dpp v22, v22 row_shr:1 row_mask:0xf bank_mask:0xf bound_ctrl:1
	v_cvt_f32_i32_dpp v21, v21 row_shr:2 row_mask:0xf bank_mask:0xf bound_ctrl:1
	;; [unrolled: 1-line block ×3, first 2 shown]
	v_add_f32_e32 v15, v15, v22
	v_cvt_i32_f32_e32 v22, v15
	v_add_f32_e32 v20, v20, v21
	v_add_f32_e32 v17, v17, v19
	v_cvt_i32_f32_e32 v21, v20
	v_cvt_i32_f32_e32 v19, v17
	s_waitcnt vmcnt(0)
	v_cvt_f32_i32_dpp v24, v21 row_shr:1 row_mask:0xf bank_mask:0xf bound_ctrl:1
	v_add_f32_e32 v21, v12, v23
	v_cvt_f32_i32_dpp v12, v19 row_shr:1 row_mask:0xf bank_mask:0xf bound_ctrl:1
	v_cvt_f32_i32_dpp v19, v22 row_bcast:15 row_mask:0xf bank_mask:0xf bound_ctrl:1
	v_add_f32_e32 v22, v20, v24
	v_cvt_i32_f32_e32 v20, v22
	v_add_f32_e32 v12, v17, v12
	v_cvt_i32_f32_e32 v17, v12
	v_cvt_i32_f32_e32 v23, v21
	v_cvt_f32_i32_dpp v24, v20 row_bcast:15 row_mask:0xf bank_mask:0xf bound_ctrl:1
	v_add_f32_e32 v20, v15, v19
	v_cvt_f32_i32_dpp v15, v17 row_bcast:15 row_mask:0xf bank_mask:0xf bound_ctrl:1
	v_cvt_i32_f32_e32 v19, v20
	v_add_f32_e32 v17, v22, v24
	v_cvt_i32_f32_e32 v24, v17
	v_add_f32_e32 v12, v12, v15
	v_cvt_i32_f32_e32 v15, v12
	v_mov_b32_dpp v23, v23 row_bcast:31 row_mask:0xf bank_mask:0xf bound_ctrl:1
	v_mov_b32_dpp v22, v19 row_bcast:31 row_mask:0xf bank_mask:0xf bound_ctrl:1
	;; [unrolled: 1-line block ×4, first 2 shown]
	s_and_saveexec_b64 s[28:29], s[0:1]
	s_cbranch_execz .LBB105_74
; %bb.59:                               ;   in Loop: Header=BB105_19 Depth=1
	s_andn2_b64 vcc, exec, s[24:25]
	v_mov_b32_e32 v35, 0
	v_mov_b32_e32 v34, 0
	;; [unrolled: 1-line block ×12, first 2 shown]
	s_cbranch_vccnz .LBB105_61
; %bb.60:                               ;   in Loop: Header=BB105_19 Depth=1
	v_mul_hi_u32 v24, v62, v59
	v_mul_lo_u32 v24, v24, s18
	v_sub_u32_e32 v24, v62, v24
	v_subrev_u32_e32 v25, s18, v24
	v_cmp_le_u32_e32 vcc, s18, v24
	v_mul_hi_u32 v26, v70, v59
	v_mul_lo_u32 v26, v26, s18
	v_cndmask_b32_e32 v24, v24, v25, vcc
	v_subrev_u32_e32 v25, s18, v24
	v_cmp_le_u32_e32 vcc, s18, v24
	v_sub_u32_e32 v26, v70, v26
	v_subrev_u32_e32 v27, s18, v26
	v_cndmask_b32_e32 v64, v24, v25, vcc
	v_cmp_le_u32_e32 vcc, s18, v26
	v_add_u32_e32 v30, s39, v64
	v_mov_b32_e32 v31, v65
	v_cndmask_b32_e32 v26, v26, v27, vcc
	v_subrev_u32_e32 v27, s18, v26
	v_cmp_le_u32_e32 vcc, s18, v26
	v_lshl_add_u64 v[40:41], v[30:31], 1, s[12:13]
	v_lshl_add_u64 v[24:25], v[64:65], 1, s[12:13]
	v_cndmask_b32_e32 v26, v26, v27, vcc
	v_mov_b32_e32 v27, v65
	v_lshl_add_u64 v[36:37], v[26:27], 1, s[12:13]
	v_mul_hi_u32 v27, v68, v59
	v_mul_lo_u32 v27, v27, s18
	v_sub_u32_e32 v27, v68, v27
	v_subrev_u32_e32 v28, s18, v27
	v_cmp_le_u32_e32 vcc, s18, v27
	v_add_u32_e32 v30, s39, v26
	v_lshl_add_u64 v[42:43], v[30:31], 1, s[12:13]
	v_cndmask_b32_e32 v27, v27, v28, vcc
	v_subrev_u32_e32 v28, s18, v27
	v_cmp_le_u32_e32 vcc, s18, v27
	v_mov_b32_e32 v29, v65
	s_nop 0
	v_cndmask_b32_e32 v28, v27, v28, vcc
	v_add_u32_e32 v30, s39, v28
	v_lshl_add_u64 v[44:45], v[30:31], 1, s[12:13]
	v_add_u32_e32 v30, s40, v64
	v_lshl_add_u64 v[46:47], v[30:31], 1, s[12:13]
	;; [unrolled: 2-line block ×3, first 2 shown]
	v_lshl_add_u64 v[48:49], v[30:31], 1, s[12:13]
	global_load_ushort v35, v[24:25], off
	global_load_ushort v34, v[36:37], off
	;; [unrolled: 1-line block ×8, first 2 shown]
	v_add_u32_e32 v64, s41, v64
	v_add_u32_e32 v24, s40, v28
	v_mov_b32_e32 v25, v65
	v_lshl_add_u64 v[38:39], v[64:65], 1, s[12:13]
	v_add_u32_e32 v64, s41, v26
	v_lshl_add_u64 v[36:37], v[24:25], 1, s[12:13]
	v_lshl_add_u64 v[40:41], v[64:65], 1, s[12:13]
	v_add_u32_e32 v64, s41, v28
	v_lshl_add_u64 v[42:43], v[64:65], 1, s[12:13]
	global_load_ushort v28, v[36:37], off
	global_load_ushort v26, v[38:39], off
	;; [unrolled: 1-line block ×4, first 2 shown]
.LBB105_61:                             ;   in Loop: Header=BB105_19 Depth=1
	v_cmp_ne_u32_e32 vcc, 0, v56
	s_and_saveexec_b64 s[4:5], vcc
	s_cbranch_execnz .LBB105_79
; %bb.62:                               ;   in Loop: Header=BB105_19 Depth=1
	s_or_b64 exec, exec, s[4:5]
	v_cmp_ne_u32_e64 s[4:5], 0, v57
	s_and_saveexec_b64 s[6:7], s[4:5]
	s_cbranch_execnz .LBB105_80
.LBB105_63:                             ;   in Loop: Header=BB105_19 Depth=1
	s_or_b64 exec, exec, s[6:7]
	v_cmp_ne_u32_e64 s[6:7], 0, v58
	s_and_saveexec_b64 s[30:31], s[6:7]
	s_cbranch_execnz .LBB105_81
.LBB105_64:                             ;   in Loop: Header=BB105_19 Depth=1
	s_or_b64 exec, exec, s[30:31]
	v_add_u32_e32 v64, s11, v62
	s_and_saveexec_b64 s[30:31], vcc
	s_cbranch_execnz .LBB105_82
.LBB105_65:                             ;   in Loop: Header=BB105_19 Depth=1
	s_or_b64 exec, exec, s[30:31]
	s_and_saveexec_b64 s[30:31], s[4:5]
	s_cbranch_execnz .LBB105_83
.LBB105_66:                             ;   in Loop: Header=BB105_19 Depth=1
	s_or_b64 exec, exec, s[30:31]
	s_and_saveexec_b64 s[30:31], s[6:7]
	s_cbranch_execnz .LBB105_84
.LBB105_67:                             ;   in Loop: Header=BB105_19 Depth=1
	s_or_b64 exec, exec, s[30:31]
	v_add_u32_e32 v64, s11, v64
	s_and_saveexec_b64 s[30:31], vcc
	s_cbranch_execnz .LBB105_85
.LBB105_68:                             ;   in Loop: Header=BB105_19 Depth=1
	s_or_b64 exec, exec, s[30:31]
	s_and_saveexec_b64 s[30:31], s[4:5]
	s_cbranch_execnz .LBB105_86
.LBB105_69:                             ;   in Loop: Header=BB105_19 Depth=1
	s_or_b64 exec, exec, s[30:31]
	s_and_saveexec_b64 s[30:31], s[6:7]
	s_cbranch_execnz .LBB105_87
.LBB105_70:                             ;   in Loop: Header=BB105_19 Depth=1
	s_or_b64 exec, exec, s[30:31]
	v_add_u32_e32 v64, s11, v64
	s_and_saveexec_b64 s[30:31], vcc
	s_cbranch_execnz .LBB105_88
.LBB105_71:                             ;   in Loop: Header=BB105_19 Depth=1
	s_or_b64 exec, exec, s[30:31]
	s_and_saveexec_b64 s[30:31], s[4:5]
	s_cbranch_execnz .LBB105_89
.LBB105_72:                             ;   in Loop: Header=BB105_19 Depth=1
	s_or_b64 exec, exec, s[30:31]
	s_and_b64 exec, exec, s[6:7]
	s_cbranch_execz .LBB105_74
.LBB105_73:                             ;   in Loop: Header=BB105_19 Depth=1
	v_cvt_f32_i32_e32 v0, v15
	s_waitcnt vmcnt(0)
	v_cvt_f32_f16_e32 v1, v24
	v_add_u32_e32 v64, 2, v64
	v_add_f32_e32 v0, v12, v0
	v_add_f32_e32 v0, v0, v1
	v_cvt_f16_f32_e32 v2, v0
	v_lshl_add_u64 v[0:1], v[64:65], 1, s[14:15]
	global_store_short v[0:1], v2, off
.LBB105_74:                             ;   in Loop: Header=BB105_19 Depth=1
	s_or_b64 exec, exec, s[28:29]
	v_add_u32_e32 v62, s38, v62
	v_add_u32_e32 v0, 3, v62
	v_cmp_gt_u32_e32 vcc, s11, v62
	v_cmp_le_u32_e64 s[4:5], s11, v0
	s_and_b64 s[4:5], vcc, s[4:5]
	s_and_saveexec_b64 s[6:7], s[4:5]
	s_cbranch_execz .LBB105_18
; %bb.75:                               ;   in Loop: Header=BB105_19 Depth=1
	v_cmp_ne_u32_e32 vcc, s19, v62
	s_and_saveexec_b64 s[28:29], vcc
	s_cbranch_execz .LBB105_17
; %bb.76:                               ;   in Loop: Header=BB105_19 Depth=1
	v_subrev_u32_e32 v0, s19, v62
	v_cmp_lt_u32_e32 vcc, 1, v0
	s_mov_b64 s[30:31], 0
	s_mov_b64 s[34:35], 0
	v_cndmask_b32_e32 v0, 1, v0, vcc
.LBB105_77:                             ;   Parent Loop BB105_19 Depth=1
                                        ; =>  This Inner Loop Header: Depth=2
	s_cmp_lg_u32 s34, 2
	s_cselect_b64 vcc, -1, 0
	s_cmp_lg_u32 s34, 1
	v_cndmask_b32_e32 v58, 0, v58, vcc
	s_cselect_b64 vcc, -1, 0
	s_cmp_lg_u32 s34, 0
	v_cndmask_b32_e32 v57, 0, v57, vcc
	s_cselect_b64 vcc, -1, 0
	s_add_u32 s34, s34, 1
	s_addc_u32 s35, s35, 0
	v_cmp_eq_u32_e64 s[4:5], s34, v0
	s_or_b64 s[30:31], s[4:5], s[30:31]
	v_cndmask_b32_e32 v56, 0, v56, vcc
	s_andn2_b64 exec, exec, s[30:31]
	s_cbranch_execnz .LBB105_77
; %bb.78:                               ;   in Loop: Header=BB105_19 Depth=1
	s_or_b64 exec, exec, s[30:31]
	s_branch .LBB105_17
.LBB105_79:                             ;   in Loop: Header=BB105_19 Depth=1
	v_cvt_f32_i32_e32 v5, v5
	s_waitcnt vmcnt(11)
	v_cvt_f32_f16_e32 v35, v35
	v_mov_b32_e32 v63, v65
	v_lshl_add_u64 v[36:37], v[62:63], 1, s[14:15]
	v_add_f32_e32 v3, v3, v5
	v_add_f32_e32 v3, v3, v35
	v_cvt_f16_f32_e32 v3, v3
	global_store_short v[36:37], v3, off
	s_or_b64 exec, exec, s[4:5]
	v_cmp_ne_u32_e64 s[4:5], 0, v57
	s_and_saveexec_b64 s[6:7], s[4:5]
	s_cbranch_execz .LBB105_63
.LBB105_80:                             ;   in Loop: Header=BB105_19 Depth=1
	v_cvt_f32_i32_e32 v3, v4
	s_waitcnt vmcnt(10)
	v_cvt_f32_f16_e32 v4, v34
	v_mov_b32_e32 v71, v65
	v_add_f32_e32 v1, v1, v3
	v_add_f32_e32 v1, v1, v4
	v_cvt_f16_f32_e32 v1, v1
	v_lshl_add_u64 v[4:5], v[70:71], 1, s[14:15]
	global_store_short v[4:5], v1, off
	s_or_b64 exec, exec, s[6:7]
	v_cmp_ne_u32_e64 s[6:7], 0, v58
	s_and_saveexec_b64 s[30:31], s[6:7]
	s_cbranch_execz .LBB105_64
.LBB105_81:                             ;   in Loop: Header=BB105_19 Depth=1
	v_cvt_f32_i32_e32 v1, v6
	s_waitcnt vmcnt(9)
	v_cvt_f32_f16_e32 v3, v33
	v_mov_b32_e32 v69, v65
	v_add_f32_e32 v0, v0, v1
	v_add_f32_e32 v0, v0, v3
	v_cvt_f16_f32_e32 v3, v0
	v_lshl_add_u64 v[0:1], v[68:69], 1, s[14:15]
	global_store_short v[0:1], v3, off
	s_or_b64 exec, exec, s[30:31]
	v_add_u32_e32 v64, s11, v62
	s_and_saveexec_b64 s[30:31], vcc
	s_cbranch_execz .LBB105_65
.LBB105_82:                             ;   in Loop: Header=BB105_19 Depth=1
	v_cvt_f32_i32_e32 v0, v7
	s_waitcnt vmcnt(8)
	v_cvt_f32_f16_e32 v1, v32
	v_add_f32_e32 v0, v2, v0
	v_add_f32_e32 v0, v0, v1
	v_cvt_f16_f32_e32 v2, v0
	v_lshl_add_u64 v[0:1], v[64:65], 1, s[14:15]
	global_store_short v[0:1], v2, off
	s_or_b64 exec, exec, s[30:31]
	s_and_saveexec_b64 s[30:31], s[4:5]
	s_cbranch_execz .LBB105_66
.LBB105_83:                             ;   in Loop: Header=BB105_19 Depth=1
	v_cvt_f32_i32_e32 v0, v14
	s_waitcnt vmcnt(7)
	v_cvt_f32_f16_e32 v1, v31
	v_add_f32_e32 v0, v8, v0
	v_add_f32_e32 v0, v0, v1
	v_cvt_f16_f32_e32 v2, v0
	v_add_u32_e32 v0, 1, v64
	v_mov_b32_e32 v1, v65
	v_lshl_add_u64 v[0:1], v[0:1], 1, s[14:15]
	global_store_short v[0:1], v2, off
	s_or_b64 exec, exec, s[30:31]
	s_and_saveexec_b64 s[30:31], s[6:7]
	s_cbranch_execz .LBB105_67
.LBB105_84:                             ;   in Loop: Header=BB105_19 Depth=1
	v_cvt_f32_i32_e32 v0, v16
	s_waitcnt vmcnt(6)
	v_cvt_f32_f16_e32 v1, v30
	v_add_f32_e32 v0, v9, v0
	v_add_f32_e32 v0, v0, v1
	v_cvt_f16_f32_e32 v2, v0
	v_add_u32_e32 v0, 2, v64
	v_mov_b32_e32 v1, v65
	v_lshl_add_u64 v[0:1], v[0:1], 1, s[14:15]
	global_store_short v[0:1], v2, off
	s_or_b64 exec, exec, s[30:31]
	v_add_u32_e32 v64, s11, v64
	s_and_saveexec_b64 s[30:31], vcc
	s_cbranch_execz .LBB105_68
.LBB105_85:                             ;   in Loop: Header=BB105_19 Depth=1
	v_cvt_f32_i32_e32 v0, v18
	s_waitcnt vmcnt(5)
	v_cvt_f32_f16_e32 v1, v29
	v_add_f32_e32 v0, v10, v0
	v_add_f32_e32 v0, v0, v1
	v_cvt_f16_f32_e32 v2, v0
	v_lshl_add_u64 v[0:1], v[64:65], 1, s[14:15]
	global_store_short v[0:1], v2, off
	s_or_b64 exec, exec, s[30:31]
	s_and_saveexec_b64 s[30:31], s[4:5]
	s_cbranch_execz .LBB105_69
.LBB105_86:                             ;   in Loop: Header=BB105_19 Depth=1
	v_cvt_f32_i32_e32 v0, v13
	s_waitcnt vmcnt(4)
	v_cvt_f32_f16_e32 v1, v27
	v_add_f32_e32 v0, v11, v0
	v_add_f32_e32 v0, v0, v1
	v_cvt_f16_f32_e32 v2, v0
	v_add_u32_e32 v0, 1, v64
	v_mov_b32_e32 v1, v65
	v_lshl_add_u64 v[0:1], v[0:1], 1, s[14:15]
	global_store_short v[0:1], v2, off
	s_or_b64 exec, exec, s[30:31]
	s_and_saveexec_b64 s[30:31], s[6:7]
	s_cbranch_execz .LBB105_70
.LBB105_87:                             ;   in Loop: Header=BB105_19 Depth=1
	v_cvt_f32_i32_e32 v0, v23
	s_waitcnt vmcnt(3)
	v_cvt_f32_f16_e32 v1, v28
	v_add_f32_e32 v0, v21, v0
	v_add_f32_e32 v0, v0, v1
	v_cvt_f16_f32_e32 v2, v0
	v_add_u32_e32 v0, 2, v64
	v_mov_b32_e32 v1, v65
	v_lshl_add_u64 v[0:1], v[0:1], 1, s[14:15]
	global_store_short v[0:1], v2, off
	s_or_b64 exec, exec, s[30:31]
	v_add_u32_e32 v64, s11, v64
	s_and_saveexec_b64 s[30:31], vcc
	s_cbranch_execz .LBB105_71
.LBB105_88:                             ;   in Loop: Header=BB105_19 Depth=1
	v_cvt_f32_i32_e32 v0, v22
	s_waitcnt vmcnt(2)
	v_cvt_f32_f16_e32 v1, v26
	v_add_f32_e32 v0, v20, v0
	v_add_f32_e32 v0, v0, v1
	v_cvt_f16_f32_e32 v2, v0
	v_lshl_add_u64 v[0:1], v[64:65], 1, s[14:15]
	global_store_short v[0:1], v2, off
	s_or_b64 exec, exec, s[30:31]
	s_and_saveexec_b64 s[30:31], s[4:5]
	s_cbranch_execz .LBB105_72
.LBB105_89:                             ;   in Loop: Header=BB105_19 Depth=1
	v_cvt_f32_i32_e32 v0, v19
	s_waitcnt vmcnt(1)
	v_cvt_f32_f16_e32 v1, v25
	v_add_f32_e32 v0, v17, v0
	v_add_f32_e32 v0, v0, v1
	v_cvt_f16_f32_e32 v2, v0
	v_add_u32_e32 v0, 1, v64
	v_mov_b32_e32 v1, v65
	v_lshl_add_u64 v[0:1], v[0:1], 1, s[14:15]
	global_store_short v[0:1], v2, off
	s_or_b64 exec, exec, s[30:31]
	s_and_b64 exec, exec, s[6:7]
	s_cbranch_execnz .LBB105_73
	s_branch .LBB105_74
.LBB105_90:
	s_endpgm
	.section	.rodata,"a",@progbits
	.p2align	6, 0x0
	.amdhsa_kernel _Z12wvSplitK_hf_I6__halfLi32ELi3ELi16ELi8ELi2ELi4EEviiiiiiPKT_S3_S3_PS1_ii
		.amdhsa_group_segment_fixed_size 65536
		.amdhsa_private_segment_fixed_size 0
		.amdhsa_kernarg_size 64
		.amdhsa_user_sgpr_count 2
		.amdhsa_user_sgpr_dispatch_ptr 0
		.amdhsa_user_sgpr_queue_ptr 0
		.amdhsa_user_sgpr_kernarg_segment_ptr 1
		.amdhsa_user_sgpr_dispatch_id 0
		.amdhsa_user_sgpr_kernarg_preload_length 0
		.amdhsa_user_sgpr_kernarg_preload_offset 0
		.amdhsa_user_sgpr_private_segment_size 0
		.amdhsa_uses_dynamic_stack 0
		.amdhsa_enable_private_segment 0
		.amdhsa_system_sgpr_workgroup_id_x 1
		.amdhsa_system_sgpr_workgroup_id_y 0
		.amdhsa_system_sgpr_workgroup_id_z 0
		.amdhsa_system_sgpr_workgroup_info 0
		.amdhsa_system_vgpr_workitem_id 1
		.amdhsa_next_free_vgpr 95
		.amdhsa_next_free_sgpr 44
		.amdhsa_accum_offset 96
		.amdhsa_reserve_vcc 1
		.amdhsa_float_round_mode_32 0
		.amdhsa_float_round_mode_16_64 0
		.amdhsa_float_denorm_mode_32 3
		.amdhsa_float_denorm_mode_16_64 3
		.amdhsa_dx10_clamp 1
		.amdhsa_ieee_mode 1
		.amdhsa_fp16_overflow 0
		.amdhsa_tg_split 0
		.amdhsa_exception_fp_ieee_invalid_op 0
		.amdhsa_exception_fp_denorm_src 0
		.amdhsa_exception_fp_ieee_div_zero 0
		.amdhsa_exception_fp_ieee_overflow 0
		.amdhsa_exception_fp_ieee_underflow 0
		.amdhsa_exception_fp_ieee_inexact 0
		.amdhsa_exception_int_div_zero 0
	.end_amdhsa_kernel
	.section	.text._Z12wvSplitK_hf_I6__halfLi32ELi3ELi16ELi8ELi2ELi4EEviiiiiiPKT_S3_S3_PS1_ii,"axG",@progbits,_Z12wvSplitK_hf_I6__halfLi32ELi3ELi16ELi8ELi2ELi4EEviiiiiiPKT_S3_S3_PS1_ii,comdat
.Lfunc_end105:
	.size	_Z12wvSplitK_hf_I6__halfLi32ELi3ELi16ELi8ELi2ELi4EEviiiiiiPKT_S3_S3_PS1_ii, .Lfunc_end105-_Z12wvSplitK_hf_I6__halfLi32ELi3ELi16ELi8ELi2ELi4EEviiiiiiPKT_S3_S3_PS1_ii
                                        ; -- End function
	.section	.AMDGPU.csdata,"",@progbits
; Kernel info:
; codeLenInByte = 5536
; NumSgprs: 50
; NumVgprs: 95
; NumAgprs: 0
; TotalNumVgprs: 95
; ScratchSize: 0
; MemoryBound: 1
; FloatMode: 240
; IeeeMode: 1
; LDSByteSize: 65536 bytes/workgroup (compile time only)
; SGPRBlocks: 6
; VGPRBlocks: 11
; NumSGPRsForWavesPerEU: 50
; NumVGPRsForWavesPerEU: 95
; AccumOffset: 96
; Occupancy: 2
; WaveLimiterHint : 0
; COMPUTE_PGM_RSRC2:SCRATCH_EN: 0
; COMPUTE_PGM_RSRC2:USER_SGPR: 2
; COMPUTE_PGM_RSRC2:TRAP_HANDLER: 0
; COMPUTE_PGM_RSRC2:TGID_X_EN: 1
; COMPUTE_PGM_RSRC2:TGID_Y_EN: 0
; COMPUTE_PGM_RSRC2:TGID_Z_EN: 0
; COMPUTE_PGM_RSRC2:TIDIG_COMP_CNT: 1
; COMPUTE_PGM_RSRC3_GFX90A:ACCUM_OFFSET: 23
; COMPUTE_PGM_RSRC3_GFX90A:TG_SPLIT: 0
	.section	.text._Z16wvSplitK_hf_big_I6__halfLi32ELi3ELi16ELi8ELi2ELi4EEviiiiiiPKT_S3_S3_PS1_ii,"axG",@progbits,_Z16wvSplitK_hf_big_I6__halfLi32ELi3ELi16ELi8ELi2ELi4EEviiiiiiPKT_S3_S3_PS1_ii,comdat
	.protected	_Z16wvSplitK_hf_big_I6__halfLi32ELi3ELi16ELi8ELi2ELi4EEviiiiiiPKT_S3_S3_PS1_ii ; -- Begin function _Z16wvSplitK_hf_big_I6__halfLi32ELi3ELi16ELi8ELi2ELi4EEviiiiiiPKT_S3_S3_PS1_ii
	.globl	_Z16wvSplitK_hf_big_I6__halfLi32ELi3ELi16ELi8ELi2ELi4EEviiiiiiPKT_S3_S3_PS1_ii
	.p2align	8
	.type	_Z16wvSplitK_hf_big_I6__halfLi32ELi3ELi16ELi8ELi2ELi4EEviiiiiiPKT_S3_S3_PS1_ii,@function
_Z16wvSplitK_hf_big_I6__halfLi32ELi3ELi16ELi8ELi2ELi4EEviiiiiiPKT_S3_S3_PS1_ii: ; @_Z16wvSplitK_hf_big_I6__halfLi32ELi3ELi16ELi8ELi2ELi4EEviiiiiiPKT_S3_S3_PS1_ii
; %bb.0:
	s_load_dwordx2 s[8:9], s[0:1], 0x38
	v_bfe_u32 v1, v0, 10, 10
	s_waitcnt lgkmcnt(0)
	v_cmp_gt_u32_e32 vcc, s8, v1
	s_and_saveexec_b64 s[4:5], vcc
	s_cbranch_execz .LBB106_64
; %bb.1:
	s_load_dwordx4 s[20:23], s[0:1], 0x0
	s_mul_i32 s2, s2, s8
	v_add_u32_e32 v2, s2, v1
	v_lshl_add_u32 v60, v2, 1, v2
	s_mov_b32 s4, 1
	v_add_u32_e32 v2, 3, v60
	s_mov_b32 s6, s4
	s_waitcnt lgkmcnt(0)
	v_cmp_gt_u32_e32 vcc, s23, v60
	v_cmp_le_u32_e64 s[2:3], s23, v2
	s_mov_b32 s5, s4
	v_mov_b32_e32 v58, s6
	s_and_b64 s[10:11], vcc, s[2:3]
	v_mov_b32_e32 v57, s5
	v_mov_b32_e32 v56, s4
	s_and_saveexec_b64 s[2:3], s[10:11]
	s_cbranch_execz .LBB106_7
; %bb.2:
	s_add_i32 s7, s23, -3
	v_mov_b32_e32 v58, s6
	v_cmp_ne_u32_e32 vcc, s7, v60
	v_mov_b32_e32 v57, s5
	v_mov_b32_e32 v56, s4
	s_and_saveexec_b64 s[10:11], vcc
	s_cbranch_execz .LBB106_6
; %bb.3:
	v_subrev_u32_e32 v2, s7, v60
	v_cmp_lt_u32_e32 vcc, 1, v2
	s_mov_b64 s[12:13], 0
	s_mov_b64 s[14:15], 0
	v_cndmask_b32_e32 v2, 1, v2, vcc
	s_mov_b32 s5, s4
	s_mov_b32 s6, s4
.LBB106_4:                              ; =>This Inner Loop Header: Depth=1
	s_cmp_lg_u32 s14, 2
	s_cselect_b32 s6, s6, 0
	s_cmp_lg_u32 s14, 1
	s_cselect_b32 s5, s5, 0
	;; [unrolled: 2-line block ×3, first 2 shown]
	s_add_u32 s14, s14, 1
	s_addc_u32 s15, s15, 0
	v_cmp_eq_u32_e32 vcc, s14, v2
	v_mov_b32_e32 v58, s6
	s_or_b64 s[12:13], vcc, s[12:13]
	v_mov_b32_e32 v57, s5
	v_mov_b32_e32 v56, s4
	s_andn2_b64 exec, exec, s[12:13]
	s_cbranch_execnz .LBB106_4
; %bb.5:
	s_or_b64 exec, exec, s[12:13]
	v_mov_b32_e32 v60, s7
.LBB106_6:
	s_or_b64 exec, exec, s[10:11]
.LBB106_7:
	s_or_b64 exec, exec, s[2:3]
	s_mul_i32 s44, s8, 3
	s_abs_i32 s2, s44
	v_cvt_f32_u32_e32 v2, s2
	s_sub_i32 s5, 0, s2
	s_abs_i32 s4, s23
	s_ashr_i32 s3, s23, 31
	v_rcp_iflag_f32_e32 v2, v2
	s_nop 0
	v_mul_f32_e32 v2, 0x4f7ffffe, v2
	v_cvt_u32_f32_e32 v2, v2
	s_nop 0
	v_readfirstlane_b32 s6, v2
	s_mul_i32 s5, s5, s6
	s_mul_hi_u32 s5, s6, s5
	s_add_i32 s6, s6, s5
	s_mul_hi_u32 s5, s4, s6
	s_mul_i32 s5, s5, s2
	s_sub_i32 s4, s4, s5
	s_sub_i32 s5, s4, s2
	s_cmp_ge_u32 s4, s2
	s_cselect_b32 s4, s5, s4
	s_sub_i32 s5, s4, s2
	s_cmp_ge_u32 s4, s2
	s_cselect_b32 s2, s5, s4
	s_xor_b32 s2, s2, s3
	s_sub_i32 s2, s2, s3
	s_add_i32 s3, s44, s23
	s_sub_i32 s3, s3, s2
	s_cmp_eq_u32 s2, 0
	s_cselect_b32 s33, s23, s3
	v_cmp_gt_u32_e32 vcc, s33, v60
	s_and_b64 exec, exec, vcc
	s_cbranch_execz .LBB106_64
; %bb.8:
	s_load_dwordx8 s[12:19], s[0:1], 0x10
	s_min_u32 s40, s22, 0x2000
	s_cmp_lg_u32 s20, 0
	s_cselect_b64 s[2:3], -1, 0
	s_cmp_lg_u32 s22, 0
	s_cselect_b64 s[4:5], -1, 0
	s_lshl_b32 s41, s8, 8
	s_add_i32 s42, s20, -8
	s_add_i32 s43, s23, -1
	s_waitcnt lgkmcnt(0)
	s_cmp_lg_u64 s[18:19], 0
	s_cselect_b64 s[26:27], -1, 0
	s_abs_i32 s6, s13
	v_cvt_f32_u32_e32 v2, s12
	v_cvt_f32_u32_e32 v3, s6
	s_sub_i32 s7, 0, s12
	s_mul_i32 s44, s44, s9
	v_rcp_iflag_f32_e32 v2, v2
	v_rcp_iflag_f32_e32 v3, v3
	s_add_i32 s13, s23, -3
	s_load_dwordx2 s[10:11], s[0:1], 0x30
	v_mul_f32_e32 v2, 0x4f7ffffe, v2
	v_mul_f32_e32 v3, 0x4f7ffffe, v3
	v_cvt_u32_f32_e32 v2, v2
	v_cvt_u32_f32_e32 v3, v3
	v_and_b32_e32 v0, 0x3ff, v0
	v_lshlrev_b32_e32 v59, 3, v0
	v_mul_lo_u32 v4, s7, v2
	s_sub_i32 s7, 0, s6
	v_readfirstlane_b32 s9, v3
	s_mul_i32 s7, s7, s9
	s_mul_hi_u32 s7, s9, s7
	s_add_i32 s9, s9, s7
	s_sub_i32 s7, 1, s6
	s_cmp_lt_u32 s6, 2
	s_cselect_b32 s7, s7, 1
	s_sub_i32 s28, s7, s6
	s_cmp_ge_u32 s7, s6
	s_cselect_b32 s45, s28, s7
	s_lshr_b32 s7, s9, 31
	s_mul_i32 s7, s7, s6
	s_sub_i32 s7, 2, s7
	s_sub_i32 s28, s7, s6
	s_cmp_ge_u32 s7, s6
	s_cselect_b32 s7, s28, s7
	s_sub_i32 s28, s7, s6
	s_cmp_ge_u32 s7, s6
	s_cselect_b32 s46, s28, s7
	s_mul_hi_u32 s7, s9, 3
	s_mul_i32 s7, s7, s6
	s_sub_i32 s7, 3, s7
	s_sub_i32 s9, s7, s6
	s_cmp_ge_u32 s7, s6
	s_cselect_b32 s7, s9, s7
	v_cmp_eq_u32_e64 s[0:1], 31, v0
	v_mul_hi_u32 v4, v2, v4
	s_sub_i32 s9, s7, s6
	v_lshlrev_b32_e32 v0, 4, v0
	v_add_u32_e32 v65, v2, v4
	s_cmp_ge_u32 s7, s6
	v_lshl_add_u32 v74, v1, 9, v0
	v_lshl_add_u32 v64, v1, 8, v59
	v_cndmask_b32_e64 v0, 0, 1, s[2:3]
	s_cselect_b32 s47, s9, s7
	s_waitcnt lgkmcnt(0)
	s_add_u32 s28, s10, 2
	v_mad_u64_u32 v[66:67], s[6:7], s22, 3, v[64:65]
	v_cmp_ne_u32_e64 s[2:3], 1, v0
	v_cndmask_b32_e64 v0, 0, 1, s[4:5]
	s_mov_b64 s[24:25], 0
	v_mov_b32_e32 v63, 0
	s_mul_i32 s45, s45, s12
	s_mul_i32 s46, s46, s12
	;; [unrolled: 1-line block ×3, first 2 shown]
	s_addc_u32 s29, s11, 0
	s_mul_i32 s48, s40, 6
	s_lshl_b32 s49, s8, 9
	s_lshl_b32 s50, s40, 2
	;; [unrolled: 1-line block ×3, first 2 shown]
	v_lshl_add_u32 v75, s22, 1, v64
	v_add_u32_e32 v67, s22, v64
	v_cmp_ne_u32_e64 s[4:5], 1, v0
	s_branch .LBB106_12
.LBB106_9:                              ;   in Loop: Header=BB106_12 Depth=1
	s_or_b64 exec, exec, s[34:35]
	v_mov_b32_e32 v60, s13
.LBB106_10:                             ;   in Loop: Header=BB106_12 Depth=1
	s_or_b64 exec, exec, s[8:9]
.LBB106_11:                             ;   in Loop: Header=BB106_12 Depth=1
	s_or_b64 exec, exec, s[30:31]
	v_cmp_le_u32_e32 vcc, s33, v60
	s_or_b64 s[24:25], vcc, s[24:25]
	s_andn2_b64 exec, exec, s[24:25]
	s_cbranch_execz .LBB106_64
.LBB106_12:                             ; =>This Loop Header: Depth=1
                                        ;     Child Loop BB106_17 Depth 2
                                        ;       Child Loop BB106_22 Depth 3
                                        ;     Child Loop BB106_51 Depth 2
	s_mov_b32 s36, 0
	s_and_b64 vcc, exec, s[2:3]
	v_mov_b32_e32 v86, v63
	v_mov_b32_e32 v85, v63
	;; [unrolled: 1-line block ×12, first 2 shown]
	s_cbranch_vccnz .LBB106_29
; %bb.13:                               ;   in Loop: Header=BB106_12 Depth=1
	v_min_u32_e32 v0, s43, v60
	v_mul_lo_u32 v62, v0, s21
	v_add_u32_e32 v0, 1, v60
	v_add_u32_e32 v2, 2, v60
	v_min_u32_e32 v0, s43, v0
	v_min_u32_e32 v2, s43, v2
	v_mul_lo_u32 v0, v0, s21
	v_mov_b32_e32 v1, v63
	v_mul_lo_u32 v2, v2, s21
	v_mov_b32_e32 v3, v63
	v_cmp_gt_u32_e64 s[6:7], s23, v60
	v_mov_b32_e32 v80, 0
	v_lshlrev_b64 v[68:69], 1, v[62:63]
	v_lshlrev_b64 v[70:71], 1, v[0:1]
	;; [unrolled: 1-line block ×3, first 2 shown]
	v_mov_b32_e32 v79, 0
	v_mov_b32_e32 v78, 0
	;; [unrolled: 1-line block ×11, first 2 shown]
	s_mov_b32 s37, 0
	s_branch .LBB106_17
.LBB106_14:                             ;   in Loop: Header=BB106_17 Depth=2
	s_or_b64 exec, exec, s[34:35]
.LBB106_15:                             ;   in Loop: Header=BB106_17 Depth=2
	s_or_b64 exec, exec, s[30:31]
	s_waitcnt vmcnt(5) lgkmcnt(3)
	;;#ASMSTART
	v_dot2c_f32_f16 v86, v52, v36
	;;#ASMEND
	s_waitcnt vmcnt(4)
	;;#ASMSTART
	v_dot2c_f32_f16 v85, v52, v28
	;;#ASMEND
	s_waitcnt vmcnt(3)
	;;#ASMSTART
	v_dot2c_f32_f16 v84, v52, v24
	;;#ASMEND
	s_waitcnt lgkmcnt(2)
	;;#ASMSTART
	v_dot2c_f32_f16 v83, v48, v36
	;;#ASMEND
	;;#ASMSTART
	v_dot2c_f32_f16 v82, v48, v28
	;;#ASMEND
	;;#ASMSTART
	v_dot2c_f32_f16 v81, v48, v24
	;;#ASMEND
	s_waitcnt lgkmcnt(1)
	;;#ASMSTART
	v_dot2c_f32_f16 v80, v44, v36
	;;#ASMEND
	;;#ASMSTART
	v_dot2c_f32_f16 v79, v44, v28
	;;#ASMEND
	;; [unrolled: 10-line block ×3, first 2 shown]
	;;#ASMSTART
	v_dot2c_f32_f16 v61, v40, v24
	;;#ASMEND
	;;#ASMSTART
	v_dot2c_f32_f16 v86, v53, v37
	;;#ASMEND
	;;#ASMSTART
	v_dot2c_f32_f16 v85, v53, v29
	;;#ASMEND
	;;#ASMSTART
	v_dot2c_f32_f16 v84, v53, v25
	;;#ASMEND
	;;#ASMSTART
	v_dot2c_f32_f16 v83, v49, v37
	;;#ASMEND
	;;#ASMSTART
	v_dot2c_f32_f16 v82, v49, v29
	;;#ASMEND
	;;#ASMSTART
	v_dot2c_f32_f16 v81, v49, v25
	;;#ASMEND
	;;#ASMSTART
	v_dot2c_f32_f16 v80, v45, v37
	;;#ASMEND
	;;#ASMSTART
	v_dot2c_f32_f16 v79, v45, v29
	;;#ASMEND
	;;#ASMSTART
	v_dot2c_f32_f16 v78, v45, v25
	;;#ASMEND
	s_nop 0
	;;#ASMSTART
	v_dot2c_f32_f16 v77, v41, v37
	;;#ASMEND
	;;#ASMSTART
	v_dot2c_f32_f16 v76, v41, v29
	;;#ASMEND
	;;#ASMSTART
	v_dot2c_f32_f16 v61, v41, v25
	;;#ASMEND
	;;#ASMSTART
	v_dot2c_f32_f16 v86, v54, v38
	;;#ASMEND
	;;#ASMSTART
	v_dot2c_f32_f16 v85, v54, v30
	;;#ASMEND
	;;#ASMSTART
	v_dot2c_f32_f16 v84, v54, v26
	;;#ASMEND
	;;#ASMSTART
	v_dot2c_f32_f16 v83, v50, v38
	;;#ASMEND
	;;#ASMSTART
	v_dot2c_f32_f16 v82, v50, v30
	;;#ASMEND
	;;#ASMSTART
	v_dot2c_f32_f16 v81, v50, v26
	;;#ASMEND
	;;#ASMSTART
	v_dot2c_f32_f16 v80, v46, v38
	;;#ASMEND
	;;#ASMSTART
	v_dot2c_f32_f16 v79, v46, v30
	;;#ASMEND
	;;#ASMSTART
	v_dot2c_f32_f16 v78, v46, v26
	;;#ASMEND
	s_nop 0
	;;#ASMSTART
	v_dot2c_f32_f16 v77, v42, v38
	;;#ASMEND
	;;#ASMSTART
	v_dot2c_f32_f16 v76, v42, v30
	;;#ASMEND
	;;#ASMSTART
	v_dot2c_f32_f16 v61, v42, v26
	;;#ASMEND
	;;#ASMSTART
	v_dot2c_f32_f16 v86, v55, v39
	;;#ASMEND
	;;#ASMSTART
	v_dot2c_f32_f16 v85, v55, v31
	;;#ASMEND
	;;#ASMSTART
	v_dot2c_f32_f16 v84, v55, v27
	;;#ASMEND
	;;#ASMSTART
	v_dot2c_f32_f16 v83, v51, v39
	;;#ASMEND
	;;#ASMSTART
	v_dot2c_f32_f16 v82, v51, v31
	;;#ASMEND
	;;#ASMSTART
	v_dot2c_f32_f16 v81, v51, v27
	;;#ASMEND
	;;#ASMSTART
	v_dot2c_f32_f16 v80, v47, v39
	;;#ASMEND
	;;#ASMSTART
	v_dot2c_f32_f16 v79, v47, v31
	;;#ASMEND
	;;#ASMSTART
	v_dot2c_f32_f16 v78, v47, v27
	;;#ASMEND
	s_nop 0
	;;#ASMSTART
	v_dot2c_f32_f16 v77, v43, v39
	;;#ASMEND
	;;#ASMSTART
	v_dot2c_f32_f16 v76, v43, v31
	;;#ASMEND
	;;#ASMSTART
	v_dot2c_f32_f16 v61, v43, v27
	;;#ASMEND
	s_waitcnt vmcnt(2)
	;;#ASMSTART
	v_dot2c_f32_f16 v86, v32, v8
	;;#ASMEND
	s_waitcnt vmcnt(1)
	;; [unrolled: 4-line block ×3, first 2 shown]
	;;#ASMSTART
	v_dot2c_f32_f16 v84, v32, v0
	;;#ASMEND
	;;#ASMSTART
	v_dot2c_f32_f16 v83, v20, v8
	;;#ASMEND
	;;#ASMSTART
	v_dot2c_f32_f16 v82, v20, v4
	;;#ASMEND
	;;#ASMSTART
	v_dot2c_f32_f16 v81, v20, v0
	;;#ASMEND
	;;#ASMSTART
	v_dot2c_f32_f16 v80, v16, v8
	;;#ASMEND
	;;#ASMSTART
	v_dot2c_f32_f16 v79, v16, v4
	;;#ASMEND
	;;#ASMSTART
	v_dot2c_f32_f16 v78, v16, v0
	;;#ASMEND
	;;#ASMSTART
	v_dot2c_f32_f16 v77, v12, v8
	;;#ASMEND
	;;#ASMSTART
	v_dot2c_f32_f16 v76, v12, v4
	;;#ASMEND
	;;#ASMSTART
	v_dot2c_f32_f16 v61, v12, v0
	;;#ASMEND
	;;#ASMSTART
	v_dot2c_f32_f16 v86, v33, v9
	;;#ASMEND
	;;#ASMSTART
	v_dot2c_f32_f16 v85, v33, v5
	;;#ASMEND
	s_nop 0
	;;#ASMSTART
	v_dot2c_f32_f16 v84, v33, v1
	;;#ASMEND
	;;#ASMSTART
	v_dot2c_f32_f16 v83, v21, v9
	;;#ASMEND
	;;#ASMSTART
	v_dot2c_f32_f16 v82, v21, v5
	;;#ASMEND
	;;#ASMSTART
	v_dot2c_f32_f16 v81, v21, v1
	;;#ASMEND
	;;#ASMSTART
	v_dot2c_f32_f16 v80, v17, v9
	;;#ASMEND
	;;#ASMSTART
	v_dot2c_f32_f16 v79, v17, v5
	;;#ASMEND
	;;#ASMSTART
	v_dot2c_f32_f16 v78, v17, v1
	;;#ASMEND
	;;#ASMSTART
	v_dot2c_f32_f16 v77, v13, v9
	;;#ASMEND
	;;#ASMSTART
	v_dot2c_f32_f16 v76, v13, v5
	;;#ASMEND
	;;#ASMSTART
	v_dot2c_f32_f16 v61, v13, v1
	;;#ASMEND
	;;#ASMSTART
	v_dot2c_f32_f16 v86, v34, v10
	;;#ASMEND
	;;#ASMSTART
	v_dot2c_f32_f16 v85, v34, v6
	;;#ASMEND
	s_nop 0
	;;#ASMSTART
	v_dot2c_f32_f16 v84, v34, v2
	;;#ASMEND
	;;#ASMSTART
	v_dot2c_f32_f16 v83, v22, v10
	;;#ASMEND
	;;#ASMSTART
	v_dot2c_f32_f16 v82, v22, v6
	;;#ASMEND
	;;#ASMSTART
	v_dot2c_f32_f16 v81, v22, v2
	;;#ASMEND
	;;#ASMSTART
	v_dot2c_f32_f16 v80, v18, v10
	;;#ASMEND
	;;#ASMSTART
	v_dot2c_f32_f16 v79, v18, v6
	;;#ASMEND
	;;#ASMSTART
	v_dot2c_f32_f16 v78, v18, v2
	;;#ASMEND
	;;#ASMSTART
	v_dot2c_f32_f16 v77, v14, v10
	;;#ASMEND
	;;#ASMSTART
	v_dot2c_f32_f16 v76, v14, v6
	;;#ASMEND
	;;#ASMSTART
	v_dot2c_f32_f16 v61, v14, v2
	;;#ASMEND
	;;#ASMSTART
	v_dot2c_f32_f16 v86, v35, v11
	;;#ASMEND
	;;#ASMSTART
	v_dot2c_f32_f16 v85, v35, v7
	;;#ASMEND
	s_nop 0
	;;#ASMSTART
	v_dot2c_f32_f16 v84, v35, v3
	;;#ASMEND
	;;#ASMSTART
	v_dot2c_f32_f16 v83, v23, v11
	;;#ASMEND
	;;#ASMSTART
	v_dot2c_f32_f16 v82, v23, v7
	;;#ASMEND
	;;#ASMSTART
	v_dot2c_f32_f16 v81, v23, v3
	;;#ASMEND
	;;#ASMSTART
	v_dot2c_f32_f16 v80, v19, v11
	;;#ASMEND
	;;#ASMSTART
	v_dot2c_f32_f16 v79, v19, v7
	;;#ASMEND
	;;#ASMSTART
	v_dot2c_f32_f16 v78, v19, v3
	;;#ASMEND
	;;#ASMSTART
	v_dot2c_f32_f16 v77, v15, v11
	;;#ASMEND
	;;#ASMSTART
	v_dot2c_f32_f16 v76, v15, v7
	;;#ASMEND
	;;#ASMSTART
	v_dot2c_f32_f16 v61, v15, v3
	;;#ASMEND
.LBB106_16:                             ;   in Loop: Header=BB106_17 Depth=2
	s_or_b64 exec, exec, s[8:9]
	s_addk_i32 s37, 0x200
	s_cmp_ge_u32 s37, s20
	s_cbranch_scc1 .LBB106_29
.LBB106_17:                             ;   Parent Loop BB106_12 Depth=1
                                        ; =>  This Loop Header: Depth=2
                                        ;       Child Loop BB106_22 Depth 3
	s_cmp_eq_u32 s37, 0
	s_cselect_b64 s[8:9], -1, 0
	s_add_i32 s30, s36, s40
	s_cmp_eq_u32 s37, s30
	s_cselect_b64 s[34:35], -1, 0
	s_or_b64 s[34:35], s[8:9], s[34:35]
	s_andn2_b64 vcc, exec, s[34:35]
	s_cbranch_vccz .LBB106_19
; %bb.18:                               ;   in Loop: Header=BB106_17 Depth=2
	s_and_saveexec_b64 s[8:9], s[6:7]
	s_cbranch_execz .LBB106_16
	s_branch .LBB106_26
.LBB106_19:                             ;   in Loop: Header=BB106_17 Depth=2
	s_and_b64 s[8:9], s[8:9], exec
	s_cselect_b32 s36, s36, s30
	s_and_b64 vcc, exec, s[4:5]
	s_barrier
	s_cbranch_vccnz .LBB106_25
; %bb.20:                               ;   in Loop: Header=BB106_17 Depth=2
	v_add_u32_e32 v0, s36, v75
	v_add_u32_e32 v1, s36, v66
	;; [unrolled: 1-line block ×4, first 2 shown]
	s_mov_b32 s38, 0
	s_mov_b64 s[30:31], 0
	v_mov_b32_e32 v4, v74
                                        ; implicit-def: $sgpr34_sgpr35
	s_branch .LBB106_22
.LBB106_21:                             ;   in Loop: Header=BB106_22 Depth=3
	s_or_b64 exec, exec, s[8:9]
	s_and_b64 s[8:9], exec, s[34:35]
	s_or_b64 s[30:31], s[8:9], s[30:31]
	s_andn2_b64 exec, exec, s[30:31]
	s_cbranch_execz .LBB106_24
.LBB106_22:                             ;   Parent Loop BB106_12 Depth=1
                                        ;     Parent Loop BB106_17 Depth=2
                                        ; =>    This Inner Loop Header: Depth=3
	v_add_u32_e32 v5, s38, v64
	v_add_u32_e32 v62, s38, v3
	v_cmp_gt_u32_e32 vcc, s22, v62
	v_cmp_gt_u32_e64 s[8:9], s40, v5
	s_and_b64 s[52:53], s[8:9], vcc
	s_or_b64 s[34:35], s[34:35], exec
	s_and_saveexec_b64 s[8:9], s[52:53]
	s_cbranch_execz .LBB106_21
; %bb.23:                               ;   in Loop: Header=BB106_22 Depth=3
	v_lshl_add_u64 v[6:7], v[62:63], 1, s[16:17]
	v_add_u32_e32 v62, s38, v2
	v_lshl_add_u64 v[10:11], v[62:63], 1, s[16:17]
	v_add_u32_e32 v62, s38, v0
	global_load_dwordx4 v[6:9], v[6:7], off
	s_nop 0
	global_load_dwordx4 v[10:13], v[10:11], off
	v_lshl_add_u64 v[14:15], v[62:63], 1, s[16:17]
	v_add_u32_e32 v62, s38, v1
	global_load_dwordx4 v[14:17], v[14:15], off
	v_lshl_add_u64 v[18:19], v[62:63], 1, s[16:17]
	global_load_dwordx4 v[18:21], v[18:19], off
	s_add_i32 s38, s38, s41
	s_cmp_ge_u32 s38, s40
	s_cselect_b64 s[52:53], -1, 0
	s_andn2_b64 s[34:35], s[34:35], exec
	s_and_b64 s[52:53], s[52:53], exec
	v_add_u32_e32 v5, s51, v4
	v_add_u32_e32 v22, s50, v4
	;; [unrolled: 1-line block ×3, first 2 shown]
	s_or_b64 s[34:35], s[34:35], s[52:53]
	s_waitcnt vmcnt(3)
	ds_write_b128 v4, v[6:9]
	v_add_u32_e32 v4, s49, v4
	s_waitcnt vmcnt(2)
	ds_write2_b64 v5, v[10:11], v[12:13] offset1:1
	s_waitcnt vmcnt(1)
	ds_write2_b32 v22, v14, v15 offset1:1
	ds_write2_b32 v22, v16, v17 offset0:2 offset1:3
	s_waitcnt vmcnt(0)
	ds_write2_b64 v23, v[18:19], v[20:21] offset1:1
	s_branch .LBB106_21
.LBB106_24:                             ;   in Loop: Header=BB106_17 Depth=2
	s_or_b64 exec, exec, s[30:31]
.LBB106_25:                             ;   in Loop: Header=BB106_17 Depth=2
	s_waitcnt lgkmcnt(0)
	s_barrier
	s_and_saveexec_b64 s[8:9], s[6:7]
	s_cbranch_execz .LBB106_16
.LBB106_26:                             ;   in Loop: Header=BB106_17 Depth=2
	v_add_u32_e32 v87, s37, v59
	v_min_u32_e32 v62, s42, v87
	v_lshl_add_u64 v[0:1], v[62:63], 1, s[14:15]
	v_add_u32_e32 v88, 0x100, v87
	v_lshl_add_u64 v[2:3], v[0:1], 0, v[68:69]
	v_min_u32_e32 v62, s42, v88
	v_lshl_add_u64 v[4:5], v[0:1], 0, v[70:71]
	global_load_dwordx4 v[36:39], v[2:3], off nt
	global_load_dwordx4 v[28:31], v[4:5], off nt
	v_lshl_add_u64 v[2:3], v[62:63], 1, s[14:15]
	v_lshl_add_u64 v[0:1], v[0:1], 0, v[72:73]
	;; [unrolled: 1-line block ×4, first 2 shown]
	global_load_dwordx4 v[24:27], v[0:1], off nt
	global_load_dwordx4 v[8:11], v[4:5], off nt
	v_lshl_add_u64 v[14:15], v[2:3], 0, v[72:73]
	global_load_dwordx4 v[4:7], v[12:13], off nt
	global_load_dwordx4 v[0:3], v[14:15], off nt
	v_cmp_gt_u32_e32 vcc, s20, v87
	v_mov_b32_e32 v52, 0
	v_mov_b32_e32 v53, 0
	v_mov_b32_e32 v54, 0
	v_mov_b32_e32 v55, 0
	v_mov_b32_e32 v48, 0
	v_mov_b32_e32 v49, 0
	v_mov_b32_e32 v50, 0
	v_mov_b32_e32 v51, 0
	v_mov_b32_e32 v44, 0
	v_mov_b32_e32 v45, 0
	v_mov_b32_e32 v46, 0
	v_mov_b32_e32 v47, 0
	v_mov_b32_e32 v40, 0
	v_mov_b32_e32 v41, 0
	v_mov_b32_e32 v42, 0
	v_mov_b32_e32 v43, 0
	s_waitcnt vmcnt(13)
	v_mov_b32_e32 v32, 0
	v_mov_b32_e32 v33, 0
	;; [unrolled: 1-line block ×16, first 2 shown]
	s_and_saveexec_b64 s[30:31], vcc
	s_cbranch_execz .LBB106_15
; %bb.27:                               ;   in Loop: Header=BB106_17 Depth=2
	v_subrev_u32_e32 v12, s36, v87
	v_lshlrev_b32_e32 v90, 1, v12
	v_add_u32_e32 v89, s51, v90
	v_add_u32_e32 v87, s51, v89
	ds_read_b128 v[52:55], v90
	ds_read_b128 v[48:51], v89
	v_add_u32_e32 v62, s51, v87
	ds_read_b128 v[44:47], v87
	ds_read_b128 v[40:43], v62
	v_cmp_gt_u32_e32 vcc, s20, v88
	v_mov_b32_e32 v15, 0
	v_mov_b32_e32 v14, 0
	;; [unrolled: 1-line block ×16, first 2 shown]
	s_and_saveexec_b64 s[34:35], vcc
	s_cbranch_execz .LBB106_14
; %bb.28:                               ;   in Loop: Header=BB106_17 Depth=2
	ds_read_b128 v[32:35], v90 offset:512
	ds_read_b128 v[20:23], v89 offset:512
	;; [unrolled: 1-line block ×4, first 2 shown]
	s_branch .LBB106_14
.LBB106_29:                             ;   in Loop: Header=BB106_12 Depth=1
	v_cmp_le_u32_e32 vcc, s23, v60
	s_and_saveexec_b64 s[6:7], vcc
	s_xor_b64 s[6:7], exec, s[6:7]
; %bb.30:                               ;   in Loop: Header=BB106_12 Depth=1
	v_add_u32_e32 v60, s44, v60
                                        ; implicit-def: $vgpr86
                                        ; implicit-def: $vgpr85
                                        ; implicit-def: $vgpr84
                                        ; implicit-def: $vgpr83
                                        ; implicit-def: $vgpr82
                                        ; implicit-def: $vgpr81
                                        ; implicit-def: $vgpr61
                                        ; implicit-def: $vgpr76
                                        ; implicit-def: $vgpr77
                                        ; implicit-def: $vgpr78
                                        ; implicit-def: $vgpr79
                                        ; implicit-def: $vgpr80
; %bb.31:                               ;   in Loop: Header=BB106_12 Depth=1
	s_andn2_saveexec_b64 s[30:31], s[6:7]
	s_cbranch_execz .LBB106_11
; %bb.32:                               ;   in Loop: Header=BB106_12 Depth=1
	v_cvt_i32_f32_e32 v0, v86
	v_cvt_i32_f32_e32 v1, v85
	v_cvt_i32_f32_e32 v2, v84
	v_cvt_i32_f32_e32 v3, v83
	v_cvt_f32_i32_dpp v0, v0 row_shr:8 row_mask:0xf bank_mask:0xf bound_ctrl:1
	v_cvt_f32_i32_dpp v1, v1 row_shr:8 row_mask:0xf bank_mask:0xf bound_ctrl:1
	v_cvt_f32_i32_dpp v2, v2 row_shr:8 row_mask:0xf bank_mask:0xf bound_ctrl:1
	v_cvt_f32_i32_dpp v3, v3 row_shr:8 row_mask:0xf bank_mask:0xf bound_ctrl:1
	v_add_f32_e32 v0, v86, v0
	v_cvt_i32_f32_e32 v4, v0
	v_add_f32_e32 v1, v85, v1
	v_cvt_i32_f32_e32 v6, v1
	v_add_f32_e32 v2, v84, v2
	v_cvt_f32_i32_dpp v4, v4 row_shr:4 row_mask:0xf bank_mask:0xf bound_ctrl:1
	v_cvt_i32_f32_e32 v7, v2
	v_cvt_f32_i32_dpp v6, v6 row_shr:4 row_mask:0xf bank_mask:0xf bound_ctrl:1
	v_add_f32_e32 v3, v83, v3
	v_add_f32_e32 v0, v0, v4
	v_cvt_i32_f32_e32 v4, v0
	v_add_f32_e32 v1, v1, v6
	v_cvt_i32_f32_e32 v6, v1
	v_cvt_f32_i32_dpp v7, v7 row_shr:4 row_mask:0xf bank_mask:0xf bound_ctrl:1
	v_cvt_f32_i32_dpp v4, v4 row_shr:2 row_mask:0xf bank_mask:0xf bound_ctrl:1
	v_cvt_i32_f32_e32 v8, v3
	v_cvt_f32_i32_dpp v6, v6 row_shr:2 row_mask:0xf bank_mask:0xf bound_ctrl:1
	v_add_f32_e32 v2, v2, v7
	v_add_f32_e32 v0, v0, v4
	v_cvt_i32_f32_e32 v4, v0
	v_add_f32_e32 v1, v1, v6
	v_cvt_i32_f32_e32 v6, v1
	v_cvt_i32_f32_e32 v7, v2
	v_cvt_f32_i32_dpp v4, v4 row_shr:1 row_mask:0xf bank_mask:0xf bound_ctrl:1
	v_cvt_f32_i32_dpp v8, v8 row_shr:4 row_mask:0xf bank_mask:0xf bound_ctrl:1
	;; [unrolled: 1-line block ×4, first 2 shown]
	v_add_f32_e32 v0, v0, v4
	v_cvt_i32_f32_e32 v4, v0
	v_add_f32_e32 v1, v1, v6
	v_cvt_i32_f32_e32 v6, v1
	v_add_f32_e32 v7, v2, v7
	v_cvt_f32_i32_dpp v4, v4 row_bcast:15 row_mask:0xf bank_mask:0xf bound_ctrl:1
	v_cvt_i32_f32_e32 v5, v82
	v_cvt_i32_f32_e32 v2, v7
	v_cvt_f32_i32_dpp v6, v6 row_bcast:15 row_mask:0xf bank_mask:0xf bound_ctrl:1
	v_add_f32_e32 v4, v0, v4
	v_cvt_i32_f32_e32 v0, v4
	v_add_f32_e32 v3, v3, v8
	v_cvt_f32_i32_dpp v8, v2 row_shr:1 row_mask:0xf bank_mask:0xf bound_ctrl:1
	v_add_f32_e32 v2, v1, v6
	v_mov_b32_dpp v6, v0 row_bcast:31 row_mask:0xf bank_mask:0xf bound_ctrl:1
	v_cvt_i32_f32_e32 v0, v3
	v_cvt_f32_i32_dpp v5, v5 row_shr:8 row_mask:0xf bank_mask:0xf bound_ctrl:1
	v_add_f32_e32 v7, v7, v8
	v_cvt_i32_f32_e32 v8, v7
	v_cvt_f32_i32_dpp v0, v0 row_shr:2 row_mask:0xf bank_mask:0xf bound_ctrl:1
	v_add_f32_e32 v9, v82, v5
	v_cvt_i32_f32_e32 v5, v9
	v_cvt_i32_f32_e32 v1, v2
	v_add_f32_e32 v0, v3, v0
	v_cvt_i32_f32_e32 v3, v0
	v_cvt_f32_i32_dpp v8, v8 row_bcast:15 row_mask:0xf bank_mask:0xf bound_ctrl:1
	v_cvt_f32_i32_dpp v10, v5 row_shr:4 row_mask:0xf bank_mask:0xf bound_ctrl:1
	v_mov_b32_dpp v5, v1 row_bcast:31 row_mask:0xf bank_mask:0xf bound_ctrl:1
	v_cvt_f32_i32_dpp v3, v3 row_shr:1 row_mask:0xf bank_mask:0xf bound_ctrl:1
	v_add_f32_e32 v1, v7, v8
	v_add_f32_e32 v7, v9, v10
	v_cvt_i32_f32_e32 v8, v7
	v_add_f32_e32 v0, v0, v3
	v_cvt_i32_f32_e32 v3, v81
	v_cvt_i32_f32_e32 v9, v0
	v_cvt_f32_i32_dpp v8, v8 row_shr:2 row_mask:0xf bank_mask:0xf bound_ctrl:1
	v_cvt_i32_f32_e32 v10, v1
	v_cvt_f32_i32_dpp v3, v3 row_shr:8 row_mask:0xf bank_mask:0xf bound_ctrl:1
	v_cvt_f32_i32_dpp v9, v9 row_bcast:15 row_mask:0xf bank_mask:0xf bound_ctrl:1
	v_add_f32_e32 v8, v7, v8
	v_cvt_i32_f32_e32 v11, v8
	v_add_f32_e32 v12, v81, v3
	v_cvt_i32_f32_e32 v13, v12
	v_mov_b32_dpp v7, v10 row_bcast:31 row_mask:0xf bank_mask:0xf bound_ctrl:1
	v_cvt_f32_i32_dpp v10, v11 row_shr:1 row_mask:0xf bank_mask:0xf bound_ctrl:1
	v_add_f32_e32 v3, v0, v9
	v_cvt_f32_i32_dpp v0, v13 row_shr:4 row_mask:0xf bank_mask:0xf bound_ctrl:1
	v_cvt_i32_f32_e32 v9, v3
	v_add_f32_e32 v10, v8, v10
	v_cvt_i32_f32_e32 v8, v80
	v_add_f32_e32 v0, v12, v0
	v_cvt_i32_f32_e32 v11, v0
	v_cvt_i32_f32_e32 v12, v10
	v_cvt_f32_i32_dpp v13, v8 row_shr:8 row_mask:0xf bank_mask:0xf bound_ctrl:1
	v_mov_b32_dpp v8, v9 row_bcast:31 row_mask:0xf bank_mask:0xf bound_ctrl:1
	v_cvt_f32_i32_dpp v9, v11 row_shr:2 row_mask:0xf bank_mask:0xf bound_ctrl:1
	v_cvt_f32_i32_dpp v11, v12 row_bcast:15 row_mask:0xf bank_mask:0xf bound_ctrl:1
	v_add_f32_e32 v12, v80, v13
	v_cvt_i32_f32_e32 v13, v12
	v_cvt_i32_f32_e32 v14, v79
	v_add_f32_e32 v0, v0, v9
	v_add_f32_e32 v9, v10, v11
	v_cvt_f32_i32_dpp v13, v13 row_shr:4 row_mask:0xf bank_mask:0xf bound_ctrl:1
	v_cvt_f32_i32_dpp v10, v14 row_shr:8 row_mask:0xf bank_mask:0xf bound_ctrl:1
	v_cvt_i32_f32_e32 v15, v0
	v_add_f32_e32 v12, v12, v13
	v_cvt_i32_f32_e32 v13, v12
	v_add_f32_e32 v10, v79, v10
	v_cvt_f32_i32_dpp v11, v15 row_shr:1 row_mask:0xf bank_mask:0xf bound_ctrl:1
	v_cvt_i32_f32_e32 v14, v10
	v_cvt_f32_i32_dpp v13, v13 row_shr:2 row_mask:0xf bank_mask:0xf bound_ctrl:1
	v_cvt_i32_f32_e32 v15, v9
	v_add_f32_e32 v0, v0, v11
	v_cvt_f32_i32_dpp v11, v14 row_shr:4 row_mask:0xf bank_mask:0xf bound_ctrl:1
	v_add_f32_e32 v12, v12, v13
	v_cvt_i32_f32_e32 v14, v0
	v_cvt_i32_f32_e32 v13, v12
	v_add_f32_e32 v11, v10, v11
	v_cvt_i32_f32_e32 v10, v11
	v_cvt_f32_i32_dpp v14, v14 row_bcast:15 row_mask:0xf bank_mask:0xf bound_ctrl:1
	v_cvt_f32_i32_dpp v13, v13 row_shr:1 row_mask:0xf bank_mask:0xf bound_ctrl:1
	v_mov_b32_dpp v15, v15 row_bcast:31 row_mask:0xf bank_mask:0xf bound_ctrl:1
	v_cvt_f32_i32_dpp v16, v10 row_shr:2 row_mask:0xf bank_mask:0xf bound_ctrl:1
	v_add_f32_e32 v10, v0, v14
	v_add_f32_e32 v0, v12, v13
	v_cvt_i32_f32_e32 v12, v78
	v_add_f32_e32 v11, v11, v16
	v_cvt_i32_f32_e32 v13, v11
	v_cvt_i32_f32_e32 v14, v0
	v_cvt_f32_i32_dpp v12, v12 row_shr:8 row_mask:0xf bank_mask:0xf bound_ctrl:1
	v_cvt_i32_f32_e32 v16, v10
	v_cvt_f32_i32_dpp v13, v13 row_shr:1 row_mask:0xf bank_mask:0xf bound_ctrl:1
	v_cvt_f32_i32_dpp v14, v14 row_bcast:15 row_mask:0xf bank_mask:0xf bound_ctrl:1
	v_add_f32_e32 v12, v78, v12
	v_cvt_i32_f32_e32 v18, v12
	v_add_f32_e32 v13, v11, v13
	v_mov_b32_dpp v17, v16 row_bcast:31 row_mask:0xf bank_mask:0xf bound_ctrl:1
	v_cvt_i32_f32_e32 v19, v13
	v_cvt_f32_i32_dpp v16, v18 row_shr:4 row_mask:0xf bank_mask:0xf bound_ctrl:1
	v_add_f32_e32 v11, v0, v14
	v_cvt_i32_f32_e32 v14, v77
	v_cvt_f32_i32_dpp v0, v19 row_bcast:15 row_mask:0xf bank_mask:0xf bound_ctrl:1
	v_add_f32_e32 v16, v12, v16
	v_cvt_i32_f32_e32 v18, v16
	v_cvt_f32_i32_dpp v14, v14 row_shr:8 row_mask:0xf bank_mask:0xf bound_ctrl:1
	v_add_f32_e32 v12, v13, v0
	v_cvt_i32_f32_e32 v13, v12
	v_cvt_f32_i32_dpp v0, v18 row_shr:2 row_mask:0xf bank_mask:0xf bound_ctrl:1
	v_add_f32_e32 v18, v77, v14
	v_cvt_i32_f32_e32 v14, v18
	v_cvt_i32_f32_e32 v19, v11
	v_add_f32_e32 v0, v16, v0
	v_cvt_i32_f32_e32 v16, v0
	v_cvt_f32_i32_dpp v20, v14 row_shr:4 row_mask:0xf bank_mask:0xf bound_ctrl:1
	v_mov_b32_dpp v14, v13 row_bcast:31 row_mask:0xf bank_mask:0xf bound_ctrl:1
	v_mov_b32_dpp v19, v19 row_bcast:31 row_mask:0xf bank_mask:0xf bound_ctrl:1
	v_cvt_f32_i32_dpp v13, v16 row_shr:1 row_mask:0xf bank_mask:0xf bound_ctrl:1
	v_cvt_i32_f32_e32 v16, v76
	v_add_f32_e32 v18, v18, v20
	v_cvt_i32_f32_e32 v20, v61
	v_add_f32_e32 v0, v0, v13
	v_cvt_f32_i32_dpp v16, v16 row_shr:8 row_mask:0xf bank_mask:0xf bound_ctrl:1
	v_cvt_i32_f32_e32 v21, v18
	v_cvt_f32_i32_dpp v13, v20 row_shr:8 row_mask:0xf bank_mask:0xf bound_ctrl:1
	v_cvt_i32_f32_e32 v23, v0
	v_add_f32_e32 v16, v76, v16
	v_cvt_f32_i32_dpp v20, v21 row_shr:2 row_mask:0xf bank_mask:0xf bound_ctrl:1
	v_add_f32_e32 v13, v61, v13
	v_cvt_i32_f32_e32 v21, v16
	v_cvt_i32_f32_e32 v22, v13
	v_add_f32_e32 v18, v18, v20
	v_cvt_f32_i32_dpp v23, v23 row_bcast:15 row_mask:0xf bank_mask:0xf bound_ctrl:1
	v_cvt_f32_i32_dpp v21, v21 row_shr:4 row_mask:0xf bank_mask:0xf bound_ctrl:1
	v_cvt_f32_i32_dpp v20, v22 row_shr:4 row_mask:0xf bank_mask:0xf bound_ctrl:1
	v_cvt_i32_f32_e32 v22, v18
	v_add_f32_e32 v16, v16, v21
	v_add_f32_e32 v13, v13, v20
	v_cvt_i32_f32_e32 v21, v16
	v_cvt_i32_f32_e32 v20, v13
	v_cvt_f32_i32_dpp v22, v22 row_shr:1 row_mask:0xf bank_mask:0xf bound_ctrl:1
	v_cvt_f32_i32_dpp v21, v21 row_shr:2 row_mask:0xf bank_mask:0xf bound_ctrl:1
	;; [unrolled: 1-line block ×3, first 2 shown]
	v_add_f32_e32 v18, v18, v22
	v_add_f32_e32 v22, v0, v23
	v_add_f32_e32 v16, v16, v21
	v_add_f32_e32 v13, v13, v20
	v_cvt_i32_f32_e32 v21, v16
	v_cvt_i32_f32_e32 v20, v13
	;; [unrolled: 1-line block ×4, first 2 shown]
	v_cvt_f32_i32_dpp v21, v21 row_shr:1 row_mask:0xf bank_mask:0xf bound_ctrl:1
	v_cvt_f32_i32_dpp v0, v20 row_shr:1 row_mask:0xf bank_mask:0xf bound_ctrl:1
	v_cvt_f32_i32_dpp v20, v24 row_bcast:15 row_mask:0xf bank_mask:0xf bound_ctrl:1
	v_add_f32_e32 v16, v16, v21
	v_add_f32_e32 v0, v13, v0
	v_cvt_i32_f32_e32 v21, v16
	v_cvt_i32_f32_e32 v13, v0
	s_nop 0
	v_cvt_f32_i32_dpp v24, v21 row_bcast:15 row_mask:0xf bank_mask:0xf bound_ctrl:1
	v_cvt_f32_i32_dpp v13, v13 row_bcast:15 row_mask:0xf bank_mask:0xf bound_ctrl:1
	v_add_f32_e32 v21, v18, v20
	v_cvt_i32_f32_e32 v20, v21
	v_add_f32_e32 v18, v16, v24
	v_add_f32_e32 v13, v0, v13
	v_cvt_i32_f32_e32 v16, v18
	v_cvt_i32_f32_e32 v0, v13
	v_mov_b32_dpp v24, v23 row_bcast:31 row_mask:0xf bank_mask:0xf bound_ctrl:1
	v_mov_b32_dpp v23, v20 row_bcast:31 row_mask:0xf bank_mask:0xf bound_ctrl:1
	;; [unrolled: 1-line block ×4, first 2 shown]
	s_and_saveexec_b64 s[34:35], s[0:1]
	s_cbranch_execz .LBB106_48
; %bb.33:                               ;   in Loop: Header=BB106_12 Depth=1
	s_andn2_b64 vcc, exec, s[26:27]
	s_waitcnt vmcnt(11)
	v_mov_b32_e32 v36, 0
	v_add_u32_e32 v0, 2, v60
	s_waitcnt vmcnt(10)
	v_mov_b32_e32 v35, 0
	s_waitcnt vmcnt(9)
	v_mov_b32_e32 v34, 0
	;; [unrolled: 2-line block ×11, first 2 shown]
	s_cbranch_vccnz .LBB106_35
; %bb.34:                               ;   in Loop: Header=BB106_12 Depth=1
	v_mul_hi_u32 v25, v60, v65
	v_mul_lo_u32 v25, v25, s12
	v_sub_u32_e32 v25, v60, v25
	v_subrev_u32_e32 v26, s12, v25
	v_cmp_le_u32_e32 vcc, s12, v25
	v_mov_b32_e32 v29, v63
	v_mov_b32_e32 v39, v63
	v_cndmask_b32_e32 v25, v25, v26, vcc
	v_subrev_u32_e32 v26, s12, v25
	v_cmp_le_u32_e32 vcc, s12, v25
	v_mov_b32_e32 v43, v63
	s_nop 0
	v_cndmask_b32_e32 v62, v25, v26, vcc
	v_add_u32_e32 v25, 1, v60
	v_mul_hi_u32 v28, v25, v65
	v_mul_lo_u32 v28, v28, s12
	v_sub_u32_e32 v25, v25, v28
	v_subrev_u32_e32 v28, s12, v25
	v_cmp_le_u32_e32 vcc, s12, v25
	v_lshl_add_u64 v[26:27], v[62:63], 1, s[18:19]
	s_nop 0
	v_cndmask_b32_e32 v25, v25, v28, vcc
	v_subrev_u32_e32 v28, s12, v25
	v_cmp_le_u32_e32 vcc, s12, v25
	s_nop 1
	v_cndmask_b32_e32 v38, v25, v28, vcc
	v_mul_hi_u32 v25, v0, v65
	v_mul_lo_u32 v25, v25, s12
	v_sub_u32_e32 v25, v0, v25
	v_subrev_u32_e32 v28, s12, v25
	v_cmp_le_u32_e32 vcc, s12, v25
	v_lshl_add_u64 v[40:41], v[38:39], 1, s[18:19]
	s_nop 0
	v_cndmask_b32_e32 v25, v25, v28, vcc
	v_subrev_u32_e32 v28, s12, v25
	v_cmp_le_u32_e32 vcc, s12, v25
	s_nop 1
	v_cndmask_b32_e32 v42, v25, v28, vcc
	v_add_u32_e32 v28, s45, v62
	v_lshl_add_u64 v[46:47], v[28:29], 1, s[18:19]
	v_add_u32_e32 v28, s45, v38
	v_lshl_add_u64 v[48:49], v[28:29], 1, s[18:19]
	;; [unrolled: 2-line block ×5, first 2 shown]
	v_lshl_add_u64 v[54:55], v[28:29], 1, s[18:19]
	global_load_ushort v36, v[26:27], off
	global_load_ushort v35, v[40:41], off
	;; [unrolled: 1-line block ×8, first 2 shown]
	v_add_u32_e32 v62, s47, v62
	v_add_u32_e32 v26, s46, v42
	v_mov_b32_e32 v27, v63
	v_lshl_add_u64 v[44:45], v[62:63], 1, s[18:19]
	v_add_u32_e32 v62, s47, v38
	v_lshl_add_u64 v[40:41], v[26:27], 1, s[18:19]
	v_lshl_add_u64 v[38:39], v[62:63], 1, s[18:19]
	v_add_u32_e32 v62, s47, v42
	v_lshl_add_u64 v[42:43], v[62:63], 1, s[18:19]
	global_load_ushort v29, v[40:41], off
	global_load_ushort v27, v[44:45], off
	;; [unrolled: 1-line block ×4, first 2 shown]
.LBB106_35:                             ;   in Loop: Header=BB106_12 Depth=1
	v_cmp_ne_u32_e32 vcc, 0, v56
	s_and_saveexec_b64 s[6:7], vcc
	s_cbranch_execnz .LBB106_53
; %bb.36:                               ;   in Loop: Header=BB106_12 Depth=1
	s_or_b64 exec, exec, s[6:7]
	v_cmp_ne_u32_e64 s[6:7], 0, v57
	s_and_saveexec_b64 s[8:9], s[6:7]
	s_cbranch_execnz .LBB106_54
.LBB106_37:                             ;   in Loop: Header=BB106_12 Depth=1
	s_or_b64 exec, exec, s[8:9]
	v_cmp_ne_u32_e64 s[8:9], 0, v58
	s_and_saveexec_b64 s[36:37], s[8:9]
	s_cbranch_execnz .LBB106_55
.LBB106_38:                             ;   in Loop: Header=BB106_12 Depth=1
	s_or_b64 exec, exec, s[36:37]
	v_add_u32_e32 v62, s23, v60
	s_and_saveexec_b64 s[36:37], vcc
	s_cbranch_execnz .LBB106_56
.LBB106_39:                             ;   in Loop: Header=BB106_12 Depth=1
	s_or_b64 exec, exec, s[36:37]
	s_and_saveexec_b64 s[36:37], s[6:7]
	s_cbranch_execnz .LBB106_57
.LBB106_40:                             ;   in Loop: Header=BB106_12 Depth=1
	s_or_b64 exec, exec, s[36:37]
	s_and_saveexec_b64 s[36:37], s[8:9]
	s_cbranch_execnz .LBB106_58
.LBB106_41:                             ;   in Loop: Header=BB106_12 Depth=1
	s_or_b64 exec, exec, s[36:37]
	v_add_u32_e32 v62, s23, v62
	s_and_saveexec_b64 s[36:37], vcc
	s_cbranch_execnz .LBB106_59
.LBB106_42:                             ;   in Loop: Header=BB106_12 Depth=1
	s_or_b64 exec, exec, s[36:37]
	s_and_saveexec_b64 s[36:37], s[6:7]
	s_cbranch_execnz .LBB106_60
.LBB106_43:                             ;   in Loop: Header=BB106_12 Depth=1
	s_or_b64 exec, exec, s[36:37]
	s_and_saveexec_b64 s[36:37], s[8:9]
	s_cbranch_execnz .LBB106_61
.LBB106_44:                             ;   in Loop: Header=BB106_12 Depth=1
	s_or_b64 exec, exec, s[36:37]
	v_add_u32_e32 v62, s23, v62
	s_and_saveexec_b64 s[36:37], vcc
	s_cbranch_execnz .LBB106_62
.LBB106_45:                             ;   in Loop: Header=BB106_12 Depth=1
	s_or_b64 exec, exec, s[36:37]
	s_and_saveexec_b64 s[36:37], s[6:7]
	s_cbranch_execnz .LBB106_63
.LBB106_46:                             ;   in Loop: Header=BB106_12 Depth=1
	s_or_b64 exec, exec, s[36:37]
	s_and_b64 exec, exec, s[8:9]
	s_cbranch_execz .LBB106_48
.LBB106_47:                             ;   in Loop: Header=BB106_12 Depth=1
	v_cvt_f32_i32_e32 v0, v16
	s_waitcnt vmcnt(0)
	v_cvt_f32_f16_e32 v1, v25
	v_add_u32_e32 v62, 2, v62
	v_add_f32_e32 v0, v13, v0
	v_add_f32_e32 v0, v0, v1
	v_cvt_f16_f32_e32 v2, v0
	v_lshl_add_u64 v[0:1], v[62:63], 1, s[10:11]
	global_store_short v[0:1], v2, off
.LBB106_48:                             ;   in Loop: Header=BB106_12 Depth=1
	s_or_b64 exec, exec, s[34:35]
	v_add_u32_e32 v60, s44, v60
	v_add_u32_e32 v0, 3, v60
	v_cmp_gt_u32_e32 vcc, s23, v60
	v_cmp_le_u32_e64 s[6:7], s23, v0
	s_and_b64 s[6:7], vcc, s[6:7]
	s_and_saveexec_b64 s[8:9], s[6:7]
	s_cbranch_execz .LBB106_10
; %bb.49:                               ;   in Loop: Header=BB106_12 Depth=1
	v_cmp_ne_u32_e32 vcc, s13, v60
	s_and_saveexec_b64 s[34:35], vcc
	s_cbranch_execz .LBB106_9
; %bb.50:                               ;   in Loop: Header=BB106_12 Depth=1
	v_subrev_u32_e32 v0, s13, v60
	v_cmp_lt_u32_e32 vcc, 1, v0
	s_mov_b64 s[36:37], 0
	s_mov_b64 s[38:39], 0
	v_cndmask_b32_e32 v0, 1, v0, vcc
.LBB106_51:                             ;   Parent Loop BB106_12 Depth=1
                                        ; =>  This Inner Loop Header: Depth=2
	s_cmp_lg_u32 s38, 2
	s_cselect_b64 vcc, -1, 0
	s_cmp_lg_u32 s38, 1
	v_cndmask_b32_e32 v58, 0, v58, vcc
	s_cselect_b64 vcc, -1, 0
	s_cmp_lg_u32 s38, 0
	v_cndmask_b32_e32 v57, 0, v57, vcc
	s_cselect_b64 vcc, -1, 0
	s_add_u32 s38, s38, 1
	s_addc_u32 s39, s39, 0
	v_cmp_eq_u32_e64 s[6:7], s38, v0
	s_or_b64 s[36:37], s[6:7], s[36:37]
	v_cndmask_b32_e32 v56, 0, v56, vcc
	s_andn2_b64 exec, exec, s[36:37]
	s_cbranch_execnz .LBB106_51
; %bb.52:                               ;   in Loop: Header=BB106_12 Depth=1
	s_or_b64 exec, exec, s[36:37]
	s_branch .LBB106_9
.LBB106_53:                             ;   in Loop: Header=BB106_12 Depth=1
	v_cvt_f32_i32_e32 v6, v6
	s_waitcnt vmcnt(11)
	v_cvt_f32_f16_e32 v36, v36
	v_mov_b32_e32 v61, v63
	v_add_f32_e32 v4, v4, v6
	v_add_f32_e32 v4, v4, v36
	v_cvt_f16_f32_e32 v4, v4
	v_lshl_add_u64 v[36:37], v[60:61], 1, s[10:11]
	global_store_short v[36:37], v4, off
	s_or_b64 exec, exec, s[6:7]
	v_cmp_ne_u32_e64 s[6:7], 0, v57
	s_and_saveexec_b64 s[8:9], s[6:7]
	s_cbranch_execz .LBB106_37
.LBB106_54:                             ;   in Loop: Header=BB106_12 Depth=1
	v_cvt_f32_i32_e32 v4, v5
	s_waitcnt vmcnt(10)
	v_cvt_f32_f16_e32 v5, v35
	v_mov_b32_e32 v61, v63
	v_add_f32_e32 v2, v2, v4
	v_add_f32_e32 v2, v2, v5
	v_cvt_f16_f32_e32 v2, v2
	v_lshl_add_u64 v[4:5], v[60:61], 1, s[28:29]
	global_store_short v[4:5], v2, off
	s_or_b64 exec, exec, s[8:9]
	v_cmp_ne_u32_e64 s[8:9], 0, v58
	s_and_saveexec_b64 s[36:37], s[8:9]
	s_cbranch_execz .LBB106_38
.LBB106_55:                             ;   in Loop: Header=BB106_12 Depth=1
	v_cvt_f32_i32_e32 v2, v7
	s_waitcnt vmcnt(9)
	v_cvt_f32_f16_e32 v4, v34
	v_add_f32_e32 v1, v1, v2
	v_add_f32_e32 v1, v1, v4
	v_cvt_f16_f32_e32 v2, v1
	v_mov_b32_e32 v1, v63
	v_lshl_add_u64 v[0:1], v[0:1], 1, s[10:11]
	global_store_short v[0:1], v2, off
	s_or_b64 exec, exec, s[36:37]
	v_add_u32_e32 v62, s23, v60
	s_and_saveexec_b64 s[36:37], vcc
	s_cbranch_execz .LBB106_39
.LBB106_56:                             ;   in Loop: Header=BB106_12 Depth=1
	v_cvt_f32_i32_e32 v0, v8
	s_waitcnt vmcnt(8)
	v_cvt_f32_f16_e32 v1, v33
	v_add_f32_e32 v0, v3, v0
	v_add_f32_e32 v0, v0, v1
	v_cvt_f16_f32_e32 v2, v0
	v_lshl_add_u64 v[0:1], v[62:63], 1, s[10:11]
	global_store_short v[0:1], v2, off
	s_or_b64 exec, exec, s[36:37]
	s_and_saveexec_b64 s[36:37], s[6:7]
	s_cbranch_execz .LBB106_40
.LBB106_57:                             ;   in Loop: Header=BB106_12 Depth=1
	v_cvt_f32_i32_e32 v0, v15
	s_waitcnt vmcnt(7)
	v_cvt_f32_f16_e32 v1, v32
	v_add_f32_e32 v0, v9, v0
	v_add_f32_e32 v0, v0, v1
	v_cvt_f16_f32_e32 v2, v0
	v_add_u32_e32 v0, 1, v62
	v_mov_b32_e32 v1, v63
	v_lshl_add_u64 v[0:1], v[0:1], 1, s[10:11]
	global_store_short v[0:1], v2, off
	s_or_b64 exec, exec, s[36:37]
	s_and_saveexec_b64 s[36:37], s[8:9]
	s_cbranch_execz .LBB106_41
.LBB106_58:                             ;   in Loop: Header=BB106_12 Depth=1
	v_cvt_f32_i32_e32 v0, v17
	s_waitcnt vmcnt(6)
	v_cvt_f32_f16_e32 v1, v31
	v_add_f32_e32 v0, v10, v0
	v_add_f32_e32 v0, v0, v1
	v_cvt_f16_f32_e32 v2, v0
	v_add_u32_e32 v0, 2, v62
	v_mov_b32_e32 v1, v63
	v_lshl_add_u64 v[0:1], v[0:1], 1, s[10:11]
	global_store_short v[0:1], v2, off
	s_or_b64 exec, exec, s[36:37]
	v_add_u32_e32 v62, s23, v62
	s_and_saveexec_b64 s[36:37], vcc
	s_cbranch_execz .LBB106_42
.LBB106_59:                             ;   in Loop: Header=BB106_12 Depth=1
	v_cvt_f32_i32_e32 v0, v19
	s_waitcnt vmcnt(5)
	v_cvt_f32_f16_e32 v1, v30
	v_add_f32_e32 v0, v11, v0
	v_add_f32_e32 v0, v0, v1
	v_cvt_f16_f32_e32 v2, v0
	v_lshl_add_u64 v[0:1], v[62:63], 1, s[10:11]
	global_store_short v[0:1], v2, off
	s_or_b64 exec, exec, s[36:37]
	s_and_saveexec_b64 s[36:37], s[6:7]
	s_cbranch_execz .LBB106_43
.LBB106_60:                             ;   in Loop: Header=BB106_12 Depth=1
	v_cvt_f32_i32_e32 v0, v14
	s_waitcnt vmcnt(4)
	v_cvt_f32_f16_e32 v1, v28
	v_add_f32_e32 v0, v12, v0
	v_add_f32_e32 v0, v0, v1
	v_cvt_f16_f32_e32 v2, v0
	v_add_u32_e32 v0, 1, v62
	v_mov_b32_e32 v1, v63
	v_lshl_add_u64 v[0:1], v[0:1], 1, s[10:11]
	global_store_short v[0:1], v2, off
	s_or_b64 exec, exec, s[36:37]
	s_and_saveexec_b64 s[36:37], s[8:9]
	s_cbranch_execz .LBB106_44
.LBB106_61:                             ;   in Loop: Header=BB106_12 Depth=1
	v_cvt_f32_i32_e32 v0, v24
	s_waitcnt vmcnt(3)
	v_cvt_f32_f16_e32 v1, v29
	v_add_f32_e32 v0, v22, v0
	v_add_f32_e32 v0, v0, v1
	v_cvt_f16_f32_e32 v2, v0
	v_add_u32_e32 v0, 2, v62
	v_mov_b32_e32 v1, v63
	v_lshl_add_u64 v[0:1], v[0:1], 1, s[10:11]
	global_store_short v[0:1], v2, off
	s_or_b64 exec, exec, s[36:37]
	v_add_u32_e32 v62, s23, v62
	s_and_saveexec_b64 s[36:37], vcc
	s_cbranch_execz .LBB106_45
.LBB106_62:                             ;   in Loop: Header=BB106_12 Depth=1
	v_cvt_f32_i32_e32 v0, v23
	s_waitcnt vmcnt(2)
	v_cvt_f32_f16_e32 v1, v27
	v_add_f32_e32 v0, v21, v0
	v_add_f32_e32 v0, v0, v1
	v_cvt_f16_f32_e32 v2, v0
	v_lshl_add_u64 v[0:1], v[62:63], 1, s[10:11]
	global_store_short v[0:1], v2, off
	s_or_b64 exec, exec, s[36:37]
	s_and_saveexec_b64 s[36:37], s[6:7]
	s_cbranch_execz .LBB106_46
.LBB106_63:                             ;   in Loop: Header=BB106_12 Depth=1
	v_cvt_f32_i32_e32 v0, v20
	s_waitcnt vmcnt(1)
	v_cvt_f32_f16_e32 v1, v26
	v_add_f32_e32 v0, v18, v0
	v_add_f32_e32 v0, v0, v1
	v_cvt_f16_f32_e32 v2, v0
	v_add_u32_e32 v0, 1, v62
	v_mov_b32_e32 v1, v63
	v_lshl_add_u64 v[0:1], v[0:1], 1, s[10:11]
	global_store_short v[0:1], v2, off
	s_or_b64 exec, exec, s[36:37]
	s_and_b64 exec, exec, s[8:9]
	s_cbranch_execnz .LBB106_47
	s_branch .LBB106_48
.LBB106_64:
	s_endpgm
	.section	.rodata,"a",@progbits
	.p2align	6, 0x0
	.amdhsa_kernel _Z16wvSplitK_hf_big_I6__halfLi32ELi3ELi16ELi8ELi2ELi4EEviiiiiiPKT_S3_S3_PS1_ii
		.amdhsa_group_segment_fixed_size 65536
		.amdhsa_private_segment_fixed_size 0
		.amdhsa_kernarg_size 64
		.amdhsa_user_sgpr_count 2
		.amdhsa_user_sgpr_dispatch_ptr 0
		.amdhsa_user_sgpr_queue_ptr 0
		.amdhsa_user_sgpr_kernarg_segment_ptr 1
		.amdhsa_user_sgpr_dispatch_id 0
		.amdhsa_user_sgpr_kernarg_preload_length 0
		.amdhsa_user_sgpr_kernarg_preload_offset 0
		.amdhsa_user_sgpr_private_segment_size 0
		.amdhsa_uses_dynamic_stack 0
		.amdhsa_enable_private_segment 0
		.amdhsa_system_sgpr_workgroup_id_x 1
		.amdhsa_system_sgpr_workgroup_id_y 0
		.amdhsa_system_sgpr_workgroup_id_z 0
		.amdhsa_system_sgpr_workgroup_info 0
		.amdhsa_system_vgpr_workitem_id 1
		.amdhsa_next_free_vgpr 91
		.amdhsa_next_free_sgpr 54
		.amdhsa_accum_offset 92
		.amdhsa_reserve_vcc 1
		.amdhsa_float_round_mode_32 0
		.amdhsa_float_round_mode_16_64 0
		.amdhsa_float_denorm_mode_32 3
		.amdhsa_float_denorm_mode_16_64 3
		.amdhsa_dx10_clamp 1
		.amdhsa_ieee_mode 1
		.amdhsa_fp16_overflow 0
		.amdhsa_tg_split 0
		.amdhsa_exception_fp_ieee_invalid_op 0
		.amdhsa_exception_fp_denorm_src 0
		.amdhsa_exception_fp_ieee_div_zero 0
		.amdhsa_exception_fp_ieee_overflow 0
		.amdhsa_exception_fp_ieee_underflow 0
		.amdhsa_exception_fp_ieee_inexact 0
		.amdhsa_exception_int_div_zero 0
	.end_amdhsa_kernel
	.section	.text._Z16wvSplitK_hf_big_I6__halfLi32ELi3ELi16ELi8ELi2ELi4EEviiiiiiPKT_S3_S3_PS1_ii,"axG",@progbits,_Z16wvSplitK_hf_big_I6__halfLi32ELi3ELi16ELi8ELi2ELi4EEviiiiiiPKT_S3_S3_PS1_ii,comdat
.Lfunc_end106:
	.size	_Z16wvSplitK_hf_big_I6__halfLi32ELi3ELi16ELi8ELi2ELi4EEviiiiiiPKT_S3_S3_PS1_ii, .Lfunc_end106-_Z16wvSplitK_hf_big_I6__halfLi32ELi3ELi16ELi8ELi2ELi4EEviiiiiiPKT_S3_S3_PS1_ii
                                        ; -- End function
	.section	.AMDGPU.csdata,"",@progbits
; Kernel info:
; codeLenInByte = 5320
; NumSgprs: 60
; NumVgprs: 91
; NumAgprs: 0
; TotalNumVgprs: 91
; ScratchSize: 0
; MemoryBound: 0
; FloatMode: 240
; IeeeMode: 1
; LDSByteSize: 65536 bytes/workgroup (compile time only)
; SGPRBlocks: 7
; VGPRBlocks: 11
; NumSGPRsForWavesPerEU: 60
; NumVGPRsForWavesPerEU: 91
; AccumOffset: 92
; Occupancy: 2
; WaveLimiterHint : 0
; COMPUTE_PGM_RSRC2:SCRATCH_EN: 0
; COMPUTE_PGM_RSRC2:USER_SGPR: 2
; COMPUTE_PGM_RSRC2:TRAP_HANDLER: 0
; COMPUTE_PGM_RSRC2:TGID_X_EN: 1
; COMPUTE_PGM_RSRC2:TGID_Y_EN: 0
; COMPUTE_PGM_RSRC2:TGID_Z_EN: 0
; COMPUTE_PGM_RSRC2:TIDIG_COMP_CNT: 1
; COMPUTE_PGM_RSRC3_GFX90A:ACCUM_OFFSET: 22
; COMPUTE_PGM_RSRC3_GFX90A:TG_SPLIT: 0
	.section	.text._Z16wvSplitK_hf_sml_I6__halfLi32ELi4ELi16ELi8ELi1ELi4EEviiiiiiPKT_S3_S3_PS1_ii,"axG",@progbits,_Z16wvSplitK_hf_sml_I6__halfLi32ELi4ELi16ELi8ELi1ELi4EEviiiiiiPKT_S3_S3_PS1_ii,comdat
	.protected	_Z16wvSplitK_hf_sml_I6__halfLi32ELi4ELi16ELi8ELi1ELi4EEviiiiiiPKT_S3_S3_PS1_ii ; -- Begin function _Z16wvSplitK_hf_sml_I6__halfLi32ELi4ELi16ELi8ELi1ELi4EEviiiiiiPKT_S3_S3_PS1_ii
	.globl	_Z16wvSplitK_hf_sml_I6__halfLi32ELi4ELi16ELi8ELi1ELi4EEviiiiiiPKT_S3_S3_PS1_ii
	.p2align	8
	.type	_Z16wvSplitK_hf_sml_I6__halfLi32ELi4ELi16ELi8ELi1ELi4EEviiiiiiPKT_S3_S3_PS1_ii,@function
_Z16wvSplitK_hf_sml_I6__halfLi32ELi4ELi16ELi8ELi1ELi4EEviiiiiiPKT_S3_S3_PS1_ii: ; @_Z16wvSplitK_hf_sml_I6__halfLi32ELi4ELi16ELi8ELi1ELi4EEviiiiiiPKT_S3_S3_PS1_ii
; %bb.0:
	s_load_dwordx4 s[4:7], s[0:1], 0x0
	v_and_b32_e32 v4, 0x3ff, v0
	v_bfe_u32 v5, v0, 10, 10
	v_lshlrev_b32_e32 v44, 3, v4
	v_lshl_add_u32 v6, v5, 8, v44
	s_waitcnt lgkmcnt(0)
	s_lshl_b32 s24, s6, 2
	s_min_u32 s3, s24, 0x8000
	v_cmp_gt_u32_e32 vcc, s3, v6
	s_and_saveexec_b64 s[8:9], vcc
	s_cbranch_execz .LBB107_9
; %bb.1:
	s_load_dwordx2 s[10:11], s[0:1], 0x20
	v_lshlrev_b32_e32 v0, 1, v6
	v_add_u32_e32 v1, 0x1000, v6
	v_cmp_gt_u32_e32 vcc, s3, v1
	s_waitcnt lgkmcnt(0)
	global_load_dwordx4 v[8:11], v0, s[10:11]
	s_waitcnt vmcnt(0)
	ds_write_b128 v0, v[8:11]
	s_and_saveexec_b64 s[12:13], vcc
	s_xor_b64 s[12:13], exec, s[12:13]
	s_cbranch_execz .LBB107_9
; %bb.2:
	v_mov_b32_e32 v1, 0
	v_lshl_add_u64 v[2:3], s[10:11], 0, v[0:1]
	v_add_co_u32_e32 v8, vcc, 0x2000, v2
	v_add_u32_e32 v1, 0x2000, v6
	s_nop 0
	v_addc_co_u32_e32 v9, vcc, 0, v3, vcc
	global_load_dwordx4 v[8:11], v[8:9], off
	v_cmp_gt_u32_e32 vcc, s3, v1
	s_waitcnt vmcnt(0)
	ds_write_b128 v0, v[8:11] offset:8192
	s_and_saveexec_b64 s[10:11], vcc
	s_xor_b64 s[10:11], exec, s[10:11]
	s_cbranch_execz .LBB107_9
; %bb.3:
	v_add_co_u32_e32 v8, vcc, 0x4000, v2
	v_add_u32_e32 v1, 0x3000, v6
	s_nop 0
	v_addc_co_u32_e32 v9, vcc, 0, v3, vcc
	global_load_dwordx4 v[8:11], v[8:9], off
	v_cmp_gt_u32_e32 vcc, s3, v1
	s_waitcnt vmcnt(0)
	ds_write_b128 v0, v[8:11] offset:16384
	s_and_saveexec_b64 s[10:11], vcc
	s_xor_b64 s[10:11], exec, s[10:11]
	s_cbranch_execz .LBB107_9
; %bb.4:
	;; [unrolled: 12-line block ×6, first 2 shown]
	v_add_co_u32_e32 v2, vcc, 0xe000, v2
	s_nop 1
	v_addc_co_u32_e32 v3, vcc, 0, v3, vcc
	global_load_dwordx4 v[6:9], v[2:3], off
	s_waitcnt vmcnt(0)
	ds_write_b128 v0, v[6:9] offset:57344
.LBB107_9:
	s_or_b64 exec, exec, s[8:9]
	s_load_dwordx2 s[16:17], s[0:1], 0x38
	s_waitcnt lgkmcnt(0)
	s_barrier
	v_cmp_gt_u32_e32 vcc, s16, v5
	s_and_saveexec_b64 s[8:9], vcc
	s_cbranch_execz .LBB107_24
; %bb.10:
	s_load_dwordx2 s[12:13], s[0:1], 0x10
	s_mul_i32 s2, s2, s16
	v_add_lshl_u32 v28, s2, v5, 2
	v_cmp_gt_u32_e32 vcc, s7, v28
	s_and_b64 exec, exec, vcc
	s_cbranch_execz .LBB107_24
; %bb.11:
	s_load_dwordx4 s[8:11], s[0:1], 0x28
	s_load_dwordx2 s[14:15], s[0:1], 0x18
	s_cmp_lg_u32 s4, 0
	s_cselect_b64 s[2:3], -1, 0
	s_add_i32 s25, s4, -8
	s_add_i32 s26, s7, -1
	s_waitcnt lgkmcnt(0)
	s_cmp_lg_u64 s[8:9], 0
	s_cselect_b64 s[18:19], -1, 0
	s_abs_i32 s21, s13
	v_cvt_f32_u32_e32 v0, s12
	v_cvt_f32_u32_e32 v1, s21
	s_mul_i32 s20, s16, s17
	s_lshl_b32 s13, s20, 2
	v_rcp_iflag_f32_e32 v0, v0
	v_rcp_iflag_f32_e32 v1, v1
	s_sub_i32 s20, 0, s12
	v_cmp_eq_u32_e64 s[0:1], 31, v4
	v_mul_f32_e32 v0, 0x4f7ffffe, v0
	v_mul_f32_e32 v1, 0x4f7ffffe, v1
	v_cvt_u32_f32_e32 v0, v0
	v_cvt_u32_f32_e32 v1, v1
	s_mov_b64 s[16:17], 0
	v_mov_b32_e32 v31, 0
	v_mul_lo_u32 v2, s20, v0
	s_sub_i32 s20, 0, s21
	v_readfirstlane_b32 s22, v1
	s_mul_i32 s20, s20, s22
	s_mul_hi_u32 s20, s22, s20
	s_add_i32 s22, s22, s20
	s_sub_i32 s20, 1, s21
	s_cmp_lt_u32 s21, 2
	s_cselect_b32 s20, s20, 1
	s_sub_i32 s23, s20, s21
	s_cmp_ge_u32 s20, s21
	s_cselect_b32 s27, s23, s20
	s_lshr_b32 s20, s22, 31
	s_mul_i32 s20, s20, s21
	s_sub_i32 s20, 2, s20
	s_sub_i32 s23, s20, s21
	s_cmp_ge_u32 s20, s21
	s_cselect_b32 s20, s23, s20
	s_sub_i32 s23, s20, s21
	s_cmp_ge_u32 s20, s21
	s_cselect_b32 s28, s23, s20
	s_mul_hi_u32 s20, s22, 3
	s_mul_i32 s20, s20, s21
	s_sub_i32 s20, 3, s20
	s_sub_i32 s22, s20, s21
	s_cmp_ge_u32 s20, s21
	s_cselect_b32 s20, s22, s20
	s_sub_i32 s22, s20, s21
	v_mul_hi_u32 v2, v0, v2
	s_cmp_ge_u32 s20, s21
	v_add_u32_e32 v45, v0, v2
	s_cselect_b32 s29, s22, s20
	v_cndmask_b32_e64 v0, 0, 1, s[2:3]
	s_mul_i32 s27, s27, s12
	s_mul_i32 s28, s28, s12
	;; [unrolled: 1-line block ×4, first 2 shown]
	v_lshlrev_b32_e32 v46, 4, v4
	s_lshl_b32 s6, s6, 1
	v_cmp_ne_u32_e64 s[2:3], 1, v0
	s_branch .LBB107_14
.LBB107_12:                             ;   in Loop: Header=BB107_14 Depth=1
	v_cvt_f32_i32_e32 v2, v2
	v_cvt_f32_i32_e32 v4, v4
	;; [unrolled: 1-line block ×4, first 2 shown]
	v_add_f32_e32 v0, v0, v2
	v_cvt_f32_i32_e32 v2, v10
	v_add_f32_e32 v1, v1, v4
	v_add_f32_e32 v4, v5, v8
	v_cvt_f32_i32_e32 v8, v18
	v_add_f32_e32 v5, v7, v2
	v_cvt_f32_i32_e32 v2, v12
	v_cvt_f32_i32_e32 v7, v15
	v_add_f32_e32 v8, v16, v8
	s_waitcnt vmcnt(15)
	v_cvt_f32_f16_e32 v16, v54
	v_add_f32_e32 v9, v9, v2
	v_cvt_f32_i32_e32 v2, v20
	v_add_f32_e32 v7, v13, v7
	v_add_f32_e32 v0, v0, v16
	s_waitcnt vmcnt(13)
	v_cvt_f32_f16_e32 v16, v52
	v_add_f32_e32 v13, v17, v2
	v_cvt_f32_i32_e32 v2, v34
	v_cvt_f16_f32_e32 v18, v0
	s_waitcnt vmcnt(12)
	v_cvt_f32_f16_e32 v0, v51
	v_add_f32_e32 v3, v3, v6
	v_add_f32_e32 v17, v25, v2
	v_cvt_f32_f16_e32 v2, v53
	v_add_f32_e32 v0, v4, v0
	v_add_u32_e32 v30, s7, v28
	v_cvt_f32_i32_e32 v6, v14
	v_add_f32_e32 v1, v1, v2
	v_add_f32_e32 v2, v3, v16
	v_cvt_f16_f32_e32 v2, v2
	v_cvt_f16_f32_e32 v3, v0
	;; [unrolled: 1-line block ×3, first 2 shown]
	s_waitcnt vmcnt(11)
	v_cvt_f32_f16_e32 v16, v48
	v_lshl_add_u64 v[0:1], v[28:29], 1, s[10:11]
	v_pack_b32_f16 v3, v2, v3
	v_pack_b32_f16 v2, v18, v4
	global_store_dwordx2 v[0:1], v[2:3], off
	v_add_f32_e32 v0, v5, v16
	v_cvt_f16_f32_e32 v2, v0
	s_waitcnt vmcnt(11)
	v_cvt_f32_f16_e32 v3, v43
	v_lshl_add_u64 v[0:1], v[30:31], 1, s[10:11]
	v_add_f32_e32 v6, v11, v6
	global_store_short v[0:1], v2, off
	v_add_f32_e32 v0, v9, v3
	v_cvt_f16_f32_e32 v2, v0
	s_waitcnt vmcnt(11)
	v_cvt_f32_f16_e32 v3, v41
	v_add_u32_e32 v0, 1, v30
	v_mov_b32_e32 v1, v31
	v_lshl_add_u64 v[0:1], v[0:1], 1, s[10:11]
	global_store_short v[0:1], v2, off
	v_add_f32_e32 v0, v6, v3
	v_cvt_f16_f32_e32 v2, v0
	s_waitcnt vmcnt(11)
	v_cvt_f32_f16_e32 v3, v39
	v_add_u32_e32 v0, 2, v30
	v_mov_b32_e32 v1, v31
	v_lshl_add_u64 v[0:1], v[0:1], 1, s[10:11]
	global_store_short v[0:1], v2, off
	v_add_f32_e32 v0, v7, v3
	v_cvt_f16_f32_e32 v2, v0
	s_waitcnt vmcnt(11)
	v_cvt_f32_f16_e32 v3, v50
	s_waitcnt vmcnt(10)
	v_cvt_f32_f16_e32 v4, v49
	v_add_u32_e32 v0, 3, v30
	v_mov_b32_e32 v1, v31
	v_lshl_add_u64 v[0:1], v[0:1], 1, s[10:11]
	global_store_short v[0:1], v2, off
	v_add_f32_e32 v0, v8, v3
	v_cvt_f16_f32_e32 v2, v0
	v_add_f32_e32 v0, v13, v4
	v_cvt_f32_i32_e32 v10, v22
	v_cvt_f16_f32_e32 v3, v0
	s_waitcnt vmcnt(10)
	v_cvt_f32_f16_e32 v4, v47
	v_add_u32_e32 v30, s7, v30
	v_add_f32_e32 v10, v19, v10
	v_lshl_add_u64 v[0:1], v[30:31], 1, s[10:11]
	v_pack_b32_f16 v2, v2, v3
	v_cvt_f32_i32_e32 v11, v23
	global_store_dword v[0:1], v2, off
	v_add_f32_e32 v0, v10, v4
	v_cvt_f16_f32_e32 v2, v0
	s_waitcnt vmcnt(10)
	v_cvt_f32_f16_e32 v3, v42
	v_add_u32_e32 v0, 2, v30
	v_mov_b32_e32 v1, v31
	v_add_f32_e32 v11, v21, v11
	v_lshl_add_u64 v[0:1], v[0:1], 1, s[10:11]
	v_cvt_f32_i32_e32 v12, v35
	global_store_short v[0:1], v2, off
	v_add_f32_e32 v0, v11, v3
	v_cvt_f16_f32_e32 v2, v0
	s_waitcnt vmcnt(10)
	v_cvt_f32_f16_e32 v3, v40
	v_add_u32_e32 v0, 3, v30
	v_mov_b32_e32 v1, v31
	v_add_f32_e32 v12, v24, v12
	v_lshl_add_u64 v[0:1], v[0:1], 1, s[10:11]
	global_store_short v[0:1], v2, off
	v_add_f32_e32 v0, v12, v3
	v_cvt_f16_f32_e32 v2, v0
	s_waitcnt vmcnt(10)
	v_cvt_f32_f16_e32 v3, v38
	v_add_u32_e32 v30, s7, v30
	v_lshl_add_u64 v[0:1], v[30:31], 1, s[10:11]
	v_cvt_f32_i32_e32 v14, v33
	global_store_short v[0:1], v2, off
	v_add_f32_e32 v0, v17, v3
	v_cvt_f16_f32_e32 v2, v0
	s_waitcnt vmcnt(10)
	v_cvt_f32_f16_e32 v3, v37
	v_add_u32_e32 v0, 1, v30
	v_mov_b32_e32 v1, v31
	v_cvt_f32_i32_e32 v15, v32
	v_add_f32_e32 v14, v26, v14
	v_lshl_add_u64 v[0:1], v[0:1], 1, s[10:11]
	global_store_short v[0:1], v2, off
	v_add_f32_e32 v0, v14, v3
	s_waitcnt vmcnt(10)
	v_cvt_f32_f16_e32 v3, v36
	v_add_f32_e32 v15, v27, v15
	v_cvt_f16_f32_e32 v2, v0
	v_add_u32_e32 v0, 2, v30
	v_add_f32_e32 v3, v15, v3
	v_cvt_f16_f32_e32 v3, v3
	v_mov_b32_e32 v1, v31
	v_lshl_add_u64 v[0:1], v[0:1], 1, s[10:11]
	v_add_u32_e32 v30, 3, v30
	global_store_short v[0:1], v2, off
	v_lshl_add_u64 v[0:1], v[30:31], 1, s[10:11]
	global_store_short v[0:1], v3, off
.LBB107_13:                             ;   in Loop: Header=BB107_14 Depth=1
	s_or_b64 exec, exec, s[20:21]
	v_add_u32_e32 v28, s13, v28
	v_cmp_le_u32_e32 vcc, s7, v28
	s_or_b64 s[16:17], vcc, s[16:17]
	s_andn2_b64 exec, exec, s[16:17]
	s_cbranch_execz .LBB107_24
.LBB107_14:                             ; =>This Loop Header: Depth=1
                                        ;     Child Loop BB107_17 Depth 2
	s_mov_b32 s22, 0
	s_and_b64 vcc, exec, s[2:3]
	v_mov_b32_e32 v61, v31
	v_mov_b32_e32 v60, v31
	;; [unrolled: 1-line block ×16, first 2 shown]
	s_cbranch_vccnz .LBB107_19
; %bb.15:                               ;   in Loop: Header=BB107_14 Depth=1
	v_min_u32_e32 v0, s26, v28
	v_mul_lo_u32 v32, v0, s5
	v_or_b32_e32 v0, 1, v28
	v_min_u32_e32 v0, s26, v0
	v_mul_lo_u32 v34, v0, s5
	v_or_b32_e32 v0, 2, v28
	;; [unrolled: 3-line block ×3, first 2 shown]
	v_min_u32_e32 v0, s26, v0
	v_mov_b32_e32 v33, v31
	v_mov_b32_e32 v35, v31
	;; [unrolled: 1-line block ×3, first 2 shown]
	v_mul_lo_u32 v38, v0, s5
	v_mov_b32_e32 v39, v31
	v_mov_b32_e32 v57, 0
	;; [unrolled: 1-line block ×18, first 2 shown]
	s_branch .LBB107_17
.LBB107_16:                             ;   in Loop: Header=BB107_17 Depth=2
	s_or_b64 exec, exec, s[20:21]
	s_waitcnt vmcnt(3) lgkmcnt(4)
	;;#ASMSTART
	v_dot2c_f32_f16 v61, v24, v12
	;;#ASMEND
	s_waitcnt vmcnt(2)
	;;#ASMSTART
	v_dot2c_f32_f16 v60, v24, v8
	;;#ASMEND
	s_waitcnt vmcnt(1)
	;; [unrolled: 4-line block ×3, first 2 shown]
	;;#ASMSTART
	v_dot2c_f32_f16 v58, v24, v0
	;;#ASMEND
	s_waitcnt lgkmcnt(3)
	;;#ASMSTART
	v_dot2c_f32_f16 v57, v20, v12
	;;#ASMEND
	;;#ASMSTART
	v_dot2c_f32_f16 v56, v20, v8
	;;#ASMEND
	;;#ASMSTART
	v_dot2c_f32_f16 v55, v20, v4
	;;#ASMEND
	;;#ASMSTART
	v_dot2c_f32_f16 v54, v20, v0
	;;#ASMEND
	s_waitcnt lgkmcnt(2)
	;;#ASMSTART
	v_dot2c_f32_f16 v53, v40, v12
	;;#ASMEND
	;;#ASMSTART
	v_dot2c_f32_f16 v52, v40, v8
	;;#ASMEND
	;;#ASMSTART
	v_dot2c_f32_f16 v51, v40, v4
	;;#ASMEND
	;; [unrolled: 13-line block ×3, first 2 shown]
	;;#ASMSTART
	v_dot2c_f32_f16 v29, v16, v0
	;;#ASMEND
	;;#ASMSTART
	v_dot2c_f32_f16 v61, v25, v13
	;;#ASMEND
	;; [unrolled: 3-line block ×13, first 2 shown]
	s_nop 0
	;;#ASMSTART
	v_dot2c_f32_f16 v49, v17, v13
	;;#ASMEND
	;;#ASMSTART
	v_dot2c_f32_f16 v48, v17, v9
	;;#ASMEND
	;; [unrolled: 3-line block ×4, first 2 shown]
	s_addk_i32 s22, 0x100
	;;#ASMSTART
	v_dot2c_f32_f16 v61, v26, v14
	;;#ASMEND
	;;#ASMSTART
	v_dot2c_f32_f16 v60, v26, v10
	;;#ASMEND
	;; [unrolled: 3-line block ×16, first 2 shown]
	s_cmp_ge_u32 s22, s4
	v_add_u32_e32 v62, 0x200, v62
	;;#ASMSTART
	v_dot2c_f32_f16 v61, v27, v15
	;;#ASMEND
	;;#ASMSTART
	v_dot2c_f32_f16 v60, v27, v11
	;;#ASMEND
	;; [unrolled: 3-line block ×16, first 2 shown]
	s_cbranch_scc1 .LBB107_19
.LBB107_17:                             ;   Parent Loop BB107_14 Depth=1
                                        ; =>  This Inner Loop Header: Depth=2
	v_add_u32_e32 v20, s22, v44
	v_min_u32_e32 v30, s25, v20
	v_lshl_add_u64 v[0:1], v[30:31], 1, s[14:15]
	v_lshl_add_u64 v[2:3], v[32:33], 1, v[0:1]
	;; [unrolled: 1-line block ×4, first 2 shown]
	global_load_dwordx4 v[12:15], v[2:3], off nt
	global_load_dwordx4 v[8:11], v[4:5], off nt
	v_lshl_add_u64 v[18:19], v[38:39], 1, v[0:1]
	global_load_dwordx4 v[4:7], v[16:17], off nt
	global_load_dwordx4 v[0:3], v[18:19], off nt
	v_cmp_gt_u32_e32 vcc, s4, v20
	v_mov_b32_e32 v24, 0
	v_mov_b32_e32 v25, 0
	v_mov_b32_e32 v26, 0
	v_mov_b32_e32 v27, 0
	v_mov_b32_e32 v20, 0
	v_mov_b32_e32 v21, 0
	v_mov_b32_e32 v22, 0
	v_mov_b32_e32 v23, 0
	v_mov_b32_e32 v40, 0
	v_mov_b32_e32 v41, 0
	v_mov_b32_e32 v42, 0
	v_mov_b32_e32 v43, 0
	v_mov_b32_e32 v16, 0
	v_mov_b32_e32 v17, 0
	v_mov_b32_e32 v18, 0
	v_mov_b32_e32 v19, 0
	s_and_saveexec_b64 s[20:21], vcc
	s_cbranch_execz .LBB107_16
; %bb.18:                               ;   in Loop: Header=BB107_17 Depth=2
	v_add_u32_e32 v16, s6, v62
	ds_read_b128 v[24:27], v62
	v_add_u32_e32 v17, s24, v62
	ds_read_b128 v[20:23], v16
	ds_read2_b32 v[40:41], v17 offset1:1
	v_add_u32_e32 v16, s30, v62
	ds_read2_b32 v[42:43], v17 offset0:2 offset1:3
	ds_read_b128 v[16:19], v16
	s_branch .LBB107_16
.LBB107_19:                             ;   in Loop: Header=BB107_14 Depth=1
	; sched_barrier mask(0x00000000)
	v_cvt_i32_f32_e32 v0, v61
	v_cvt_i32_f32_e32 v1, v60
	;; [unrolled: 1-line block ×4, first 2 shown]
	v_cvt_f32_i32_dpp v0, v0 row_shr:8 row_mask:0xf bank_mask:0xf bound_ctrl:1
	v_cvt_f32_i32_dpp v1, v1 row_shr:8 row_mask:0xf bank_mask:0xf bound_ctrl:1
	;; [unrolled: 1-line block ×4, first 2 shown]
	v_add_f32_e32 v0, v61, v0
	v_cvt_i32_f32_e32 v4, v0
	v_add_f32_e32 v1, v60, v1
	v_cvt_i32_f32_e32 v5, v1
	v_add_f32_e32 v2, v59, v2
	v_cvt_f32_i32_dpp v4, v4 row_shr:4 row_mask:0xf bank_mask:0xf bound_ctrl:1
	v_cvt_i32_f32_e32 v6, v2
	v_cvt_f32_i32_dpp v5, v5 row_shr:4 row_mask:0xf bank_mask:0xf bound_ctrl:1
	v_add_f32_e32 v3, v58, v3
	v_add_f32_e32 v0, v0, v4
	v_cvt_i32_f32_e32 v4, v0
	v_add_f32_e32 v1, v1, v5
	v_cvt_i32_f32_e32 v5, v1
	v_cvt_f32_i32_dpp v6, v6 row_shr:4 row_mask:0xf bank_mask:0xf bound_ctrl:1
	v_cvt_f32_i32_dpp v4, v4 row_shr:2 row_mask:0xf bank_mask:0xf bound_ctrl:1
	v_cvt_i32_f32_e32 v7, v3
	v_cvt_f32_i32_dpp v5, v5 row_shr:2 row_mask:0xf bank_mask:0xf bound_ctrl:1
	v_add_f32_e32 v2, v2, v6
	v_add_f32_e32 v0, v0, v4
	v_cvt_i32_f32_e32 v4, v0
	v_add_f32_e32 v1, v1, v5
	v_cvt_i32_f32_e32 v5, v1
	v_cvt_i32_f32_e32 v6, v2
	v_cvt_f32_i32_dpp v4, v4 row_shr:1 row_mask:0xf bank_mask:0xf bound_ctrl:1
	v_cvt_f32_i32_dpp v7, v7 row_shr:4 row_mask:0xf bank_mask:0xf bound_ctrl:1
	;; [unrolled: 1-line block ×4, first 2 shown]
	v_add_f32_e32 v0, v0, v4
	v_cvt_i32_f32_e32 v4, v0
	v_add_f32_e32 v1, v1, v5
	v_cvt_i32_f32_e32 v5, v1
	v_add_f32_e32 v6, v2, v6
	v_cvt_f32_i32_dpp v4, v4 row_bcast:15 row_mask:0xf bank_mask:0xf bound_ctrl:1
	v_cvt_i32_f32_e32 v2, v6
	v_cvt_f32_i32_dpp v5, v5 row_bcast:15 row_mask:0xf bank_mask:0xf bound_ctrl:1
	v_add_f32_e32 v3, v3, v7
	v_add_f32_e32 v0, v0, v4
	v_cvt_i32_f32_e32 v4, v0
	v_cvt_f32_i32_dpp v7, v2 row_shr:1 row_mask:0xf bank_mask:0xf bound_ctrl:1
	v_add_f32_e32 v1, v1, v5
	v_cvt_i32_f32_e32 v5, v1
	v_mov_b32_dpp v2, v4 row_bcast:31 row_mask:0xf bank_mask:0xf bound_ctrl:1
	v_cvt_i32_f32_e32 v4, v3
	v_add_f32_e32 v6, v6, v7
	v_cvt_i32_f32_e32 v7, v57
	v_cvt_i32_f32_e32 v8, v6
	v_cvt_f32_i32_dpp v9, v4 row_shr:2 row_mask:0xf bank_mask:0xf bound_ctrl:1
	v_mov_b32_dpp v4, v5 row_bcast:31 row_mask:0xf bank_mask:0xf bound_ctrl:1
	v_cvt_f32_i32_dpp v5, v7 row_shr:8 row_mask:0xf bank_mask:0xf bound_ctrl:1
	v_cvt_f32_i32_dpp v7, v8 row_bcast:15 row_mask:0xf bank_mask:0xf bound_ctrl:1
	v_add_f32_e32 v8, v3, v9
	v_cvt_i32_f32_e32 v9, v8
	v_add_f32_e32 v5, v57, v5
	v_cvt_i32_f32_e32 v10, v5
	v_add_f32_e32 v3, v6, v7
	v_cvt_f32_i32_dpp v6, v9 row_shr:1 row_mask:0xf bank_mask:0xf bound_ctrl:1
	v_cvt_i32_f32_e32 v7, v56
	v_cvt_f32_i32_dpp v9, v10 row_shr:4 row_mask:0xf bank_mask:0xf bound_ctrl:1
	v_cvt_i32_f32_e32 v10, v3
	v_add_f32_e32 v8, v8, v6
	v_cvt_f32_i32_dpp v6, v7 row_shr:8 row_mask:0xf bank_mask:0xf bound_ctrl:1
	v_add_f32_e32 v5, v5, v9
	v_cvt_i32_f32_e32 v7, v5
	v_cvt_i32_f32_e32 v9, v8
	v_add_f32_e32 v11, v56, v6
	v_cvt_i32_f32_e32 v12, v11
	v_cvt_f32_i32_dpp v7, v7 row_shr:2 row_mask:0xf bank_mask:0xf bound_ctrl:1
	v_mov_b32_dpp v6, v10 row_bcast:31 row_mask:0xf bank_mask:0xf bound_ctrl:1
	v_cvt_f32_i32_dpp v9, v9 row_bcast:15 row_mask:0xf bank_mask:0xf bound_ctrl:1
	v_cvt_f32_i32_dpp v10, v12 row_shr:4 row_mask:0xf bank_mask:0xf bound_ctrl:1
	v_add_f32_e32 v7, v5, v7
	v_cvt_i32_f32_e32 v12, v7
	v_add_f32_e32 v5, v8, v9
	v_add_f32_e32 v8, v11, v10
	v_cvt_i32_f32_e32 v9, v8
	v_cvt_f32_i32_dpp v10, v12 row_shr:1 row_mask:0xf bank_mask:0xf bound_ctrl:1
	v_cvt_i32_f32_e32 v11, v55
	v_cvt_i32_f32_e32 v12, v5
	v_cvt_f32_i32_dpp v9, v9 row_shr:2 row_mask:0xf bank_mask:0xf bound_ctrl:1
	v_add_f32_e32 v7, v7, v10
	v_cvt_f32_i32_dpp v10, v11 row_shr:8 row_mask:0xf bank_mask:0xf bound_ctrl:1
	v_cvt_i32_f32_e32 v11, v7
	v_add_f32_e32 v9, v8, v9
	v_cvt_i32_f32_e32 v8, v9
	v_add_f32_e32 v10, v55, v10
	v_cvt_i32_f32_e32 v13, v10
	v_cvt_f32_i32_dpp v11, v11 row_bcast:15 row_mask:0xf bank_mask:0xf bound_ctrl:1
	v_cvt_f32_i32_dpp v14, v8 row_shr:1 row_mask:0xf bank_mask:0xf bound_ctrl:1
	v_mov_b32_dpp v8, v12 row_bcast:31 row_mask:0xf bank_mask:0xf bound_ctrl:1
	v_cvt_f32_i32_dpp v12, v13 row_shr:4 row_mask:0xf bank_mask:0xf bound_ctrl:1
	v_add_f32_e32 v7, v7, v11
	v_cvt_i32_f32_e32 v11, v54
	v_add_f32_e32 v9, v9, v14
	v_add_f32_e32 v10, v10, v12
	v_cvt_i32_f32_e32 v12, v10
	v_cvt_f32_i32_dpp v11, v11 row_shr:8 row_mask:0xf bank_mask:0xf bound_ctrl:1
	v_cvt_i32_f32_e32 v14, v7
	v_cvt_i32_f32_e32 v13, v9
	v_cvt_f32_i32_dpp v12, v12 row_shr:2 row_mask:0xf bank_mask:0xf bound_ctrl:1
	v_add_f32_e32 v11, v54, v11
	v_cvt_i32_f32_e32 v15, v11
	v_cvt_f32_i32_dpp v13, v13 row_bcast:15 row_mask:0xf bank_mask:0xf bound_ctrl:1
	v_add_f32_e32 v12, v10, v12
	v_mov_b32_dpp v10, v14 row_bcast:31 row_mask:0xf bank_mask:0xf bound_ctrl:1
	v_cvt_f32_i32_dpp v14, v15 row_shr:4 row_mask:0xf bank_mask:0xf bound_ctrl:1
	v_cvt_i32_f32_e32 v16, v12
	v_cvt_i32_f32_e32 v15, v53
	v_add_f32_e32 v9, v9, v13
	v_add_f32_e32 v11, v11, v14
	v_cvt_f32_i32_dpp v13, v16 row_shr:1 row_mask:0xf bank_mask:0xf bound_ctrl:1
	v_cvt_i32_f32_e32 v14, v11
	v_cvt_f32_i32_dpp v15, v15 row_shr:8 row_mask:0xf bank_mask:0xf bound_ctrl:1
	v_cvt_i32_f32_e32 v16, v9
	v_add_f32_e32 v13, v12, v13
	v_cvt_f32_i32_dpp v12, v14 row_shr:2 row_mask:0xf bank_mask:0xf bound_ctrl:1
	v_add_f32_e32 v15, v53, v15
	v_cvt_i32_f32_e32 v14, v13
	v_cvt_i32_f32_e32 v17, v15
	v_add_f32_e32 v18, v11, v12
	v_cvt_i32_f32_e32 v11, v18
	v_cvt_f32_i32_dpp v14, v14 row_bcast:15 row_mask:0xf bank_mask:0xf bound_ctrl:1
	v_cvt_f32_i32_dpp v17, v17 row_shr:4 row_mask:0xf bank_mask:0xf bound_ctrl:1
	v_mov_b32_dpp v12, v16 row_bcast:31 row_mask:0xf bank_mask:0xf bound_ctrl:1
	v_cvt_f32_i32_dpp v16, v11 row_shr:1 row_mask:0xf bank_mask:0xf bound_ctrl:1
	v_add_f32_e32 v11, v13, v14
	v_add_f32_e32 v13, v15, v17
	v_cvt_i32_f32_e32 v14, v13
	v_add_f32_e32 v15, v18, v16
	v_cvt_i32_f32_e32 v16, v52
	v_cvt_i32_f32_e32 v17, v15
	v_cvt_f32_i32_dpp v14, v14 row_shr:2 row_mask:0xf bank_mask:0xf bound_ctrl:1
	v_cvt_i32_f32_e32 v18, v11
	v_cvt_f32_i32_dpp v16, v16 row_shr:8 row_mask:0xf bank_mask:0xf bound_ctrl:1
	v_cvt_f32_i32_dpp v17, v17 row_bcast:15 row_mask:0xf bank_mask:0xf bound_ctrl:1
	v_add_f32_e32 v19, v13, v14
	v_cvt_i32_f32_e32 v13, v19
	v_add_f32_e32 v16, v52, v16
	v_cvt_i32_f32_e32 v20, v16
	v_mov_b32_dpp v14, v18 row_bcast:31 row_mask:0xf bank_mask:0xf bound_ctrl:1
	v_cvt_f32_i32_dpp v18, v13 row_shr:1 row_mask:0xf bank_mask:0xf bound_ctrl:1
	v_add_f32_e32 v13, v15, v17
	v_cvt_f32_i32_dpp v15, v20 row_shr:4 row_mask:0xf bank_mask:0xf bound_ctrl:1
	v_cvt_i32_f32_e32 v17, v13
	v_add_f32_e32 v18, v19, v18
	v_cvt_i32_f32_e32 v19, v51
	v_add_f32_e32 v16, v16, v15
	v_cvt_i32_f32_e32 v20, v16
	v_cvt_i32_f32_e32 v21, v18
	v_cvt_f32_i32_dpp v19, v19 row_shr:8 row_mask:0xf bank_mask:0xf bound_ctrl:1
	v_mov_b32_dpp v15, v17 row_bcast:31 row_mask:0xf bank_mask:0xf bound_ctrl:1
	v_cvt_f32_i32_dpp v17, v20 row_shr:2 row_mask:0xf bank_mask:0xf bound_ctrl:1
	v_cvt_f32_i32_dpp v20, v21 row_bcast:15 row_mask:0xf bank_mask:0xf bound_ctrl:1
	v_add_f32_e32 v19, v51, v19
	v_cvt_i32_f32_e32 v21, v19
	v_cvt_i32_f32_e32 v22, v50
	v_add_f32_e32 v17, v16, v17
	v_add_f32_e32 v16, v18, v20
	v_cvt_f32_i32_dpp v21, v21 row_shr:4 row_mask:0xf bank_mask:0xf bound_ctrl:1
	v_cvt_f32_i32_dpp v18, v22 row_shr:8 row_mask:0xf bank_mask:0xf bound_ctrl:1
	v_cvt_i32_f32_e32 v23, v17
	v_add_f32_e32 v19, v19, v21
	v_cvt_i32_f32_e32 v21, v19
	v_add_f32_e32 v18, v50, v18
	v_cvt_f32_i32_dpp v20, v23 row_shr:1 row_mask:0xf bank_mask:0xf bound_ctrl:1
	v_cvt_i32_f32_e32 v22, v18
	v_cvt_f32_i32_dpp v21, v21 row_shr:2 row_mask:0xf bank_mask:0xf bound_ctrl:1
	v_cvt_i32_f32_e32 v23, v16
	v_add_f32_e32 v17, v17, v20
	v_cvt_f32_i32_dpp v20, v22 row_shr:4 row_mask:0xf bank_mask:0xf bound_ctrl:1
	v_add_f32_e32 v19, v19, v21
	v_cvt_i32_f32_e32 v21, v19
	v_cvt_i32_f32_e32 v22, v17
	v_add_f32_e32 v20, v18, v20
	v_cvt_i32_f32_e32 v24, v20
	v_cvt_f32_i32_dpp v21, v21 row_shr:1 row_mask:0xf bank_mask:0xf bound_ctrl:1
	v_mov_b32_dpp v18, v23 row_bcast:31 row_mask:0xf bank_mask:0xf bound_ctrl:1
	v_cvt_f32_i32_dpp v22, v22 row_bcast:15 row_mask:0xf bank_mask:0xf bound_ctrl:1
	v_cvt_f32_i32_dpp v23, v24 row_shr:2 row_mask:0xf bank_mask:0xf bound_ctrl:1
	v_add_f32_e32 v19, v19, v21
	v_cvt_i32_f32_e32 v21, v49
	v_add_f32_e32 v17, v17, v22
	v_add_f32_e32 v20, v20, v23
	v_cvt_i32_f32_e32 v22, v20
	v_cvt_f32_i32_dpp v21, v21 row_shr:8 row_mask:0xf bank_mask:0xf bound_ctrl:1
	v_cvt_i32_f32_e32 v24, v17
	v_cvt_i32_f32_e32 v23, v19
	v_cvt_f32_i32_dpp v22, v22 row_shr:1 row_mask:0xf bank_mask:0xf bound_ctrl:1
	v_add_f32_e32 v21, v49, v21
	v_cvt_i32_f32_e32 v25, v21
	v_cvt_f32_i32_dpp v23, v23 row_bcast:15 row_mask:0xf bank_mask:0xf bound_ctrl:1
	v_add_f32_e32 v22, v20, v22
	v_mov_b32_dpp v20, v24 row_bcast:31 row_mask:0xf bank_mask:0xf bound_ctrl:1
	v_cvt_f32_i32_dpp v24, v25 row_shr:4 row_mask:0xf bank_mask:0xf bound_ctrl:1
	v_cvt_i32_f32_e32 v26, v22
	v_cvt_i32_f32_e32 v25, v48
	v_add_f32_e32 v19, v19, v23
	v_add_f32_e32 v24, v21, v24
	v_cvt_f32_i32_dpp v23, v26 row_bcast:15 row_mask:0xf bank_mask:0xf bound_ctrl:1
	v_cvt_i32_f32_e32 v26, v24
	v_cvt_f32_i32_dpp v25, v25 row_shr:8 row_mask:0xf bank_mask:0xf bound_ctrl:1
	v_cvt_i32_f32_e32 v27, v19
	v_add_f32_e32 v21, v22, v23
	v_cvt_f32_i32_dpp v22, v26 row_shr:2 row_mask:0xf bank_mask:0xf bound_ctrl:1
	v_add_f32_e32 v25, v48, v25
	v_cvt_i32_f32_e32 v26, v25
	v_cvt_i32_f32_e32 v23, v21
	v_add_f32_e32 v24, v24, v22
	v_cvt_i32_f32_e32 v30, v24
	v_cvt_f32_i32_dpp v26, v26 row_shr:4 row_mask:0xf bank_mask:0xf bound_ctrl:1
	v_mov_b32_dpp v22, v27 row_bcast:31 row_mask:0xf bank_mask:0xf bound_ctrl:1
	v_mov_b32_dpp v23, v23 row_bcast:31 row_mask:0xf bank_mask:0xf bound_ctrl:1
	v_cvt_f32_i32_dpp v27, v30 row_shr:1 row_mask:0xf bank_mask:0xf bound_ctrl:1
	v_cvt_i32_f32_e32 v30, v47
	v_add_f32_e32 v25, v25, v26
	v_cvt_i32_f32_e32 v26, v29
	v_cvt_i32_f32_e32 v32, v25
	v_cvt_f32_i32_dpp v30, v30 row_shr:8 row_mask:0xf bank_mask:0xf bound_ctrl:1
	v_add_f32_e32 v24, v24, v27
	v_cvt_f32_i32_dpp v26, v26 row_shr:8 row_mask:0xf bank_mask:0xf bound_ctrl:1
	v_cvt_f32_i32_dpp v27, v32 row_shr:2 row_mask:0xf bank_mask:0xf bound_ctrl:1
	v_add_f32_e32 v30, v47, v30
	v_cvt_i32_f32_e32 v32, v30
	v_add_f32_e32 v26, v29, v26
	v_cvt_i32_f32_e32 v29, v26
	v_add_f32_e32 v25, v25, v27
	v_cvt_f32_i32_dpp v32, v32 row_shr:4 row_mask:0xf bank_mask:0xf bound_ctrl:1
	v_cvt_i32_f32_e32 v33, v24
	v_cvt_f32_i32_dpp v27, v29 row_shr:4 row_mask:0xf bank_mask:0xf bound_ctrl:1
	v_cvt_i32_f32_e32 v29, v25
	v_add_f32_e32 v30, v30, v32
	v_cvt_i32_f32_e32 v32, v30
	v_add_f32_e32 v26, v26, v27
	v_cvt_i32_f32_e32 v27, v26
	v_cvt_f32_i32_dpp v29, v29 row_shr:1 row_mask:0xf bank_mask:0xf bound_ctrl:1
	v_cvt_f32_i32_dpp v32, v32 row_shr:2 row_mask:0xf bank_mask:0xf bound_ctrl:1
	v_cvt_f32_i32_dpp v33, v33 row_bcast:15 row_mask:0xf bank_mask:0xf bound_ctrl:1
	v_cvt_f32_i32_dpp v27, v27 row_shr:2 row_mask:0xf bank_mask:0xf bound_ctrl:1
	v_add_f32_e32 v25, v25, v29
	v_add_f32_e32 v29, v30, v32
	v_cvt_i32_f32_e32 v30, v29
	v_add_f32_e32 v26, v26, v27
	v_cvt_i32_f32_e32 v27, v26
	v_cvt_i32_f32_e32 v32, v25
	v_cvt_f32_i32_dpp v30, v30 row_shr:1 row_mask:0xf bank_mask:0xf bound_ctrl:1
	v_add_f32_e32 v24, v24, v33
	v_cvt_f32_i32_dpp v27, v27 row_shr:1 row_mask:0xf bank_mask:0xf bound_ctrl:1
	v_cvt_f32_i32_dpp v32, v32 row_bcast:15 row_mask:0xf bank_mask:0xf bound_ctrl:1
	v_add_f32_e32 v29, v29, v30
	v_cvt_i32_f32_e32 v30, v29
	v_add_f32_e32 v27, v26, v27
	v_cvt_i32_f32_e32 v26, v27
	v_add_f32_e32 v25, v25, v32
	v_cvt_f32_i32_dpp v30, v30 row_bcast:15 row_mask:0xf bank_mask:0xf bound_ctrl:1
	v_cvt_i32_f32_e32 v33, v24
	v_cvt_f32_i32_dpp v32, v26 row_bcast:15 row_mask:0xf bank_mask:0xf bound_ctrl:1
	v_cvt_i32_f32_e32 v34, v25
	v_add_f32_e32 v26, v29, v30
	v_cvt_i32_f32_e32 v29, v26
	v_add_f32_e32 v27, v27, v32
	v_cvt_i32_f32_e32 v30, v27
	v_mov_b32_dpp v35, v33 row_bcast:31 row_mask:0xf bank_mask:0xf bound_ctrl:1
	v_mov_b32_dpp v34, v34 row_bcast:31 row_mask:0xf bank_mask:0xf bound_ctrl:1
	;; [unrolled: 1-line block ×4, first 2 shown]
	s_and_saveexec_b64 s[20:21], s[0:1]
	s_cbranch_execz .LBB107_13
; %bb.20:                               ;   in Loop: Header=BB107_14 Depth=1
	s_and_b64 vcc, exec, s[18:19]
	s_cbranch_vccz .LBB107_22
; %bb.21:                               ;   in Loop: Header=BB107_14 Depth=1
	v_mul_hi_u32 v29, v28, v45
	v_mul_lo_u32 v29, v29, s12
	v_sub_u32_e32 v29, v28, v29
	v_subrev_u32_e32 v30, s12, v29
	v_cmp_le_u32_e32 vcc, s12, v29
	v_mov_b32_e32 v39, v31
	v_mov_b32_e32 v49, v31
	v_cndmask_b32_e32 v29, v29, v30, vcc
	v_subrev_u32_e32 v30, s12, v29
	v_cmp_le_u32_e32 vcc, s12, v29
	v_mov_b32_e32 v41, v31
	v_mov_b32_e32 v43, v31
	v_cndmask_b32_e32 v30, v29, v30, vcc
	v_or_b32_e32 v29, 1, v28
	v_mul_hi_u32 v38, v29, v45
	v_mul_lo_u32 v38, v38, s12
	v_sub_u32_e32 v29, v29, v38
	v_subrev_u32_e32 v38, s12, v29
	v_cmp_le_u32_e32 vcc, s12, v29
	v_add_u32_e32 v48, s27, v30
	v_lshl_add_u64 v[62:63], v[48:49], 1, s[8:9]
	v_cndmask_b32_e32 v29, v29, v38, vcc
	v_subrev_u32_e32 v38, s12, v29
	v_cmp_le_u32_e32 vcc, s12, v29
	v_lshl_add_u64 v[36:37], v[30:31], 1, s[8:9]
	s_nop 0
	v_cndmask_b32_e32 v38, v29, v38, vcc
	v_or_b32_e32 v29, 2, v28
	v_lshl_add_u64 v[56:57], v[38:39], 1, s[8:9]
	v_mul_hi_u32 v39, v29, v45
	v_mul_lo_u32 v39, v39, s12
	v_sub_u32_e32 v29, v29, v39
	v_subrev_u32_e32 v39, s12, v29
	v_cmp_le_u32_e32 vcc, s12, v29
	v_add_u32_e32 v48, s27, v38
	v_lshl_add_u64 v[64:65], v[48:49], 1, s[8:9]
	v_cndmask_b32_e32 v29, v29, v39, vcc
	v_subrev_u32_e32 v39, s12, v29
	v_cmp_le_u32_e32 vcc, s12, v29
	s_nop 1
	v_cndmask_b32_e32 v40, v29, v39, vcc
	v_or_b32_e32 v29, 3, v28
	v_mul_hi_u32 v39, v29, v45
	v_mul_lo_u32 v39, v39, s12
	v_sub_u32_e32 v29, v29, v39
	v_subrev_u32_e32 v39, s12, v29
	v_cmp_le_u32_e32 vcc, s12, v29
	v_add_u32_e32 v48, s27, v40
	v_lshl_add_u64 v[66:67], v[48:49], 1, s[8:9]
	v_cndmask_b32_e32 v29, v29, v39, vcc
	v_subrev_u32_e32 v39, s12, v29
	v_cmp_le_u32_e32 vcc, s12, v29
	v_lshl_add_u64 v[58:59], v[40:41], 1, s[8:9]
	s_nop 0
	v_cndmask_b32_e32 v42, v29, v39, vcc
	v_add_u32_e32 v48, s27, v42
	v_lshl_add_u64 v[60:61], v[42:43], 1, s[8:9]
	v_lshl_add_u64 v[68:69], v[48:49], 1, s[8:9]
	global_load_ushort v54, v[36:37], off
	global_load_ushort v53, v[56:57], off
	;; [unrolled: 1-line block ×8, first 2 shown]
	v_add_u32_e32 v36, s28, v30
	v_mov_b32_e32 v37, v31
	v_add_u32_e32 v30, s29, v30
	v_lshl_add_u64 v[56:57], v[36:37], 1, s[8:9]
	v_add_u32_e32 v36, s28, v38
	v_lshl_add_u64 v[64:65], v[30:31], 1, s[8:9]
	;; [unrolled: 2-line block ×7, first 2 shown]
	v_lshl_add_u64 v[70:71], v[30:31], 1, s[8:9]
	global_load_ushort v50, v[56:57], off
	global_load_ushort v49, v[58:59], off
	;; [unrolled: 1-line block ×8, first 2 shown]
	v_mov_b32_e32 v29, v31
	s_cbranch_execnz .LBB107_12
	s_branch .LBB107_23
.LBB107_22:                             ;   in Loop: Header=BB107_14 Depth=1
                                        ; implicit-def: $vgpr36
                                        ; implicit-def: $vgpr37
                                        ; implicit-def: $vgpr38
                                        ; implicit-def: $vgpr40
                                        ; implicit-def: $vgpr42
                                        ; implicit-def: $vgpr47
                                        ; implicit-def: $vgpr49
                                        ; implicit-def: $vgpr50
                                        ; implicit-def: $vgpr39
                                        ; implicit-def: $vgpr41
                                        ; implicit-def: $vgpr43
                                        ; implicit-def: $vgpr48
                                        ; implicit-def: $vgpr51
                                        ; implicit-def: $vgpr52
                                        ; implicit-def: $vgpr53
                                        ; implicit-def: $vgpr54
.LBB107_23:                             ;   in Loop: Header=BB107_14 Depth=1
	v_mov_b32_e32 v29, v31
	s_waitcnt vmcnt(15)
	v_mov_b32_e32 v54, 0
	s_waitcnt vmcnt(14)
	;; [unrolled: 2-line block ×16, first 2 shown]
	v_mov_b32_e32 v36, 0
	s_branch .LBB107_12
.LBB107_24:
	s_endpgm
	.section	.rodata,"a",@progbits
	.p2align	6, 0x0
	.amdhsa_kernel _Z16wvSplitK_hf_sml_I6__halfLi32ELi4ELi16ELi8ELi1ELi4EEviiiiiiPKT_S3_S3_PS1_ii
		.amdhsa_group_segment_fixed_size 65536
		.amdhsa_private_segment_fixed_size 0
		.amdhsa_kernarg_size 64
		.amdhsa_user_sgpr_count 2
		.amdhsa_user_sgpr_dispatch_ptr 0
		.amdhsa_user_sgpr_queue_ptr 0
		.amdhsa_user_sgpr_kernarg_segment_ptr 1
		.amdhsa_user_sgpr_dispatch_id 0
		.amdhsa_user_sgpr_kernarg_preload_length 0
		.amdhsa_user_sgpr_kernarg_preload_offset 0
		.amdhsa_user_sgpr_private_segment_size 0
		.amdhsa_uses_dynamic_stack 0
		.amdhsa_enable_private_segment 0
		.amdhsa_system_sgpr_workgroup_id_x 1
		.amdhsa_system_sgpr_workgroup_id_y 0
		.amdhsa_system_sgpr_workgroup_id_z 0
		.amdhsa_system_sgpr_workgroup_info 0
		.amdhsa_system_vgpr_workitem_id 1
		.amdhsa_next_free_vgpr 72
		.amdhsa_next_free_sgpr 31
		.amdhsa_accum_offset 72
		.amdhsa_reserve_vcc 1
		.amdhsa_float_round_mode_32 0
		.amdhsa_float_round_mode_16_64 0
		.amdhsa_float_denorm_mode_32 3
		.amdhsa_float_denorm_mode_16_64 3
		.amdhsa_dx10_clamp 1
		.amdhsa_ieee_mode 1
		.amdhsa_fp16_overflow 0
		.amdhsa_tg_split 0
		.amdhsa_exception_fp_ieee_invalid_op 0
		.amdhsa_exception_fp_denorm_src 0
		.amdhsa_exception_fp_ieee_div_zero 0
		.amdhsa_exception_fp_ieee_overflow 0
		.amdhsa_exception_fp_ieee_underflow 0
		.amdhsa_exception_fp_ieee_inexact 0
		.amdhsa_exception_int_div_zero 0
	.end_amdhsa_kernel
	.section	.text._Z16wvSplitK_hf_sml_I6__halfLi32ELi4ELi16ELi8ELi1ELi4EEviiiiiiPKT_S3_S3_PS1_ii,"axG",@progbits,_Z16wvSplitK_hf_sml_I6__halfLi32ELi4ELi16ELi8ELi1ELi4EEviiiiiiPKT_S3_S3_PS1_ii,comdat
.Lfunc_end107:
	.size	_Z16wvSplitK_hf_sml_I6__halfLi32ELi4ELi16ELi8ELi1ELi4EEviiiiiiPKT_S3_S3_PS1_ii, .Lfunc_end107-_Z16wvSplitK_hf_sml_I6__halfLi32ELi4ELi16ELi8ELi1ELi4EEviiiiiiPKT_S3_S3_PS1_ii
                                        ; -- End function
	.section	.AMDGPU.csdata,"",@progbits
; Kernel info:
; codeLenInByte = 4752
; NumSgprs: 37
; NumVgprs: 72
; NumAgprs: 0
; TotalNumVgprs: 72
; ScratchSize: 0
; MemoryBound: 0
; FloatMode: 240
; IeeeMode: 1
; LDSByteSize: 65536 bytes/workgroup (compile time only)
; SGPRBlocks: 4
; VGPRBlocks: 8
; NumSGPRsForWavesPerEU: 37
; NumVGPRsForWavesPerEU: 72
; AccumOffset: 72
; Occupancy: 2
; WaveLimiterHint : 0
; COMPUTE_PGM_RSRC2:SCRATCH_EN: 0
; COMPUTE_PGM_RSRC2:USER_SGPR: 2
; COMPUTE_PGM_RSRC2:TRAP_HANDLER: 0
; COMPUTE_PGM_RSRC2:TGID_X_EN: 1
; COMPUTE_PGM_RSRC2:TGID_Y_EN: 0
; COMPUTE_PGM_RSRC2:TGID_Z_EN: 0
; COMPUTE_PGM_RSRC2:TIDIG_COMP_CNT: 1
; COMPUTE_PGM_RSRC3_GFX90A:ACCUM_OFFSET: 17
; COMPUTE_PGM_RSRC3_GFX90A:TG_SPLIT: 0
	.section	.text._Z12wvSplitK_hf_I6__halfLi32ELi4ELi16ELi8ELi1ELi4EEviiiiiiPKT_S3_S3_PS1_ii,"axG",@progbits,_Z12wvSplitK_hf_I6__halfLi32ELi4ELi16ELi8ELi1ELi4EEviiiiiiPKT_S3_S3_PS1_ii,comdat
	.protected	_Z12wvSplitK_hf_I6__halfLi32ELi4ELi16ELi8ELi1ELi4EEviiiiiiPKT_S3_S3_PS1_ii ; -- Begin function _Z12wvSplitK_hf_I6__halfLi32ELi4ELi16ELi8ELi1ELi4EEviiiiiiPKT_S3_S3_PS1_ii
	.globl	_Z12wvSplitK_hf_I6__halfLi32ELi4ELi16ELi8ELi1ELi4EEviiiiiiPKT_S3_S3_PS1_ii
	.p2align	8
	.type	_Z12wvSplitK_hf_I6__halfLi32ELi4ELi16ELi8ELi1ELi4EEviiiiiiPKT_S3_S3_PS1_ii,@function
_Z12wvSplitK_hf_I6__halfLi32ELi4ELi16ELi8ELi1ELi4EEviiiiiiPKT_S3_S3_PS1_ii: ; @_Z12wvSplitK_hf_I6__halfLi32ELi4ELi16ELi8ELi1ELi4EEviiiiiiPKT_S3_S3_PS1_ii
; %bb.0:
	s_load_dwordx2 s[8:9], s[0:1], 0x38
	s_load_dwordx2 s[10:11], s[0:1], 0x20
	s_load_dwordx4 s[12:15], s[0:1], 0x0
	s_load_dwordx2 s[20:21], s[0:1], 0x10
	v_bfe_u32 v1, v0, 10, 10
	s_waitcnt lgkmcnt(0)
	s_mul_i32 s2, s2, s8
	v_add_lshl_u32 v38, s2, v1, 2
	s_mov_b32 s4, 1
	v_add_u32_e32 v2, 4, v38
	s_mov_b32 s5, s4
	v_cmp_gt_u32_e32 vcc, s15, v38
	v_cmp_le_u32_e64 s[2:3], s15, v2
	s_mov_b32 s6, s4
	s_mov_b32 s7, s4
	v_mov_b64_e32 v[2:3], s[4:5]
	s_and_b64 s[16:17], vcc, s[2:3]
	v_mov_b64_e32 v[4:5], s[6:7]
	s_and_saveexec_b64 s[2:3], s[16:17]
	s_cbranch_execz .LBB108_6
; %bb.1:
	s_add_i32 s24, s15, -4
	v_mov_b64_e32 v[2:3], s[4:5]
	v_cmp_ne_u32_e32 vcc, s24, v38
	v_mov_b64_e32 v[4:5], s[6:7]
	s_and_saveexec_b64 s[16:17], vcc
	s_cbranch_execz .LBB108_5
; %bb.2:
	v_subrev_u32_e32 v2, s24, v38
	v_cmp_lt_u32_e32 vcc, 1, v2
	s_mov_b64 s[18:19], 0
	s_mov_b64 s[22:23], 0
	v_cndmask_b32_e32 v6, 1, v2, vcc
	s_mov_b32 s5, s4
	s_mov_b32 s6, s4
	;; [unrolled: 1-line block ×3, first 2 shown]
.LBB108_3:                              ; =>This Inner Loop Header: Depth=1
	s_cmp_lg_u32 s22, 3
	s_cselect_b32 s7, s7, 0
	s_cmp_lg_u32 s22, 2
	s_cselect_b32 s6, s6, 0
	s_cmp_lg_u32 s22, 1
	s_cselect_b32 s5, s5, 0
	s_cmp_lg_u32 s22, 0
	s_cselect_b32 s4, s4, 0
	s_add_u32 s22, s22, 1
	s_addc_u32 s23, s23, 0
	v_cmp_eq_u32_e32 vcc, s22, v6
	v_mov_b64_e32 v[2:3], s[4:5]
	s_or_b64 s[18:19], vcc, s[18:19]
	v_mov_b64_e32 v[4:5], s[6:7]
	s_andn2_b64 exec, exec, s[18:19]
	s_cbranch_execnz .LBB108_3
; %bb.4:
	s_or_b64 exec, exec, s[18:19]
	v_mov_b32_e32 v38, s24
.LBB108_5:
	s_or_b64 exec, exec, s[16:17]
.LBB108_6:
	s_or_b64 exec, exec, s[2:3]
	v_and_b32_e32 v10, 0x3ff, v0
	v_lshlrev_b32_e32 v0, 3, v10
	s_lshl_b32 s33, s14, 2
	v_lshl_add_u32 v11, v1, 8, v0
	s_min_u32 s4, s33, 0x8000
	v_cmp_gt_u32_e32 vcc, s4, v11
	s_and_saveexec_b64 s[2:3], vcc
	s_cbranch_execz .LBB108_15
; %bb.7:
	v_lshlrev_b32_e32 v6, 1, v11
	global_load_dwordx4 v[12:15], v6, s[10:11]
	v_add_u32_e32 v7, 0x1000, v11
	v_cmp_gt_u32_e32 vcc, s4, v7
	s_waitcnt vmcnt(0)
	ds_write_b128 v6, v[12:15]
	s_and_saveexec_b64 s[6:7], vcc
	s_xor_b64 s[6:7], exec, s[6:7]
	s_cbranch_execz .LBB108_15
; %bb.8:
	v_mov_b32_e32 v7, 0
	v_lshl_add_u64 v[8:9], s[10:11], 0, v[6:7]
	v_add_co_u32_e32 v12, vcc, 0x2000, v8
	v_add_u32_e32 v7, 0x2000, v11
	s_nop 0
	v_addc_co_u32_e32 v13, vcc, 0, v9, vcc
	global_load_dwordx4 v[12:15], v[12:13], off
	v_cmp_gt_u32_e32 vcc, s4, v7
	s_waitcnt vmcnt(0)
	ds_write_b128 v6, v[12:15] offset:8192
	s_and_saveexec_b64 s[6:7], vcc
	s_xor_b64 s[6:7], exec, s[6:7]
	s_cbranch_execz .LBB108_15
; %bb.9:
	v_add_co_u32_e32 v12, vcc, 0x4000, v8
	v_add_u32_e32 v7, 0x3000, v11
	s_nop 0
	v_addc_co_u32_e32 v13, vcc, 0, v9, vcc
	global_load_dwordx4 v[12:15], v[12:13], off
	v_cmp_gt_u32_e32 vcc, s4, v7
	s_waitcnt vmcnt(0)
	ds_write_b128 v6, v[12:15] offset:16384
	s_and_saveexec_b64 s[6:7], vcc
	s_xor_b64 s[6:7], exec, s[6:7]
	s_cbranch_execz .LBB108_15
; %bb.10:
	;; [unrolled: 12-line block ×6, first 2 shown]
	v_add_co_u32_e32 v8, vcc, 0xe000, v8
	s_nop 1
	v_addc_co_u32_e32 v9, vcc, 0, v9, vcc
	global_load_dwordx4 v[12:15], v[8:9], off
	s_waitcnt vmcnt(0)
	ds_write_b128 v6, v[12:15] offset:57344
.LBB108_15:
	s_or_b64 exec, exec, s[2:3]
	v_cmp_gt_u32_e32 vcc, s8, v1
	v_cmp_gt_u32_e64 s[2:3], s15, v38
	s_and_b64 s[2:3], vcc, s[2:3]
	s_waitcnt lgkmcnt(0)
	s_barrier
	s_and_saveexec_b64 s[4:5], s[2:3]
	s_cbranch_execz .LBB108_80
; %bb.16:
	s_load_dwordx4 s[16:19], s[0:1], 0x28
	s_load_dwordx2 s[22:23], s[0:1], 0x18
	s_cmp_lg_u32 s12, 0
	s_cselect_b64 s[2:3], -1, 0
	s_add_i32 s36, s12, -8
	s_add_i32 s37, s15, -1
	s_mul_i32 s4, s8, s9
	s_waitcnt lgkmcnt(0)
	s_cmp_lg_u64 s[16:17], 0
	s_cselect_b64 s[26:27], -1, 0
	s_lshl_b32 s38, s4, 2
	s_abs_i32 s4, s21
	v_cvt_f32_u32_e32 v1, s20
	v_cvt_f32_u32_e32 v6, s4
	s_sub_i32 s5, 0, s20
	s_add_i32 s21, s15, -4
	v_rcp_iflag_f32_e32 v1, v1
	v_rcp_iflag_f32_e32 v6, v6
	v_cmp_eq_u32_e64 s[0:1], 31, v10
	s_mov_b64 s[24:25], 0
	v_mul_f32_e32 v1, 0x4f7ffffe, v1
	v_mul_f32_e32 v6, 0x4f7ffffe, v6
	v_cvt_u32_f32_e32 v1, v1
	v_cvt_u32_f32_e32 v6, v6
	v_mov_b32_e32 v41, 0
	v_lshlrev_b32_e32 v60, 4, v10
	v_mul_lo_u32 v7, s5, v1
	s_sub_i32 s5, 0, s4
	v_readfirstlane_b32 s6, v6
	s_mul_i32 s5, s5, s6
	s_mul_hi_u32 s5, s6, s5
	s_add_i32 s6, s6, s5
	s_sub_i32 s5, 1, s4
	s_cmp_lt_u32 s4, 2
	s_cselect_b32 s5, s5, 1
	s_sub_i32 s7, s5, s4
	s_cmp_ge_u32 s5, s4
	s_cselect_b32 s39, s7, s5
	s_lshr_b32 s5, s6, 31
	s_mul_i32 s5, s5, s4
	s_sub_i32 s5, 2, s5
	s_sub_i32 s7, s5, s4
	s_cmp_ge_u32 s5, s4
	s_cselect_b32 s5, s7, s5
	s_sub_i32 s7, s5, s4
	s_cmp_ge_u32 s5, s4
	s_cselect_b32 s40, s7, s5
	s_mul_hi_u32 s5, s6, 3
	s_mul_i32 s5, s5, s4
	s_sub_i32 s5, 3, s5
	s_sub_i32 s6, s5, s4
	s_cmp_ge_u32 s5, s4
	s_cselect_b32 s5, s6, s5
	v_mul_hi_u32 v7, v1, v7
	s_sub_i32 s6, s5, s4
	v_add_u32_e32 v1, v1, v7
	s_cmp_ge_u32 s5, s4
	s_cselect_b32 s41, s6, s5
	s_lshl_b32 s42, s14, 1
	v_mad_u64_u32 v[42:43], s[4:5], s14, 3, v[0:1]
	v_cndmask_b32_e64 v6, 0, 1, s[2:3]
	s_mul_i32 s39, s39, s20
	s_mul_i32 s40, s40, s20
	;; [unrolled: 1-line block ×3, first 2 shown]
	v_add_u32_e32 v61, s42, v0
	s_mul_i32 s43, s14, 6
	v_add_u32_e32 v43, s14, v0
	v_cmp_ne_u32_e64 s[2:3], 1, v6
	s_movk_i32 s14, 0x7fff
	s_mov_b32 s28, 0
	s_branch .LBB108_19
.LBB108_17:                             ;   in Loop: Header=BB108_19 Depth=1
	s_or_b64 exec, exec, s[8:9]
	v_mov_b32_e32 v38, s21
.LBB108_18:                             ;   in Loop: Header=BB108_19 Depth=1
	s_or_b64 exec, exec, s[6:7]
	v_cmp_le_u32_e32 vcc, s15, v38
	s_or_b64 s[24:25], vcc, s[24:25]
	s_andn2_b64 exec, exec, s[24:25]
	s_cbranch_execz .LBB108_80
.LBB108_19:                             ; =>This Loop Header: Depth=1
                                        ;     Child Loop BB108_23 Depth 2
                                        ;     Child Loop BB108_63 Depth 2
	s_and_b64 vcc, exec, s[2:3]
	v_add_u32_e32 v48, 1, v38
	v_add_u32_e32 v46, 2, v38
	;; [unrolled: 1-line block ×3, first 2 shown]
	v_mov_b32_e32 v73, v41
	v_mov_b32_e32 v72, v41
	;; [unrolled: 1-line block ×4, first 2 shown]
	s_waitcnt vmcnt(15)
	v_mov_b32_e32 v39, v41
	s_waitcnt vmcnt(12)
	v_mov_b32_e32 v45, v41
	v_mov_b32_e32 v47, v41
	;; [unrolled: 1-line block ×3, first 2 shown]
	s_waitcnt vmcnt(10)
	v_mov_b32_e32 v62, v41
	v_mov_b32_e32 v63, v41
	;; [unrolled: 1-line block ×8, first 2 shown]
	s_cbranch_vccnz .LBB108_40
; %bb.20:                               ;   in Loop: Header=BB108_19 Depth=1
	v_min_u32_e32 v6, s37, v38
	s_waitcnt vmcnt(0)
	v_mul_lo_u32 v50, v6, s13
	v_min_u32_e32 v6, s37, v48
	v_mul_lo_u32 v52, v6, s13
	v_min_u32_e32 v6, s37, v46
	;; [unrolled: 2-line block ×3, first 2 shown]
	v_mov_b32_e32 v51, v41
	v_mov_b32_e32 v53, v41
	v_mov_b32_e32 v55, v41
	v_mul_lo_u32 v56, v6, s13
	v_mov_b32_e32 v57, v41
	v_mov_b32_e32 v69, 0
	;; [unrolled: 1-line block ×18, first 2 shown]
	s_mov_b32 s8, s28
	s_branch .LBB108_23
.LBB108_21:                             ;   in Loop: Header=BB108_23 Depth=2
	s_or_b64 exec, exec, s[6:7]
.LBB108_22:                             ;   in Loop: Header=BB108_23 Depth=2
	s_or_b64 exec, exec, s[4:5]
	s_waitcnt vmcnt(0) lgkmcnt(0)
	;;#ASMSTART
	v_dot2c_f32_f16 v73, v26, v18
	;;#ASMEND
	;;#ASMSTART
	v_dot2c_f32_f16 v72, v26, v14
	;;#ASMEND
	;; [unrolled: 3-line block ×16, first 2 shown]
	s_nop 0
	;;#ASMSTART
	v_dot2c_f32_f16 v73, v27, v19
	;;#ASMEND
	;;#ASMSTART
	v_dot2c_f32_f16 v72, v27, v15
	;;#ASMEND
	;; [unrolled: 3-line block ×16, first 2 shown]
	s_addk_i32 s8, 0x100
	;;#ASMSTART
	v_dot2c_f32_f16 v73, v28, v20
	;;#ASMEND
	;;#ASMSTART
	v_dot2c_f32_f16 v72, v28, v16
	;;#ASMEND
	;; [unrolled: 3-line block ×16, first 2 shown]
	s_cmp_ge_u32 s8, s12
	v_add_u32_e32 v74, 0x200, v74
	;;#ASMSTART
	v_dot2c_f32_f16 v73, v29, v21
	;;#ASMEND
	;;#ASMSTART
	v_dot2c_f32_f16 v72, v29, v17
	;;#ASMEND
	;; [unrolled: 3-line block ×16, first 2 shown]
	s_cbranch_scc1 .LBB108_40
.LBB108_23:                             ;   Parent Loop BB108_19 Depth=1
                                        ; =>  This Inner Loop Header: Depth=2
	v_add_u32_e32 v58, s8, v0
	v_min_u32_e32 v40, s36, v58
	v_lshl_add_u64 v[6:7], v[40:41], 1, s[22:23]
	v_lshl_add_u64 v[8:9], v[50:51], 1, v[6:7]
	;; [unrolled: 1-line block ×4, first 2 shown]
	global_load_dwordx4 v[18:21], v[8:9], off nt
	global_load_dwordx4 v[14:17], v[10:11], off nt
	v_lshl_add_u64 v[24:25], v[56:57], 1, v[6:7]
	global_load_dwordx4 v[10:13], v[22:23], off nt
	global_load_dwordx4 v[6:9], v[24:25], off nt
	s_mov_b32 s29, s28
	v_cmp_gt_u32_e32 vcc, s12, v58
	v_mov_b64_e32 v[32:33], s[28:29]
	v_mov_b32_e32 v37, 0
	v_mov_b32_e32 v36, 0
	;; [unrolled: 1-line block ×4, first 2 shown]
	v_mov_b64_e32 v[30:31], s[28:29]
	v_mov_b64_e32 v[24:25], s[28:29]
	;; [unrolled: 1-line block ×5, first 2 shown]
	s_and_saveexec_b64 s[4:5], vcc
	s_cbranch_execz .LBB108_22
; %bb.24:                               ;   in Loop: Header=BB108_23 Depth=2
	v_cmp_lt_u32_e32 vcc, s14, v58
                                        ; implicit-def: $vgpr28_vgpr29
	s_and_saveexec_b64 s[6:7], vcc
	s_xor_b64 s[6:7], exec, s[6:7]
	s_cbranch_execz .LBB108_26
; %bb.25:                               ;   in Loop: Header=BB108_23 Depth=2
	v_mov_b32_e32 v59, v41
	v_lshl_add_u64 v[22:23], v[58:59], 1, s[10:11]
	global_load_dwordx4 v[26:29], v[22:23], off
.LBB108_26:                             ;   in Loop: Header=BB108_23 Depth=2
	s_andn2_saveexec_b64 s[6:7], s[6:7]
	s_cbranch_execz .LBB108_28
; %bb.27:                               ;   in Loop: Header=BB108_23 Depth=2
	s_waitcnt vmcnt(0)
	ds_read_b128 v[26:29], v74
.LBB108_28:                             ;   in Loop: Header=BB108_23 Depth=2
	s_or_b64 exec, exec, s[6:7]
	v_add_u32_e32 v40, s8, v43
	v_cmp_lt_u32_e32 vcc, s14, v40
                                        ; implicit-def: $vgpr24_vgpr25
	s_and_saveexec_b64 s[6:7], vcc
	s_xor_b64 s[6:7], exec, s[6:7]
	s_cbranch_execz .LBB108_30
; %bb.29:                               ;   in Loop: Header=BB108_23 Depth=2
	v_lshl_add_u64 v[22:23], v[40:41], 1, s[10:11]
	global_load_dwordx4 v[22:25], v[22:23], off
.LBB108_30:                             ;   in Loop: Header=BB108_23 Depth=2
	s_andn2_saveexec_b64 s[6:7], s[6:7]
	s_cbranch_execz .LBB108_32
; %bb.31:                               ;   in Loop: Header=BB108_23 Depth=2
	s_waitcnt vmcnt(0)
	v_add_u32_e32 v22, s42, v74
	ds_read_b128 v[22:25], v22
.LBB108_32:                             ;   in Loop: Header=BB108_23 Depth=2
	s_or_b64 exec, exec, s[6:7]
	v_add_u32_e32 v40, s8, v61
	v_cmp_lt_u32_e32 vcc, s14, v40
                                        ; implicit-def: $vgpr32_vgpr33
	s_and_saveexec_b64 s[6:7], vcc
	s_xor_b64 s[6:7], exec, s[6:7]
	s_cbranch_execz .LBB108_34
; %bb.33:                               ;   in Loop: Header=BB108_23 Depth=2
	v_lshl_add_u64 v[30:31], v[40:41], 1, s[10:11]
	global_load_dwordx4 v[30:33], v[30:31], off
.LBB108_34:                             ;   in Loop: Header=BB108_23 Depth=2
	s_andn2_saveexec_b64 s[6:7], s[6:7]
	s_cbranch_execz .LBB108_36
; %bb.35:                               ;   in Loop: Header=BB108_23 Depth=2
	s_waitcnt vmcnt(0)
	v_add_u32_e32 v32, s33, v74
	ds_read2_b32 v[30:31], v32 offset1:1
	ds_read2_b32 v[32:33], v32 offset0:2 offset1:3
.LBB108_36:                             ;   in Loop: Header=BB108_23 Depth=2
	s_or_b64 exec, exec, s[6:7]
	v_add_u32_e32 v40, s8, v42
	v_cmp_lt_u32_e32 vcc, s14, v40
                                        ; implicit-def: $vgpr37
	s_and_saveexec_b64 s[6:7], vcc
	s_xor_b64 s[6:7], exec, s[6:7]
	s_cbranch_execz .LBB108_38
; %bb.37:                               ;   in Loop: Header=BB108_23 Depth=2
	v_lshl_add_u64 v[34:35], v[40:41], 1, s[10:11]
	global_load_dwordx4 v[34:37], v[34:35], off
.LBB108_38:                             ;   in Loop: Header=BB108_23 Depth=2
	s_andn2_saveexec_b64 s[6:7], s[6:7]
	s_cbranch_execz .LBB108_21
; %bb.39:                               ;   in Loop: Header=BB108_23 Depth=2
	s_waitcnt vmcnt(0)
	v_add_u32_e32 v34, s43, v74
	ds_read_b128 v[34:37], v34
	s_branch .LBB108_21
.LBB108_40:                             ;   in Loop: Header=BB108_19 Depth=1
	v_cvt_i32_f32_e32 v6, v73
	v_cvt_i32_f32_e32 v7, v72
	;; [unrolled: 1-line block ×4, first 2 shown]
	v_cvt_f32_i32_dpp v6, v6 row_shr:8 row_mask:0xf bank_mask:0xf bound_ctrl:1
	v_cvt_f32_i32_dpp v7, v7 row_shr:8 row_mask:0xf bank_mask:0xf bound_ctrl:1
	;; [unrolled: 1-line block ×4, first 2 shown]
	v_add_f32_e32 v6, v73, v6
	v_cvt_i32_f32_e32 v10, v6
	v_add_f32_e32 v7, v72, v7
	v_cvt_i32_f32_e32 v11, v7
	v_add_f32_e32 v8, v71, v8
	v_cvt_f32_i32_dpp v10, v10 row_shr:4 row_mask:0xf bank_mask:0xf bound_ctrl:1
	v_cvt_i32_f32_e32 v12, v8
	v_cvt_f32_i32_dpp v11, v11 row_shr:4 row_mask:0xf bank_mask:0xf bound_ctrl:1
	v_add_f32_e32 v9, v70, v9
	v_add_f32_e32 v6, v6, v10
	v_cvt_i32_f32_e32 v10, v6
	v_add_f32_e32 v7, v7, v11
	v_cvt_i32_f32_e32 v11, v7
	v_cvt_f32_i32_dpp v12, v12 row_shr:4 row_mask:0xf bank_mask:0xf bound_ctrl:1
	v_cvt_f32_i32_dpp v10, v10 row_shr:2 row_mask:0xf bank_mask:0xf bound_ctrl:1
	v_cvt_i32_f32_e32 v13, v9
	v_cvt_f32_i32_dpp v11, v11 row_shr:2 row_mask:0xf bank_mask:0xf bound_ctrl:1
	v_add_f32_e32 v8, v8, v12
	v_add_f32_e32 v6, v6, v10
	v_cvt_i32_f32_e32 v10, v6
	v_add_f32_e32 v7, v7, v11
	v_cvt_i32_f32_e32 v11, v7
	v_cvt_i32_f32_e32 v12, v8
	v_cvt_f32_i32_dpp v10, v10 row_shr:1 row_mask:0xf bank_mask:0xf bound_ctrl:1
	v_cvt_f32_i32_dpp v13, v13 row_shr:4 row_mask:0xf bank_mask:0xf bound_ctrl:1
	;; [unrolled: 1-line block ×4, first 2 shown]
	v_add_f32_e32 v6, v6, v10
	v_cvt_i32_f32_e32 v10, v6
	v_add_f32_e32 v7, v7, v11
	v_cvt_i32_f32_e32 v11, v7
	v_add_f32_e32 v12, v8, v12
	v_cvt_f32_i32_dpp v10, v10 row_bcast:15 row_mask:0xf bank_mask:0xf bound_ctrl:1
	v_add_f32_e32 v9, v9, v13
	v_cvt_i32_f32_e32 v13, v12
	v_cvt_f32_i32_dpp v11, v11 row_bcast:15 row_mask:0xf bank_mask:0xf bound_ctrl:1
	v_add_f32_e32 v8, v6, v10
	v_cvt_i32_f32_e32 v10, v8
	v_cvt_f32_i32_dpp v13, v13 row_shr:1 row_mask:0xf bank_mask:0xf bound_ctrl:1
	v_add_f32_e32 v6, v7, v11
	v_cvt_i32_f32_e32 v7, v6
	v_mov_b32_dpp v11, v10 row_bcast:31 row_mask:0xf bank_mask:0xf bound_ctrl:1
	v_cvt_i32_f32_e32 v10, v9
	v_add_f32_e32 v12, v12, v13
	v_cvt_i32_f32_e32 v13, v69
	v_cvt_i32_f32_e32 v14, v12
	v_cvt_f32_i32_dpp v15, v10 row_shr:2 row_mask:0xf bank_mask:0xf bound_ctrl:1
	v_mov_b32_dpp v10, v7 row_bcast:31 row_mask:0xf bank_mask:0xf bound_ctrl:1
	v_cvt_f32_i32_dpp v7, v13 row_shr:8 row_mask:0xf bank_mask:0xf bound_ctrl:1
	v_cvt_f32_i32_dpp v13, v14 row_bcast:15 row_mask:0xf bank_mask:0xf bound_ctrl:1
	v_add_f32_e32 v9, v9, v15
	v_cvt_i32_f32_e32 v14, v9
	v_add_f32_e32 v15, v69, v7
	v_cvt_i32_f32_e32 v16, v15
	v_add_f32_e32 v7, v12, v13
	v_cvt_f32_i32_dpp v12, v14 row_shr:1 row_mask:0xf bank_mask:0xf bound_ctrl:1
	v_cvt_i32_f32_e32 v13, v68
	v_cvt_f32_i32_dpp v14, v16 row_shr:4 row_mask:0xf bank_mask:0xf bound_ctrl:1
	v_cvt_i32_f32_e32 v16, v7
	v_add_f32_e32 v9, v9, v12
	v_cvt_f32_i32_dpp v12, v13 row_shr:8 row_mask:0xf bank_mask:0xf bound_ctrl:1
	v_add_f32_e32 v14, v15, v14
	v_cvt_i32_f32_e32 v13, v14
	v_cvt_i32_f32_e32 v15, v9
	v_add_f32_e32 v12, v68, v12
	v_cvt_i32_f32_e32 v17, v12
	v_cvt_f32_i32_dpp v18, v13 row_shr:2 row_mask:0xf bank_mask:0xf bound_ctrl:1
	v_mov_b32_dpp v13, v16 row_bcast:31 row_mask:0xf bank_mask:0xf bound_ctrl:1
	v_cvt_f32_i32_dpp v15, v15 row_bcast:15 row_mask:0xf bank_mask:0xf bound_ctrl:1
	v_cvt_f32_i32_dpp v16, v17 row_shr:4 row_mask:0xf bank_mask:0xf bound_ctrl:1
	v_add_f32_e32 v14, v14, v18
	v_cvt_i32_f32_e32 v17, v14
	v_add_f32_e32 v9, v9, v15
	v_add_f32_e32 v12, v12, v16
	v_cvt_i32_f32_e32 v15, v12
	v_cvt_f32_i32_dpp v16, v17 row_shr:1 row_mask:0xf bank_mask:0xf bound_ctrl:1
	v_cvt_i32_f32_e32 v17, v67
	v_cvt_i32_f32_e32 v18, v9
	v_cvt_f32_i32_dpp v15, v15 row_shr:2 row_mask:0xf bank_mask:0xf bound_ctrl:1
	v_add_f32_e32 v14, v14, v16
	v_cvt_f32_i32_dpp v16, v17 row_shr:8 row_mask:0xf bank_mask:0xf bound_ctrl:1
	v_cvt_i32_f32_e32 v17, v14
	v_add_f32_e32 v19, v12, v15
	v_cvt_i32_f32_e32 v12, v19
	v_add_f32_e32 v16, v67, v16
	v_cvt_i32_f32_e32 v20, v16
	v_cvt_f32_i32_dpp v17, v17 row_bcast:15 row_mask:0xf bank_mask:0xf bound_ctrl:1
	v_mov_b32_dpp v15, v18 row_bcast:31 row_mask:0xf bank_mask:0xf bound_ctrl:1
	v_cvt_f32_i32_dpp v21, v12 row_shr:1 row_mask:0xf bank_mask:0xf bound_ctrl:1
	v_cvt_f32_i32_dpp v18, v20 row_shr:4 row_mask:0xf bank_mask:0xf bound_ctrl:1
	v_add_f32_e32 v12, v14, v17
	v_cvt_i32_f32_e32 v17, v66
	v_add_f32_e32 v14, v19, v21
	v_add_f32_e32 v16, v16, v18
	v_cvt_i32_f32_e32 v18, v16
	v_cvt_f32_i32_dpp v17, v17 row_shr:8 row_mask:0xf bank_mask:0xf bound_ctrl:1
	v_cvt_i32_f32_e32 v19, v14
	v_cvt_i32_f32_e32 v20, v12
	v_cvt_f32_i32_dpp v18, v18 row_shr:2 row_mask:0xf bank_mask:0xf bound_ctrl:1
	v_add_f32_e32 v17, v66, v17
	v_cvt_i32_f32_e32 v21, v17
	v_cvt_f32_i32_dpp v19, v19 row_bcast:15 row_mask:0xf bank_mask:0xf bound_ctrl:1
	v_add_f32_e32 v16, v16, v18
	v_cvt_i32_f32_e32 v22, v16
	v_mov_b32_dpp v18, v20 row_bcast:31 row_mask:0xf bank_mask:0xf bound_ctrl:1
	v_cvt_f32_i32_dpp v20, v21 row_shr:4 row_mask:0xf bank_mask:0xf bound_ctrl:1
	v_cvt_i32_f32_e32 v21, v65
	v_add_f32_e32 v14, v14, v19
	v_cvt_f32_i32_dpp v19, v22 row_shr:1 row_mask:0xf bank_mask:0xf bound_ctrl:1
	v_add_f32_e32 v17, v17, v20
	v_cvt_f32_i32_dpp v21, v21 row_shr:8 row_mask:0xf bank_mask:0xf bound_ctrl:1
	v_cvt_i32_f32_e32 v20, v17
	v_add_f32_e32 v16, v16, v19
	v_cvt_i32_f32_e32 v22, v14
	v_add_f32_e32 v21, v65, v21
	v_cvt_f32_i32_dpp v19, v20 row_shr:2 row_mask:0xf bank_mask:0xf bound_ctrl:1
	v_cvt_i32_f32_e32 v20, v16
	v_cvt_i32_f32_e32 v23, v21
	v_add_f32_e32 v17, v17, v19
	v_cvt_f32_i32_dpp v20, v20 row_bcast:15 row_mask:0xf bank_mask:0xf bound_ctrl:1
	v_cvt_f32_i32_dpp v23, v23 row_shr:4 row_mask:0xf bank_mask:0xf bound_ctrl:1
	v_cvt_i32_f32_e32 v24, v17
	v_mov_b32_dpp v19, v22 row_bcast:31 row_mask:0xf bank_mask:0xf bound_ctrl:1
	v_add_f32_e32 v16, v16, v20
	v_add_f32_e32 v20, v21, v23
	v_cvt_f32_i32_dpp v22, v24 row_shr:1 row_mask:0xf bank_mask:0xf bound_ctrl:1
	v_cvt_i32_f32_e32 v21, v20
	v_cvt_i32_f32_e32 v24, v16
	v_add_f32_e32 v17, v17, v22
	v_cvt_i32_f32_e32 v22, v64
	v_cvt_f32_i32_dpp v21, v21 row_shr:2 row_mask:0xf bank_mask:0xf bound_ctrl:1
	v_cvt_i32_f32_e32 v23, v17
	v_cvt_f32_i32_dpp v22, v22 row_shr:8 row_mask:0xf bank_mask:0xf bound_ctrl:1
	v_add_f32_e32 v21, v20, v21
	v_cvt_i32_f32_e32 v25, v21
	v_cvt_f32_i32_dpp v23, v23 row_bcast:15 row_mask:0xf bank_mask:0xf bound_ctrl:1
	v_add_f32_e32 v22, v64, v22
	v_cvt_i32_f32_e32 v26, v22
	v_mov_b32_dpp v20, v24 row_bcast:31 row_mask:0xf bank_mask:0xf bound_ctrl:1
	v_cvt_f32_i32_dpp v24, v25 row_shr:1 row_mask:0xf bank_mask:0xf bound_ctrl:1
	v_add_f32_e32 v17, v17, v23
	v_cvt_f32_i32_dpp v23, v26 row_shr:4 row_mask:0xf bank_mask:0xf bound_ctrl:1
	v_cvt_i32_f32_e32 v25, v17
	v_add_f32_e32 v21, v21, v24
	v_cvt_i32_f32_e32 v24, v63
	v_add_f32_e32 v23, v22, v23
	v_cvt_i32_f32_e32 v26, v23
	v_cvt_i32_f32_e32 v27, v21
	v_cvt_f32_i32_dpp v24, v24 row_shr:8 row_mask:0xf bank_mask:0xf bound_ctrl:1
	v_mov_b32_dpp v22, v25 row_bcast:31 row_mask:0xf bank_mask:0xf bound_ctrl:1
	v_cvt_f32_i32_dpp v25, v26 row_shr:2 row_mask:0xf bank_mask:0xf bound_ctrl:1
	v_cvt_f32_i32_dpp v26, v27 row_bcast:15 row_mask:0xf bank_mask:0xf bound_ctrl:1
	v_add_f32_e32 v24, v63, v24
	v_cvt_i32_f32_e32 v27, v24
	v_add_f32_e32 v23, v23, v25
	v_cvt_i32_f32_e32 v25, v62
	v_cvt_i32_f32_e32 v28, v23
	v_cvt_f32_i32_dpp v27, v27 row_shr:4 row_mask:0xf bank_mask:0xf bound_ctrl:1
	v_add_f32_e32 v21, v21, v26
	v_cvt_f32_i32_dpp v25, v25 row_shr:8 row_mask:0xf bank_mask:0xf bound_ctrl:1
	v_cvt_f32_i32_dpp v26, v28 row_shr:1 row_mask:0xf bank_mask:0xf bound_ctrl:1
	v_add_f32_e32 v24, v24, v27
	v_cvt_i32_f32_e32 v27, v24
	v_add_f32_e32 v25, v62, v25
	v_cvt_i32_f32_e32 v28, v25
	v_add_f32_e32 v23, v23, v26
	v_cvt_f32_i32_dpp v27, v27 row_shr:2 row_mask:0xf bank_mask:0xf bound_ctrl:1
	v_cvt_i32_f32_e32 v29, v21
	v_cvt_f32_i32_dpp v26, v28 row_shr:4 row_mask:0xf bank_mask:0xf bound_ctrl:1
	v_cvt_i32_f32_e32 v28, v23
	v_add_f32_e32 v24, v24, v27
	v_cvt_i32_f32_e32 v27, v24
	v_add_f32_e32 v25, v25, v26
	v_cvt_i32_f32_e32 v26, v25
	v_cvt_f32_i32_dpp v30, v28 row_bcast:15 row_mask:0xf bank_mask:0xf bound_ctrl:1
	v_cvt_f32_i32_dpp v27, v27 row_shr:1 row_mask:0xf bank_mask:0xf bound_ctrl:1
	v_mov_b32_dpp v28, v29 row_bcast:31 row_mask:0xf bank_mask:0xf bound_ctrl:1
	v_cvt_f32_i32_dpp v26, v26 row_shr:2 row_mask:0xf bank_mask:0xf bound_ctrl:1
	v_add_f32_e32 v23, v23, v30
	v_add_f32_e32 v24, v24, v27
	v_cvt_i32_f32_e32 v27, v49
	v_add_f32_e32 v25, v25, v26
	v_cvt_i32_f32_e32 v26, v25
	v_cvt_i32_f32_e32 v29, v24
	v_cvt_f32_i32_dpp v27, v27 row_shr:8 row_mask:0xf bank_mask:0xf bound_ctrl:1
	v_cvt_i32_f32_e32 v30, v23
	v_cvt_f32_i32_dpp v26, v26 row_shr:1 row_mask:0xf bank_mask:0xf bound_ctrl:1
	v_cvt_f32_i32_dpp v29, v29 row_bcast:15 row_mask:0xf bank_mask:0xf bound_ctrl:1
	v_add_f32_e32 v27, v49, v27
	v_cvt_i32_f32_e32 v31, v27
	v_add_f32_e32 v25, v25, v26
	v_cvt_i32_f32_e32 v26, v25
	v_add_f32_e32 v24, v24, v29
	v_cvt_f32_i32_dpp v31, v31 row_shr:4 row_mask:0xf bank_mask:0xf bound_ctrl:1
	v_cvt_i32_f32_e32 v29, v47
	v_cvt_f32_i32_dpp v26, v26 row_bcast:15 row_mask:0xf bank_mask:0xf bound_ctrl:1
	v_cvt_i32_f32_e32 v32, v24
	v_add_f32_e32 v27, v27, v31
	v_cvt_i32_f32_e32 v31, v27
	v_cvt_f32_i32_dpp v29, v29 row_shr:8 row_mask:0xf bank_mask:0xf bound_ctrl:1
	v_add_f32_e32 v25, v25, v26
	v_mov_b32_dpp v30, v30 row_bcast:31 row_mask:0xf bank_mask:0xf bound_ctrl:1
	v_cvt_f32_i32_dpp v26, v31 row_shr:2 row_mask:0xf bank_mask:0xf bound_ctrl:1
	v_add_f32_e32 v29, v47, v29
	v_cvt_i32_f32_e32 v33, v29
	v_cvt_i32_f32_e32 v31, v25
	v_add_f32_e32 v26, v27, v26
	v_cvt_i32_f32_e32 v34, v26
	v_cvt_f32_i32_dpp v33, v33 row_shr:4 row_mask:0xf bank_mask:0xf bound_ctrl:1
	v_mov_b32_dpp v27, v31 row_bcast:31 row_mask:0xf bank_mask:0xf bound_ctrl:1
	v_mov_b32_dpp v32, v32 row_bcast:31 row_mask:0xf bank_mask:0xf bound_ctrl:1
	v_cvt_f32_i32_dpp v31, v34 row_shr:1 row_mask:0xf bank_mask:0xf bound_ctrl:1
	v_cvt_i32_f32_e32 v34, v45
	v_add_f32_e32 v29, v29, v33
	v_cvt_i32_f32_e32 v33, v39
	v_add_f32_e32 v26, v26, v31
	v_cvt_f32_i32_dpp v34, v34 row_shr:8 row_mask:0xf bank_mask:0xf bound_ctrl:1
	v_cvt_i32_f32_e32 v35, v29
	v_cvt_f32_i32_dpp v31, v33 row_shr:8 row_mask:0xf bank_mask:0xf bound_ctrl:1
	v_cvt_i32_f32_e32 v37, v26
	v_add_f32_e32 v34, v45, v34
	v_cvt_f32_i32_dpp v33, v35 row_shr:2 row_mask:0xf bank_mask:0xf bound_ctrl:1
	v_add_f32_e32 v31, v39, v31
	v_cvt_i32_f32_e32 v35, v34
	v_cvt_i32_f32_e32 v36, v31
	v_add_f32_e32 v29, v29, v33
	v_cvt_f32_i32_dpp v37, v37 row_bcast:15 row_mask:0xf bank_mask:0xf bound_ctrl:1
	v_cvt_f32_i32_dpp v35, v35 row_shr:4 row_mask:0xf bank_mask:0xf bound_ctrl:1
	v_cvt_f32_i32_dpp v33, v36 row_shr:4 row_mask:0xf bank_mask:0xf bound_ctrl:1
	v_cvt_i32_f32_e32 v36, v29
	v_add_f32_e32 v34, v34, v35
	v_add_f32_e32 v31, v31, v33
	v_cvt_i32_f32_e32 v35, v34
	v_cvt_i32_f32_e32 v33, v31
	v_cvt_f32_i32_dpp v36, v36 row_shr:1 row_mask:0xf bank_mask:0xf bound_ctrl:1
	v_cvt_f32_i32_dpp v35, v35 row_shr:2 row_mask:0xf bank_mask:0xf bound_ctrl:1
	;; [unrolled: 1-line block ×3, first 2 shown]
	v_add_f32_e32 v29, v29, v36
	v_cvt_i32_f32_e32 v36, v29
	v_add_f32_e32 v34, v34, v35
	v_add_f32_e32 v31, v31, v33
	v_cvt_i32_f32_e32 v35, v34
	v_cvt_i32_f32_e32 v33, v31
	s_nop 0
	v_cvt_f32_i32_dpp v39, v35 row_shr:1 row_mask:0xf bank_mask:0xf bound_ctrl:1
	v_add_f32_e32 v35, v26, v37
	v_cvt_f32_i32_dpp v26, v33 row_shr:1 row_mask:0xf bank_mask:0xf bound_ctrl:1
	v_cvt_f32_i32_dpp v33, v36 row_bcast:15 row_mask:0xf bank_mask:0xf bound_ctrl:1
	v_add_f32_e32 v36, v34, v39
	v_cvt_i32_f32_e32 v34, v36
	v_add_f32_e32 v26, v31, v26
	v_cvt_i32_f32_e32 v31, v26
	v_cvt_i32_f32_e32 v37, v35
	v_cvt_f32_i32_dpp v39, v34 row_bcast:15 row_mask:0xf bank_mask:0xf bound_ctrl:1
	v_add_f32_e32 v34, v29, v33
	v_cvt_f32_i32_dpp v29, v31 row_bcast:15 row_mask:0xf bank_mask:0xf bound_ctrl:1
	v_cvt_i32_f32_e32 v33, v34
	v_add_f32_e32 v31, v36, v39
	v_cvt_i32_f32_e32 v39, v31
	v_add_f32_e32 v26, v26, v29
	v_cvt_i32_f32_e32 v29, v26
	v_mov_b32_dpp v37, v37 row_bcast:31 row_mask:0xf bank_mask:0xf bound_ctrl:1
	v_mov_b32_dpp v36, v33 row_bcast:31 row_mask:0xf bank_mask:0xf bound_ctrl:1
	;; [unrolled: 1-line block ×4, first 2 shown]
	s_and_saveexec_b64 s[30:31], s[0:1]
	s_cbranch_execz .LBB108_60
; %bb.41:                               ;   in Loop: Header=BB108_19 Depth=1
	s_andn2_b64 vcc, exec, s[26:27]
	v_mov_b32_e32 v39, 0
	v_mov_b32_e32 v49, 0
	;; [unrolled: 1-line block ×6, first 2 shown]
	s_waitcnt vmcnt(9)
	v_mov_b32_e32 v58, 0
	s_waitcnt vmcnt(8)
	v_mov_b32_e32 v56, 0
	;; [unrolled: 2-line block ×10, first 2 shown]
	s_cbranch_vccnz .LBB108_43
; %bb.42:                               ;   in Loop: Header=BB108_19 Depth=1
	v_mul_hi_u32 v39, v38, v1
	v_mul_lo_u32 v39, v39, s20
	v_sub_u32_e32 v39, v38, v39
	v_subrev_u32_e32 v40, s20, v39
	v_cmp_le_u32_e32 vcc, s20, v39
	v_mov_b32_e32 v57, v41
	v_mov_b32_e32 v53, v41
	v_cndmask_b32_e32 v39, v39, v40, vcc
	v_subrev_u32_e32 v40, s20, v39
	v_cmp_le_u32_e32 vcc, s20, v39
	v_mov_b32_e32 v65, v41
	v_mov_b32_e32 v69, v41
	v_cndmask_b32_e32 v40, v39, v40, vcc
	v_mul_hi_u32 v39, v48, v1
	v_mul_lo_u32 v39, v39, s20
	v_sub_u32_e32 v39, v48, v39
	v_subrev_u32_e32 v45, s20, v39
	v_cmp_le_u32_e32 vcc, s20, v39
	v_add_u32_e32 v56, s39, v40
	v_lshl_add_u64 v[72:73], v[56:57], 1, s[16:17]
	v_cndmask_b32_e32 v39, v39, v45, vcc
	v_subrev_u32_e32 v45, s20, v39
	v_cmp_le_u32_e32 vcc, s20, v39
	v_lshl_add_u64 v[50:51], v[40:41], 1, s[16:17]
	s_nop 0
	v_cndmask_b32_e32 v52, v39, v45, vcc
	v_mul_hi_u32 v39, v46, v1
	v_mul_lo_u32 v39, v39, s20
	v_sub_u32_e32 v39, v46, v39
	v_subrev_u32_e32 v45, s20, v39
	v_cmp_le_u32_e32 vcc, s20, v39
	v_add_u32_e32 v56, s39, v52
	v_lshl_add_u64 v[74:75], v[56:57], 1, s[16:17]
	v_cndmask_b32_e32 v39, v39, v45, vcc
	v_subrev_u32_e32 v45, s20, v39
	v_cmp_le_u32_e32 vcc, s20, v39
	v_lshl_add_u64 v[54:55], v[52:53], 1, s[16:17]
	s_nop 0
	;; [unrolled: 13-line block ×3, first 2 shown]
	v_cndmask_b32_e32 v68, v39, v45, vcc
	v_add_u32_e32 v56, s39, v68
	v_lshl_add_u64 v[70:71], v[68:69], 1, s[16:17]
	v_lshl_add_u64 v[78:79], v[56:57], 1, s[16:17]
	global_load_ushort v39, v[50:51], off
	global_load_ushort v49, v[54:55], off
	;; [unrolled: 1-line block ×8, first 2 shown]
	v_add_u32_e32 v50, s40, v40
	v_mov_b32_e32 v51, v41
	v_add_u32_e32 v40, s41, v40
	v_lshl_add_u64 v[66:67], v[50:51], 1, s[16:17]
	v_add_u32_e32 v50, s40, v52
	v_lshl_add_u64 v[76:77], v[40:41], 1, s[16:17]
	v_add_u32_e32 v40, s41, v52
	v_lshl_add_u64 v[70:71], v[50:51], 1, s[16:17]
	v_add_u32_e32 v50, s40, v64
	v_lshl_add_u64 v[78:79], v[40:41], 1, s[16:17]
	v_add_u32_e32 v40, s41, v64
	v_lshl_add_u64 v[72:73], v[50:51], 1, s[16:17]
	v_add_u32_e32 v50, s40, v68
	v_lshl_add_u64 v[64:65], v[40:41], 1, s[16:17]
	v_add_u32_e32 v40, s41, v68
	v_lshl_add_u64 v[74:75], v[50:51], 1, s[16:17]
	v_lshl_add_u64 v[68:69], v[40:41], 1, s[16:17]
	global_load_ushort v59, v[66:67], off
	global_load_ushort v57, v[70:71], off
	;; [unrolled: 1-line block ×8, first 2 shown]
.LBB108_43:                             ;   in Loop: Header=BB108_19 Depth=1
	v_cmp_ne_u32_e32 vcc, 0, v2
	s_and_saveexec_b64 s[4:5], vcc
	s_cbranch_execnz .LBB108_65
; %bb.44:                               ;   in Loop: Header=BB108_19 Depth=1
	s_or_b64 exec, exec, s[4:5]
	v_cmp_ne_u32_e64 s[4:5], 0, v3
	s_and_saveexec_b64 s[6:7], s[4:5]
	s_cbranch_execnz .LBB108_66
.LBB108_45:                             ;   in Loop: Header=BB108_19 Depth=1
	s_or_b64 exec, exec, s[6:7]
	v_cmp_ne_u32_e64 s[6:7], 0, v4
	s_and_saveexec_b64 s[8:9], s[6:7]
	s_cbranch_execnz .LBB108_67
.LBB108_46:                             ;   in Loop: Header=BB108_19 Depth=1
	s_or_b64 exec, exec, s[8:9]
	v_cmp_ne_u32_e64 s[8:9], 0, v5
	s_and_saveexec_b64 s[34:35], s[8:9]
	s_cbranch_execnz .LBB108_68
.LBB108_47:                             ;   in Loop: Header=BB108_19 Depth=1
	s_or_b64 exec, exec, s[34:35]
	v_add_u32_e32 v40, s15, v38
	s_and_saveexec_b64 s[34:35], vcc
	s_cbranch_execnz .LBB108_69
.LBB108_48:                             ;   in Loop: Header=BB108_19 Depth=1
	s_or_b64 exec, exec, s[34:35]
	s_and_saveexec_b64 s[34:35], s[4:5]
	s_cbranch_execnz .LBB108_70
.LBB108_49:                             ;   in Loop: Header=BB108_19 Depth=1
	s_or_b64 exec, exec, s[34:35]
	s_and_saveexec_b64 s[34:35], s[6:7]
	s_cbranch_execnz .LBB108_71
.LBB108_50:                             ;   in Loop: Header=BB108_19 Depth=1
	s_or_b64 exec, exec, s[34:35]
	s_and_saveexec_b64 s[34:35], s[8:9]
	s_cbranch_execnz .LBB108_72
.LBB108_51:                             ;   in Loop: Header=BB108_19 Depth=1
	s_or_b64 exec, exec, s[34:35]
	v_add_u32_e32 v40, s15, v40
	s_and_saveexec_b64 s[34:35], vcc
	s_cbranch_execnz .LBB108_73
.LBB108_52:                             ;   in Loop: Header=BB108_19 Depth=1
	s_or_b64 exec, exec, s[34:35]
	s_and_saveexec_b64 s[34:35], s[4:5]
	s_cbranch_execnz .LBB108_74
.LBB108_53:                             ;   in Loop: Header=BB108_19 Depth=1
	s_or_b64 exec, exec, s[34:35]
	s_and_saveexec_b64 s[34:35], s[6:7]
	s_cbranch_execnz .LBB108_75
.LBB108_54:                             ;   in Loop: Header=BB108_19 Depth=1
	s_or_b64 exec, exec, s[34:35]
	s_and_saveexec_b64 s[34:35], s[8:9]
	s_cbranch_execnz .LBB108_76
.LBB108_55:                             ;   in Loop: Header=BB108_19 Depth=1
	s_or_b64 exec, exec, s[34:35]
	v_add_u32_e32 v40, s15, v40
	s_and_saveexec_b64 s[34:35], vcc
	s_cbranch_execnz .LBB108_77
.LBB108_56:                             ;   in Loop: Header=BB108_19 Depth=1
	s_or_b64 exec, exec, s[34:35]
	s_and_saveexec_b64 s[34:35], s[4:5]
	s_cbranch_execnz .LBB108_78
.LBB108_57:                             ;   in Loop: Header=BB108_19 Depth=1
	s_or_b64 exec, exec, s[34:35]
	s_and_saveexec_b64 s[4:5], s[6:7]
	s_cbranch_execnz .LBB108_79
.LBB108_58:                             ;   in Loop: Header=BB108_19 Depth=1
	s_or_b64 exec, exec, s[4:5]
	s_and_b64 exec, exec, s[8:9]
	s_cbranch_execz .LBB108_60
.LBB108_59:                             ;   in Loop: Header=BB108_19 Depth=1
	v_cvt_f32_i32_e32 v6, v29
	s_waitcnt vmcnt(0)
	v_cvt_f32_f16_e32 v7, v50
	v_add_u32_e32 v40, 3, v40
	v_add_f32_e32 v6, v26, v6
	v_add_f32_e32 v6, v6, v7
	v_cvt_f16_f32_e32 v8, v6
	v_lshl_add_u64 v[6:7], v[40:41], 1, s[18:19]
	global_store_short v[6:7], v8, off
.LBB108_60:                             ;   in Loop: Header=BB108_19 Depth=1
	s_or_b64 exec, exec, s[30:31]
	v_add_u32_e32 v38, s38, v38
	v_add_u32_e32 v6, 4, v38
	v_cmp_gt_u32_e32 vcc, s15, v38
	v_cmp_le_u32_e64 s[4:5], s15, v6
	s_and_b64 s[4:5], vcc, s[4:5]
	s_and_saveexec_b64 s[6:7], s[4:5]
	s_cbranch_execz .LBB108_18
; %bb.61:                               ;   in Loop: Header=BB108_19 Depth=1
	v_cmp_ne_u32_e32 vcc, s21, v38
	s_and_saveexec_b64 s[8:9], vcc
	s_cbranch_execz .LBB108_17
; %bb.62:                               ;   in Loop: Header=BB108_19 Depth=1
	v_subrev_u32_e32 v6, s21, v38
	v_cmp_lt_u32_e32 vcc, 1, v6
	s_mov_b64 s[30:31], 0
	s_mov_b64 s[34:35], 0
	v_cndmask_b32_e32 v6, 1, v6, vcc
.LBB108_63:                             ;   Parent Loop BB108_19 Depth=1
                                        ; =>  This Inner Loop Header: Depth=2
	s_cmp_lg_u32 s34, 3
	s_cselect_b64 vcc, -1, 0
	s_cmp_lg_u32 s34, 2
	v_cndmask_b32_e32 v5, 0, v5, vcc
	s_cselect_b64 vcc, -1, 0
	s_cmp_lg_u32 s34, 1
	v_cndmask_b32_e32 v4, 0, v4, vcc
	;; [unrolled: 3-line block ×3, first 2 shown]
	s_cselect_b64 vcc, -1, 0
	s_add_u32 s34, s34, 1
	s_addc_u32 s35, s35, 0
	v_cmp_eq_u32_e64 s[4:5], s34, v6
	s_or_b64 s[30:31], s[4:5], s[30:31]
	v_cndmask_b32_e32 v2, 0, v2, vcc
	s_andn2_b64 exec, exec, s[30:31]
	s_cbranch_execnz .LBB108_63
; %bb.64:                               ;   in Loop: Header=BB108_19 Depth=1
	s_or_b64 exec, exec, s[30:31]
	s_branch .LBB108_17
.LBB108_65:                             ;   in Loop: Header=BB108_19 Depth=1
	v_cvt_f32_i32_e32 v11, v11
	s_waitcnt vmcnt(15)
	v_cvt_f32_f16_e32 v39, v39
	v_add_f32_e32 v8, v8, v11
	v_add_f32_e32 v8, v8, v39
	v_cvt_f16_f32_e32 v8, v8
	v_mov_b32_e32 v39, v41
	v_lshl_add_u64 v[64:65], v[38:39], 1, s[18:19]
	global_store_short v[64:65], v8, off
	s_or_b64 exec, exec, s[4:5]
	v_cmp_ne_u32_e64 s[4:5], 0, v3
	s_and_saveexec_b64 s[6:7], s[4:5]
	s_cbranch_execz .LBB108_45
.LBB108_66:                             ;   in Loop: Header=BB108_19 Depth=1
	v_cvt_f32_i32_e32 v8, v10
	s_waitcnt vmcnt(14)
	v_cvt_f32_f16_e32 v10, v49
	v_mov_b32_e32 v49, v41
	v_add_f32_e32 v6, v6, v8
	v_add_f32_e32 v6, v6, v10
	v_cvt_f16_f32_e32 v6, v6
	v_lshl_add_u64 v[10:11], v[48:49], 1, s[18:19]
	global_store_short v[10:11], v6, off
	s_or_b64 exec, exec, s[6:7]
	v_cmp_ne_u32_e64 s[6:7], 0, v4
	s_and_saveexec_b64 s[8:9], s[6:7]
	s_cbranch_execz .LBB108_46
.LBB108_67:                             ;   in Loop: Header=BB108_19 Depth=1
	v_cvt_f32_i32_e32 v6, v13
	s_waitcnt vmcnt(13)
	v_cvt_f32_f16_e32 v8, v47
	v_mov_b32_e32 v47, v41
	v_add_f32_e32 v6, v7, v6
	v_add_f32_e32 v6, v6, v8
	v_cvt_f16_f32_e32 v8, v6
	v_lshl_add_u64 v[6:7], v[46:47], 1, s[18:19]
	global_store_short v[6:7], v8, off
	s_or_b64 exec, exec, s[8:9]
	v_cmp_ne_u32_e64 s[8:9], 0, v5
	s_and_saveexec_b64 s[34:35], s[8:9]
	s_cbranch_execz .LBB108_47
.LBB108_68:                             ;   in Loop: Header=BB108_19 Depth=1
	v_cvt_f32_i32_e32 v6, v15
	s_waitcnt vmcnt(12)
	v_cvt_f32_f16_e32 v7, v45
	v_mov_b32_e32 v45, v41
	v_add_f32_e32 v6, v9, v6
	v_add_f32_e32 v6, v6, v7
	v_cvt_f16_f32_e32 v8, v6
	v_lshl_add_u64 v[6:7], v[44:45], 1, s[18:19]
	global_store_short v[6:7], v8, off
	s_or_b64 exec, exec, s[34:35]
	v_add_u32_e32 v40, s15, v38
	s_and_saveexec_b64 s[34:35], vcc
	s_cbranch_execz .LBB108_48
.LBB108_69:                             ;   in Loop: Header=BB108_19 Depth=1
	v_cvt_f32_i32_e32 v6, v18
	s_waitcnt vmcnt(11)
	v_cvt_f32_f16_e32 v7, v63
	v_add_f32_e32 v6, v12, v6
	v_add_f32_e32 v6, v6, v7
	v_cvt_f16_f32_e32 v8, v6
	v_lshl_add_u64 v[6:7], v[40:41], 1, s[18:19]
	global_store_short v[6:7], v8, off
	s_or_b64 exec, exec, s[34:35]
	s_and_saveexec_b64 s[34:35], s[4:5]
	s_cbranch_execz .LBB108_49
.LBB108_70:                             ;   in Loop: Header=BB108_19 Depth=1
	v_cvt_f32_i32_e32 v6, v19
	s_waitcnt vmcnt(10)
	v_cvt_f32_f16_e32 v7, v62
	v_add_f32_e32 v6, v14, v6
	v_add_f32_e32 v6, v6, v7
	v_cvt_f16_f32_e32 v8, v6
	v_add_u32_e32 v6, 1, v40
	v_mov_b32_e32 v7, v41
	v_lshl_add_u64 v[6:7], v[6:7], 1, s[18:19]
	global_store_short v[6:7], v8, off
	s_or_b64 exec, exec, s[34:35]
	s_and_saveexec_b64 s[34:35], s[6:7]
	s_cbranch_execz .LBB108_50
.LBB108_71:                             ;   in Loop: Header=BB108_19 Depth=1
	v_cvt_f32_i32_e32 v6, v20
	s_waitcnt vmcnt(9)
	v_cvt_f32_f16_e32 v7, v58
	v_add_f32_e32 v6, v16, v6
	v_add_f32_e32 v6, v6, v7
	v_cvt_f16_f32_e32 v8, v6
	v_add_u32_e32 v6, 2, v40
	v_mov_b32_e32 v7, v41
	v_lshl_add_u64 v[6:7], v[6:7], 1, s[18:19]
	global_store_short v[6:7], v8, off
	s_or_b64 exec, exec, s[34:35]
	s_and_saveexec_b64 s[34:35], s[8:9]
	s_cbranch_execz .LBB108_51
.LBB108_72:                             ;   in Loop: Header=BB108_19 Depth=1
	v_cvt_f32_i32_e32 v6, v22
	s_waitcnt vmcnt(8)
	v_cvt_f32_f16_e32 v7, v56
	v_add_f32_e32 v6, v17, v6
	v_add_f32_e32 v6, v6, v7
	v_cvt_f16_f32_e32 v8, v6
	v_add_u32_e32 v6, 3, v40
	v_mov_b32_e32 v7, v41
	v_lshl_add_u64 v[6:7], v[6:7], 1, s[18:19]
	global_store_short v[6:7], v8, off
	s_or_b64 exec, exec, s[34:35]
	v_add_u32_e32 v40, s15, v40
	s_and_saveexec_b64 s[34:35], vcc
	s_cbranch_execz .LBB108_52
.LBB108_73:                             ;   in Loop: Header=BB108_19 Depth=1
	v_cvt_f32_i32_e32 v6, v28
	s_waitcnt vmcnt(7)
	v_cvt_f32_f16_e32 v7, v59
	v_add_f32_e32 v6, v21, v6
	v_add_f32_e32 v6, v6, v7
	v_cvt_f16_f32_e32 v8, v6
	v_lshl_add_u64 v[6:7], v[40:41], 1, s[18:19]
	global_store_short v[6:7], v8, off
	s_or_b64 exec, exec, s[34:35]
	s_and_saveexec_b64 s[34:35], s[4:5]
	s_cbranch_execz .LBB108_53
.LBB108_74:                             ;   in Loop: Header=BB108_19 Depth=1
	v_cvt_f32_i32_e32 v6, v30
	s_waitcnt vmcnt(6)
	v_cvt_f32_f16_e32 v7, v57
	v_add_f32_e32 v6, v23, v6
	v_add_f32_e32 v6, v6, v7
	v_cvt_f16_f32_e32 v8, v6
	v_add_u32_e32 v6, 1, v40
	v_mov_b32_e32 v7, v41
	v_lshl_add_u64 v[6:7], v[6:7], 1, s[18:19]
	global_store_short v[6:7], v8, off
	s_or_b64 exec, exec, s[34:35]
	s_and_saveexec_b64 s[34:35], s[6:7]
	s_cbranch_execz .LBB108_54
.LBB108_75:                             ;   in Loop: Header=BB108_19 Depth=1
	v_cvt_f32_i32_e32 v6, v32
	s_waitcnt vmcnt(5)
	v_cvt_f32_f16_e32 v7, v55
	v_add_f32_e32 v6, v24, v6
	v_add_f32_e32 v6, v6, v7
	v_cvt_f16_f32_e32 v8, v6
	v_add_u32_e32 v6, 2, v40
	v_mov_b32_e32 v7, v41
	v_lshl_add_u64 v[6:7], v[6:7], 1, s[18:19]
	global_store_short v[6:7], v8, off
	s_or_b64 exec, exec, s[34:35]
	s_and_saveexec_b64 s[34:35], s[8:9]
	s_cbranch_execz .LBB108_55
.LBB108_76:                             ;   in Loop: Header=BB108_19 Depth=1
	v_cvt_f32_i32_e32 v6, v27
	s_waitcnt vmcnt(4)
	v_cvt_f32_f16_e32 v7, v54
	v_add_f32_e32 v6, v25, v6
	v_add_f32_e32 v6, v6, v7
	v_cvt_f16_f32_e32 v8, v6
	v_add_u32_e32 v6, 3, v40
	v_mov_b32_e32 v7, v41
	v_lshl_add_u64 v[6:7], v[6:7], 1, s[18:19]
	global_store_short v[6:7], v8, off
	s_or_b64 exec, exec, s[34:35]
	v_add_u32_e32 v40, s15, v40
	s_and_saveexec_b64 s[34:35], vcc
	s_cbranch_execz .LBB108_56
.LBB108_77:                             ;   in Loop: Header=BB108_19 Depth=1
	v_cvt_f32_i32_e32 v6, v37
	s_waitcnt vmcnt(3)
	v_cvt_f32_f16_e32 v7, v53
	v_add_f32_e32 v6, v35, v6
	v_add_f32_e32 v6, v6, v7
	v_cvt_f16_f32_e32 v8, v6
	v_lshl_add_u64 v[6:7], v[40:41], 1, s[18:19]
	global_store_short v[6:7], v8, off
	s_or_b64 exec, exec, s[34:35]
	s_and_saveexec_b64 s[34:35], s[4:5]
	s_cbranch_execz .LBB108_57
.LBB108_78:                             ;   in Loop: Header=BB108_19 Depth=1
	v_cvt_f32_i32_e32 v6, v36
	s_waitcnt vmcnt(2)
	v_cvt_f32_f16_e32 v7, v52
	v_add_f32_e32 v6, v34, v6
	v_add_f32_e32 v6, v6, v7
	v_cvt_f16_f32_e32 v8, v6
	v_add_u32_e32 v6, 1, v40
	v_mov_b32_e32 v7, v41
	v_lshl_add_u64 v[6:7], v[6:7], 1, s[18:19]
	global_store_short v[6:7], v8, off
	s_or_b64 exec, exec, s[34:35]
	s_and_saveexec_b64 s[4:5], s[6:7]
	s_cbranch_execz .LBB108_58
.LBB108_79:                             ;   in Loop: Header=BB108_19 Depth=1
	v_cvt_f32_i32_e32 v6, v33
	s_waitcnt vmcnt(1)
	v_cvt_f32_f16_e32 v7, v51
	v_add_f32_e32 v6, v31, v6
	v_add_f32_e32 v6, v6, v7
	v_cvt_f16_f32_e32 v8, v6
	v_add_u32_e32 v6, 2, v40
	v_mov_b32_e32 v7, v41
	v_lshl_add_u64 v[6:7], v[6:7], 1, s[18:19]
	global_store_short v[6:7], v8, off
	s_or_b64 exec, exec, s[4:5]
	s_and_b64 exec, exec, s[8:9]
	s_cbranch_execnz .LBB108_59
	s_branch .LBB108_60
.LBB108_80:
	s_endpgm
	.section	.rodata,"a",@progbits
	.p2align	6, 0x0
	.amdhsa_kernel _Z12wvSplitK_hf_I6__halfLi32ELi4ELi16ELi8ELi1ELi4EEviiiiiiPKT_S3_S3_PS1_ii
		.amdhsa_group_segment_fixed_size 65536
		.amdhsa_private_segment_fixed_size 0
		.amdhsa_kernarg_size 64
		.amdhsa_user_sgpr_count 2
		.amdhsa_user_sgpr_dispatch_ptr 0
		.amdhsa_user_sgpr_queue_ptr 0
		.amdhsa_user_sgpr_kernarg_segment_ptr 1
		.amdhsa_user_sgpr_dispatch_id 0
		.amdhsa_user_sgpr_kernarg_preload_length 0
		.amdhsa_user_sgpr_kernarg_preload_offset 0
		.amdhsa_user_sgpr_private_segment_size 0
		.amdhsa_uses_dynamic_stack 0
		.amdhsa_enable_private_segment 0
		.amdhsa_system_sgpr_workgroup_id_x 1
		.amdhsa_system_sgpr_workgroup_id_y 0
		.amdhsa_system_sgpr_workgroup_id_z 0
		.amdhsa_system_sgpr_workgroup_info 0
		.amdhsa_system_vgpr_workitem_id 1
		.amdhsa_next_free_vgpr 80
		.amdhsa_next_free_sgpr 44
		.amdhsa_accum_offset 80
		.amdhsa_reserve_vcc 1
		.amdhsa_float_round_mode_32 0
		.amdhsa_float_round_mode_16_64 0
		.amdhsa_float_denorm_mode_32 3
		.amdhsa_float_denorm_mode_16_64 3
		.amdhsa_dx10_clamp 1
		.amdhsa_ieee_mode 1
		.amdhsa_fp16_overflow 0
		.amdhsa_tg_split 0
		.amdhsa_exception_fp_ieee_invalid_op 0
		.amdhsa_exception_fp_denorm_src 0
		.amdhsa_exception_fp_ieee_div_zero 0
		.amdhsa_exception_fp_ieee_overflow 0
		.amdhsa_exception_fp_ieee_underflow 0
		.amdhsa_exception_fp_ieee_inexact 0
		.amdhsa_exception_int_div_zero 0
	.end_amdhsa_kernel
	.section	.text._Z12wvSplitK_hf_I6__halfLi32ELi4ELi16ELi8ELi1ELi4EEviiiiiiPKT_S3_S3_PS1_ii,"axG",@progbits,_Z12wvSplitK_hf_I6__halfLi32ELi4ELi16ELi8ELi1ELi4EEviiiiiiPKT_S3_S3_PS1_ii,comdat
.Lfunc_end108:
	.size	_Z12wvSplitK_hf_I6__halfLi32ELi4ELi16ELi8ELi1ELi4EEviiiiiiPKT_S3_S3_PS1_ii, .Lfunc_end108-_Z12wvSplitK_hf_I6__halfLi32ELi4ELi16ELi8ELi1ELi4EEviiiiiiPKT_S3_S3_PS1_ii
                                        ; -- End function
	.section	.AMDGPU.csdata,"",@progbits
; Kernel info:
; codeLenInByte = 5752
; NumSgprs: 50
; NumVgprs: 80
; NumAgprs: 0
; TotalNumVgprs: 80
; ScratchSize: 0
; MemoryBound: 1
; FloatMode: 240
; IeeeMode: 1
; LDSByteSize: 65536 bytes/workgroup (compile time only)
; SGPRBlocks: 6
; VGPRBlocks: 9
; NumSGPRsForWavesPerEU: 50
; NumVGPRsForWavesPerEU: 80
; AccumOffset: 80
; Occupancy: 2
; WaveLimiterHint : 0
; COMPUTE_PGM_RSRC2:SCRATCH_EN: 0
; COMPUTE_PGM_RSRC2:USER_SGPR: 2
; COMPUTE_PGM_RSRC2:TRAP_HANDLER: 0
; COMPUTE_PGM_RSRC2:TGID_X_EN: 1
; COMPUTE_PGM_RSRC2:TGID_Y_EN: 0
; COMPUTE_PGM_RSRC2:TGID_Z_EN: 0
; COMPUTE_PGM_RSRC2:TIDIG_COMP_CNT: 1
; COMPUTE_PGM_RSRC3_GFX90A:ACCUM_OFFSET: 19
; COMPUTE_PGM_RSRC3_GFX90A:TG_SPLIT: 0
	.section	.text._Z16wvSplitK_hf_big_I6__halfLi32ELi4ELi16ELi8ELi1ELi4EEviiiiiiPKT_S3_S3_PS1_ii,"axG",@progbits,_Z16wvSplitK_hf_big_I6__halfLi32ELi4ELi16ELi8ELi1ELi4EEviiiiiiPKT_S3_S3_PS1_ii,comdat
	.protected	_Z16wvSplitK_hf_big_I6__halfLi32ELi4ELi16ELi8ELi1ELi4EEviiiiiiPKT_S3_S3_PS1_ii ; -- Begin function _Z16wvSplitK_hf_big_I6__halfLi32ELi4ELi16ELi8ELi1ELi4EEviiiiiiPKT_S3_S3_PS1_ii
	.globl	_Z16wvSplitK_hf_big_I6__halfLi32ELi4ELi16ELi8ELi1ELi4EEviiiiiiPKT_S3_S3_PS1_ii
	.p2align	8
	.type	_Z16wvSplitK_hf_big_I6__halfLi32ELi4ELi16ELi8ELi1ELi4EEviiiiiiPKT_S3_S3_PS1_ii,@function
_Z16wvSplitK_hf_big_I6__halfLi32ELi4ELi16ELi8ELi1ELi4EEviiiiiiPKT_S3_S3_PS1_ii: ; @_Z16wvSplitK_hf_big_I6__halfLi32ELi4ELi16ELi8ELi1ELi4EEviiiiiiPKT_S3_S3_PS1_ii
; %bb.0:
	s_load_dwordx2 s[8:9], s[0:1], 0x38
	v_bfe_u32 v7, v0, 10, 10
	s_waitcnt lgkmcnt(0)
	v_cmp_gt_u32_e32 vcc, s8, v7
	s_and_saveexec_b64 s[4:5], vcc
	s_cbranch_execz .LBB109_70
; %bb.1:
	s_load_dwordx4 s[20:23], s[0:1], 0x0
	s_mul_i32 s2, s2, s8
	v_add_lshl_u32 v38, s2, v7, 2
	s_mov_b32 s4, 1
	v_add_u32_e32 v1, 4, v38
	s_mov_b32 s5, s4
	s_waitcnt lgkmcnt(0)
	v_cmp_gt_u32_e32 vcc, s23, v38
	v_cmp_le_u32_e64 s[2:3], s23, v1
	s_mov_b32 s6, s4
	s_mov_b32 s7, s4
	v_mov_b64_e32 v[2:3], s[4:5]
	s_and_b64 s[10:11], vcc, s[2:3]
	v_mov_b64_e32 v[4:5], s[6:7]
	s_and_saveexec_b64 s[2:3], s[10:11]
	s_cbranch_execz .LBB109_7
; %bb.2:
	s_add_i32 s16, s23, -4
	v_mov_b64_e32 v[2:3], s[4:5]
	v_cmp_ne_u32_e32 vcc, s16, v38
	v_mov_b64_e32 v[4:5], s[6:7]
	s_and_saveexec_b64 s[10:11], vcc
	s_cbranch_execz .LBB109_6
; %bb.3:
	v_subrev_u32_e32 v1, s16, v38
	v_cmp_lt_u32_e32 vcc, 1, v1
	s_mov_b64 s[12:13], 0
	s_mov_b64 s[14:15], 0
	v_cndmask_b32_e32 v6, 1, v1, vcc
	s_mov_b32 s5, s4
	s_mov_b32 s6, s4
	s_mov_b32 s7, s4
.LBB109_4:                              ; =>This Inner Loop Header: Depth=1
	s_cmp_lg_u32 s14, 3
	s_cselect_b32 s7, s7, 0
	s_cmp_lg_u32 s14, 2
	s_cselect_b32 s6, s6, 0
	;; [unrolled: 2-line block ×4, first 2 shown]
	s_add_u32 s14, s14, 1
	s_addc_u32 s15, s15, 0
	v_cmp_eq_u32_e32 vcc, s14, v6
	v_mov_b64_e32 v[2:3], s[4:5]
	s_or_b64 s[12:13], vcc, s[12:13]
	v_mov_b64_e32 v[4:5], s[6:7]
	s_andn2_b64 exec, exec, s[12:13]
	s_cbranch_execnz .LBB109_4
; %bb.5:
	s_or_b64 exec, exec, s[12:13]
	v_mov_b32_e32 v38, s16
.LBB109_6:
	s_or_b64 exec, exec, s[10:11]
.LBB109_7:
	s_or_b64 exec, exec, s[2:3]
	s_lshl_b32 s2, s8, 2
	s_abs_i32 s3, s2
	v_cvt_f32_u32_e32 v1, s3
	s_sub_i32 s6, 0, s3
	s_abs_i32 s5, s23
	s_ashr_i32 s4, s23, 31
	v_rcp_iflag_f32_e32 v1, v1
	s_nop 0
	v_mul_f32_e32 v1, 0x4f7ffffe, v1
	v_cvt_u32_f32_e32 v1, v1
	s_nop 0
	v_readfirstlane_b32 s7, v1
	s_mul_i32 s6, s6, s7
	s_mul_hi_u32 s6, s7, s6
	s_add_i32 s7, s7, s6
	s_mul_hi_u32 s6, s5, s7
	s_mul_i32 s6, s6, s3
	s_sub_i32 s5, s5, s6
	s_sub_i32 s6, s5, s3
	s_cmp_ge_u32 s5, s3
	s_cselect_b32 s5, s6, s5
	s_sub_i32 s6, s5, s3
	s_cmp_ge_u32 s5, s3
	s_cselect_b32 s3, s6, s5
	s_xor_b32 s3, s3, s4
	s_sub_i32 s3, s3, s4
	s_add_i32 s2, s2, s23
	s_sub_i32 s2, s2, s3
	s_cmp_eq_u32 s3, 0
	s_cselect_b32 s33, s23, s2
	v_cmp_gt_u32_e32 vcc, s33, v38
	s_and_b64 exec, exec, vcc
	s_cbranch_execz .LBB109_70
; %bb.8:
	s_load_dwordx8 s[12:19], s[0:1], 0x10
	s_min_u32 s40, s22, 0x2000
	s_cmp_lg_u32 s20, 0
	s_load_dwordx2 s[24:25], s[0:1], 0x30
	s_cselect_b64 s[2:3], -1, 0
	s_cmp_lg_u32 s22, 0
	s_mul_i32 s0, s9, s8
	s_cselect_b64 s[4:5], -1, 0
	s_lshl_b32 s41, s8, 8
	s_add_i32 s42, s20, -8
	s_add_i32 s43, s23, -1
	s_lshl_b32 s44, s0, 2
	s_waitcnt lgkmcnt(0)
	s_cmp_lg_u64 s[18:19], 0
	s_cselect_b64 s[28:29], -1, 0
	s_abs_i32 s6, s13
	v_cvt_f32_u32_e32 v1, s12
	v_cvt_f32_u32_e32 v6, s6
	s_sub_i32 s7, 0, s12
	s_add_i32 s13, s23, -4
	v_rcp_iflag_f32_e32 v1, v1
	v_rcp_iflag_f32_e32 v6, v6
	v_and_b32_e32 v0, 0x3ff, v0
	v_lshlrev_b32_e32 v41, 3, v0
	v_mul_f32_e32 v1, 0x4f7ffffe, v1
	v_mul_f32_e32 v6, 0x4f7ffffe, v6
	v_cvt_u32_f32_e32 v1, v1
	v_cvt_u32_f32_e32 v6, v6
	v_cmp_eq_u32_e64 s[0:1], 31, v0
	v_lshlrev_b32_e32 v0, 4, v0
	v_mul_lo_u32 v8, s7, v1
	s_sub_i32 s7, 0, s6
	v_readfirstlane_b32 s9, v6
	s_mul_i32 s7, s7, s9
	s_mul_hi_u32 s7, s9, s7
	s_add_i32 s9, s9, s7
	s_sub_i32 s7, 1, s6
	s_cmp_lt_u32 s6, 2
	s_cselect_b32 s7, s7, 1
	s_sub_i32 s10, s7, s6
	s_cmp_ge_u32 s7, s6
	s_cselect_b32 s45, s10, s7
	s_lshr_b32 s7, s9, 31
	s_mul_i32 s7, s7, s6
	s_sub_i32 s7, 2, s7
	s_sub_i32 s10, s7, s6
	s_cmp_ge_u32 s7, s6
	s_cselect_b32 s7, s10, s7
	s_sub_i32 s10, s7, s6
	s_cmp_ge_u32 s7, s6
	s_cselect_b32 s46, s10, s7
	s_mul_hi_u32 s7, s9, 3
	s_mul_i32 s7, s7, s6
	s_sub_i32 s7, 3, s7
	s_sub_i32 s9, s7, s6
	s_cmp_ge_u32 s7, s6
	s_cselect_b32 s7, s9, s7
	s_sub_i32 s9, s7, s6
	s_cmp_ge_u32 s7, s6
	v_lshl_add_u32 v53, v7, 9, v0
	v_lshl_add_u32 v40, v7, 8, v41
	v_cndmask_b32_e64 v0, 0, 1, s[2:3]
	v_mul_hi_u32 v8, v1, v8
	s_cselect_b32 s47, s9, s7
	s_add_u32 s30, s24, 2
	v_mad_u64_u32 v[42:43], s[6:7], s22, 3, v[40:41]
	v_cmp_ne_u32_e64 s[2:3], 1, v0
	v_cndmask_b32_e64 v0, 0, 1, s[4:5]
	s_mov_b64 s[26:27], 0
	v_add_u32_e32 v52, v1, v8
	v_mov_b32_e32 v1, 0
	s_mul_i32 s45, s45, s12
	s_mul_i32 s46, s46, s12
	;; [unrolled: 1-line block ×3, first 2 shown]
	s_addc_u32 s31, s25, 0
	s_mul_i32 s48, s40, 6
	s_lshl_b32 s49, s8, 9
	s_lshl_b32 s50, s40, 2
	;; [unrolled: 1-line block ×3, first 2 shown]
	v_lshl_add_u32 v54, s22, 1, v40
	v_add_u32_e32 v43, s22, v40
	v_cmp_ne_u32_e64 s[4:5], 1, v0
	s_branch .LBB109_12
.LBB109_9:                              ;   in Loop: Header=BB109_12 Depth=1
	s_or_b64 exec, exec, s[10:11]
	v_mov_b32_e32 v38, s13
.LBB109_10:                             ;   in Loop: Header=BB109_12 Depth=1
	s_or_b64 exec, exec, s[8:9]
.LBB109_11:                             ;   in Loop: Header=BB109_12 Depth=1
	s_or_b64 exec, exec, s[34:35]
	v_cmp_le_u32_e32 vcc, s33, v38
	s_or_b64 s[26:27], vcc, s[26:27]
	s_andn2_b64 exec, exec, s[26:27]
	s_cbranch_execz .LBB109_70
.LBB109_12:                             ; =>This Loop Header: Depth=1
                                        ;     Child Loop BB109_16 Depth 2
                                        ;       Child Loop BB109_21 Depth 3
                                        ;     Child Loop BB109_53 Depth 2
	s_mov_b32 s36, 0
	s_and_b64 vcc, exec, s[2:3]
	v_mov_b32_e32 v69, v1
	v_mov_b32_e32 v68, v1
	;; [unrolled: 1-line block ×4, first 2 shown]
	s_waitcnt vmcnt(15)
	v_mov_b32_e32 v39, v1
	s_waitcnt vmcnt(8)
	v_mov_b32_e32 v55, v1
	;; [unrolled: 2-line block ×3, first 2 shown]
	v_mov_b32_e32 v57, v1
	v_mov_b32_e32 v58, v1
	;; [unrolled: 1-line block ×9, first 2 shown]
	s_cbranch_vccnz .LBB109_27
; %bb.13:                               ;   in Loop: Header=BB109_12 Depth=1
	v_min_u32_e32 v0, s43, v38
	v_mul_lo_u32 v44, v0, s21
	v_add_u32_e32 v0, 1, v38
	v_min_u32_e32 v0, s43, v0
	s_waitcnt vmcnt(0)
	v_mul_lo_u32 v46, v0, s21
	v_add_u32_e32 v0, 2, v38
	v_min_u32_e32 v0, s43, v0
	v_mul_lo_u32 v48, v0, s21
	v_add_u32_e32 v0, 3, v38
	v_min_u32_e32 v0, s43, v0
	v_cmp_gt_u32_e64 s[6:7], s23, v38
	v_mov_b32_e32 v45, v1
	v_mov_b32_e32 v47, v1
	;; [unrolled: 1-line block ×3, first 2 shown]
	v_mul_lo_u32 v50, v0, s21
	v_mov_b32_e32 v51, v1
	v_mov_b32_e32 v65, 0
	;; [unrolled: 1-line block ×17, first 2 shown]
	s_mov_b32 s37, 0
	s_branch .LBB109_16
.LBB109_14:                             ;   in Loop: Header=BB109_16 Depth=2
	s_or_b64 exec, exec, s[10:11]
	s_waitcnt vmcnt(3) lgkmcnt(3)
	;;#ASMSTART
	v_dot2c_f32_f16 v69, v34, v18
	;;#ASMEND
	s_waitcnt vmcnt(2)
	;;#ASMSTART
	v_dot2c_f32_f16 v68, v34, v14
	;;#ASMEND
	s_waitcnt vmcnt(1)
	;; [unrolled: 4-line block ×3, first 2 shown]
	;;#ASMSTART
	v_dot2c_f32_f16 v66, v34, v6
	;;#ASMEND
	s_waitcnt lgkmcnt(2)
	;;#ASMSTART
	v_dot2c_f32_f16 v65, v30, v18
	;;#ASMEND
	;;#ASMSTART
	v_dot2c_f32_f16 v64, v30, v14
	;;#ASMEND
	;;#ASMSTART
	v_dot2c_f32_f16 v63, v30, v10
	;;#ASMEND
	;;#ASMSTART
	v_dot2c_f32_f16 v62, v30, v6
	;;#ASMEND
	s_waitcnt lgkmcnt(1)
	;;#ASMSTART
	v_dot2c_f32_f16 v61, v26, v18
	;;#ASMEND
	;;#ASMSTART
	v_dot2c_f32_f16 v60, v26, v14
	;;#ASMEND
	;;#ASMSTART
	v_dot2c_f32_f16 v59, v26, v10
	;;#ASMEND
	;; [unrolled: 13-line block ×3, first 2 shown]
	;;#ASMSTART
	v_dot2c_f32_f16 v39, v22, v6
	;;#ASMEND
	;;#ASMSTART
	v_dot2c_f32_f16 v69, v35, v19
	;;#ASMEND
	;;#ASMSTART
	v_dot2c_f32_f16 v68, v35, v15
	;;#ASMEND
	;;#ASMSTART
	v_dot2c_f32_f16 v67, v35, v11
	;;#ASMEND
	;;#ASMSTART
	v_dot2c_f32_f16 v66, v35, v7
	;;#ASMEND
	;;#ASMSTART
	v_dot2c_f32_f16 v65, v31, v19
	;;#ASMEND
	;;#ASMSTART
	v_dot2c_f32_f16 v64, v31, v15
	;;#ASMEND
	;;#ASMSTART
	v_dot2c_f32_f16 v63, v31, v11
	;;#ASMEND
	;;#ASMSTART
	v_dot2c_f32_f16 v62, v31, v7
	;;#ASMEND
	;;#ASMSTART
	v_dot2c_f32_f16 v61, v27, v19
	;;#ASMEND
	;;#ASMSTART
	v_dot2c_f32_f16 v60, v27, v15
	;;#ASMEND
	;;#ASMSTART
	v_dot2c_f32_f16 v59, v27, v11
	;;#ASMEND
	;;#ASMSTART
	v_dot2c_f32_f16 v58, v27, v7
	;;#ASMEND
	s_nop 0
	;;#ASMSTART
	v_dot2c_f32_f16 v57, v23, v19
	;;#ASMEND
	;;#ASMSTART
	v_dot2c_f32_f16 v56, v23, v15
	;;#ASMEND
	;;#ASMSTART
	v_dot2c_f32_f16 v55, v23, v11
	;;#ASMEND
	;;#ASMSTART
	v_dot2c_f32_f16 v39, v23, v7
	;;#ASMEND
	;;#ASMSTART
	v_dot2c_f32_f16 v69, v36, v20
	;;#ASMEND
	;;#ASMSTART
	v_dot2c_f32_f16 v68, v36, v16
	;;#ASMEND
	;;#ASMSTART
	v_dot2c_f32_f16 v67, v36, v12
	;;#ASMEND
	;;#ASMSTART
	v_dot2c_f32_f16 v66, v36, v8
	;;#ASMEND
	;;#ASMSTART
	v_dot2c_f32_f16 v65, v32, v20
	;;#ASMEND
	;;#ASMSTART
	v_dot2c_f32_f16 v64, v32, v16
	;;#ASMEND
	;;#ASMSTART
	v_dot2c_f32_f16 v63, v32, v12
	;;#ASMEND
	;;#ASMSTART
	v_dot2c_f32_f16 v62, v32, v8
	;;#ASMEND
	;;#ASMSTART
	v_dot2c_f32_f16 v61, v28, v20
	;;#ASMEND
	;;#ASMSTART
	v_dot2c_f32_f16 v60, v28, v16
	;;#ASMEND
	;;#ASMSTART
	v_dot2c_f32_f16 v59, v28, v12
	;;#ASMEND
	;;#ASMSTART
	v_dot2c_f32_f16 v58, v28, v8
	;;#ASMEND
	s_nop 0
	;;#ASMSTART
	v_dot2c_f32_f16 v57, v24, v20
	;;#ASMEND
	;;#ASMSTART
	v_dot2c_f32_f16 v56, v24, v16
	;;#ASMEND
	;;#ASMSTART
	v_dot2c_f32_f16 v55, v24, v12
	;;#ASMEND
	;; [unrolled: 49-line block ×3, first 2 shown]
	;;#ASMSTART
	v_dot2c_f32_f16 v39, v25, v9
	;;#ASMEND
.LBB109_15:                             ;   in Loop: Header=BB109_16 Depth=2
	s_or_b64 exec, exec, s[8:9]
	s_addk_i32 s37, 0x100
	s_cmp_ge_u32 s37, s20
	s_cbranch_scc1 .LBB109_27
.LBB109_16:                             ;   Parent Loop BB109_12 Depth=1
                                        ; =>  This Loop Header: Depth=2
                                        ;       Child Loop BB109_21 Depth 3
	s_cmp_eq_u32 s37, 0
	s_cselect_b64 s[8:9], -1, 0
	s_add_i32 s10, s36, s40
	s_cmp_eq_u32 s37, s10
	s_cselect_b64 s[34:35], -1, 0
	s_or_b64 s[34:35], s[8:9], s[34:35]
	s_andn2_b64 vcc, exec, s[34:35]
	s_cbranch_vccz .LBB109_18
; %bb.17:                               ;   in Loop: Header=BB109_16 Depth=2
	s_and_saveexec_b64 s[8:9], s[6:7]
	s_cbranch_execz .LBB109_15
	s_branch .LBB109_25
.LBB109_18:                             ;   in Loop: Header=BB109_16 Depth=2
	s_and_b64 s[8:9], s[8:9], exec
	s_cselect_b32 s36, s36, s10
	s_and_b64 vcc, exec, s[4:5]
	s_barrier
	s_cbranch_vccnz .LBB109_24
; %bb.19:                               ;   in Loop: Header=BB109_16 Depth=2
	v_add_u32_e32 v6, s36, v54
	v_add_u32_e32 v7, s36, v42
	;; [unrolled: 1-line block ×4, first 2 shown]
	s_mov_b32 s38, 0
	s_mov_b64 s[10:11], 0
	v_mov_b32_e32 v10, v53
                                        ; implicit-def: $sgpr34_sgpr35
	s_branch .LBB109_21
.LBB109_20:                             ;   in Loop: Header=BB109_21 Depth=3
	s_or_b64 exec, exec, s[8:9]
	s_and_b64 s[8:9], exec, s[34:35]
	s_or_b64 s[10:11], s[8:9], s[10:11]
	s_andn2_b64 exec, exec, s[10:11]
	s_cbranch_execz .LBB109_23
.LBB109_21:                             ;   Parent Loop BB109_12 Depth=1
                                        ;     Parent Loop BB109_16 Depth=2
                                        ; =>    This Inner Loop Header: Depth=3
	v_add_u32_e32 v11, s38, v40
	v_add_u32_e32 v0, s38, v9
	v_cmp_gt_u32_e32 vcc, s22, v0
	v_cmp_gt_u32_e64 s[8:9], s40, v11
	s_and_b64 s[52:53], s[8:9], vcc
	s_or_b64 s[34:35], s[34:35], exec
	s_and_saveexec_b64 s[8:9], s[52:53]
	s_cbranch_execz .LBB109_20
; %bb.22:                               ;   in Loop: Header=BB109_21 Depth=3
	v_lshl_add_u64 v[12:13], v[0:1], 1, s[16:17]
	v_add_u32_e32 v0, s38, v8
	v_lshl_add_u64 v[16:17], v[0:1], 1, s[16:17]
	v_add_u32_e32 v0, s38, v6
	global_load_dwordx4 v[12:15], v[12:13], off
	s_nop 0
	global_load_dwordx4 v[16:19], v[16:17], off
	v_lshl_add_u64 v[20:21], v[0:1], 1, s[16:17]
	v_add_u32_e32 v0, s38, v7
	global_load_dwordx4 v[20:23], v[20:21], off
	v_lshl_add_u64 v[24:25], v[0:1], 1, s[16:17]
	global_load_dwordx4 v[24:27], v[24:25], off
	s_add_i32 s38, s38, s41
	s_cmp_ge_u32 s38, s40
	s_cselect_b64 s[52:53], -1, 0
	s_andn2_b64 s[34:35], s[34:35], exec
	s_and_b64 s[52:53], s[52:53], exec
	v_add_u32_e32 v0, s51, v10
	v_add_u32_e32 v11, s50, v10
	;; [unrolled: 1-line block ×3, first 2 shown]
	s_or_b64 s[34:35], s[34:35], s[52:53]
	s_waitcnt vmcnt(3)
	ds_write_b128 v10, v[12:15]
	v_add_u32_e32 v10, s49, v10
	s_waitcnt vmcnt(2)
	ds_write2_b64 v0, v[16:17], v[18:19] offset1:1
	s_waitcnt vmcnt(1)
	ds_write2_b32 v11, v20, v21 offset1:1
	ds_write2_b32 v11, v22, v23 offset0:2 offset1:3
	s_waitcnt vmcnt(0)
	ds_write2_b64 v28, v[24:25], v[26:27] offset1:1
	s_branch .LBB109_20
.LBB109_23:                             ;   in Loop: Header=BB109_16 Depth=2
	s_or_b64 exec, exec, s[10:11]
.LBB109_24:                             ;   in Loop: Header=BB109_16 Depth=2
	s_waitcnt lgkmcnt(0)
	s_barrier
	s_and_saveexec_b64 s[8:9], s[6:7]
	s_cbranch_execz .LBB109_15
.LBB109_25:                             ;   in Loop: Header=BB109_16 Depth=2
	v_add_u32_e32 v70, s37, v41
	v_min_u32_e32 v0, s42, v70
	v_lshl_add_u64 v[6:7], v[0:1], 1, s[14:15]
	v_lshl_add_u64 v[8:9], v[44:45], 1, v[6:7]
	;; [unrolled: 1-line block ×4, first 2 shown]
	global_load_dwordx4 v[18:21], v[8:9], off nt
	global_load_dwordx4 v[14:17], v[10:11], off nt
	v_lshl_add_u64 v[24:25], v[50:51], 1, v[6:7]
	global_load_dwordx4 v[10:13], v[22:23], off nt
	global_load_dwordx4 v[6:9], v[24:25], off nt
	v_cmp_gt_u32_e32 vcc, s20, v70
	v_mov_b32_e32 v34, 0
	v_mov_b32_e32 v35, 0
	;; [unrolled: 1-line block ×16, first 2 shown]
	s_and_saveexec_b64 s[10:11], vcc
	s_cbranch_execz .LBB109_14
; %bb.26:                               ;   in Loop: Header=BB109_16 Depth=2
	v_subrev_u32_e32 v0, s36, v70
	v_lshlrev_b32_e32 v0, 1, v0
	v_add_u32_e32 v22, s51, v0
	ds_read_b128 v[34:37], v0
	ds_read_b128 v[30:33], v22
	v_add_u32_e32 v0, s51, v22
	v_add_u32_e32 v22, s51, v0
	ds_read_b128 v[26:29], v0
	ds_read_b128 v[22:25], v22
	s_branch .LBB109_14
.LBB109_27:                             ;   in Loop: Header=BB109_12 Depth=1
	v_cmp_le_u32_e32 vcc, s23, v38
	s_and_saveexec_b64 s[6:7], vcc
	s_xor_b64 s[6:7], exec, s[6:7]
; %bb.28:                               ;   in Loop: Header=BB109_12 Depth=1
	v_add_u32_e32 v38, s44, v38
                                        ; implicit-def: $vgpr69
                                        ; implicit-def: $vgpr68
                                        ; implicit-def: $vgpr67
                                        ; implicit-def: $vgpr66
                                        ; implicit-def: $vgpr39
                                        ; implicit-def: $vgpr55
                                        ; implicit-def: $vgpr56
                                        ; implicit-def: $vgpr57
                                        ; implicit-def: $vgpr58
                                        ; implicit-def: $vgpr59
                                        ; implicit-def: $vgpr60
                                        ; implicit-def: $vgpr61
                                        ; implicit-def: $vgpr62
                                        ; implicit-def: $vgpr63
                                        ; implicit-def: $vgpr64
                                        ; implicit-def: $vgpr65
; %bb.29:                               ;   in Loop: Header=BB109_12 Depth=1
	s_andn2_saveexec_b64 s[34:35], s[6:7]
	s_cbranch_execz .LBB109_11
; %bb.30:                               ;   in Loop: Header=BB109_12 Depth=1
	v_cvt_i32_f32_e32 v0, v69
	v_cvt_i32_f32_e32 v6, v68
	;; [unrolled: 1-line block ×4, first 2 shown]
	v_cvt_f32_i32_dpp v0, v0 row_shr:8 row_mask:0xf bank_mask:0xf bound_ctrl:1
	v_cvt_f32_i32_dpp v6, v6 row_shr:8 row_mask:0xf bank_mask:0xf bound_ctrl:1
	;; [unrolled: 1-line block ×4, first 2 shown]
	v_add_f32_e32 v0, v69, v0
	v_cvt_i32_f32_e32 v9, v0
	v_add_f32_e32 v6, v68, v6
	v_cvt_i32_f32_e32 v10, v6
	v_add_f32_e32 v7, v67, v7
	v_cvt_f32_i32_dpp v9, v9 row_shr:4 row_mask:0xf bank_mask:0xf bound_ctrl:1
	v_cvt_i32_f32_e32 v11, v7
	v_cvt_f32_i32_dpp v10, v10 row_shr:4 row_mask:0xf bank_mask:0xf bound_ctrl:1
	v_add_f32_e32 v8, v66, v8
	v_add_f32_e32 v0, v0, v9
	v_cvt_i32_f32_e32 v9, v0
	v_add_f32_e32 v6, v6, v10
	v_cvt_i32_f32_e32 v10, v6
	v_cvt_f32_i32_dpp v11, v11 row_shr:4 row_mask:0xf bank_mask:0xf bound_ctrl:1
	v_cvt_f32_i32_dpp v9, v9 row_shr:2 row_mask:0xf bank_mask:0xf bound_ctrl:1
	v_cvt_i32_f32_e32 v12, v8
	v_cvt_f32_i32_dpp v10, v10 row_shr:2 row_mask:0xf bank_mask:0xf bound_ctrl:1
	v_add_f32_e32 v7, v7, v11
	v_add_f32_e32 v0, v0, v9
	v_cvt_i32_f32_e32 v9, v0
	v_add_f32_e32 v6, v6, v10
	v_cvt_i32_f32_e32 v10, v6
	v_cvt_i32_f32_e32 v11, v7
	v_cvt_f32_i32_dpp v9, v9 row_shr:1 row_mask:0xf bank_mask:0xf bound_ctrl:1
	v_cvt_f32_i32_dpp v12, v12 row_shr:4 row_mask:0xf bank_mask:0xf bound_ctrl:1
	;; [unrolled: 1-line block ×4, first 2 shown]
	v_add_f32_e32 v0, v0, v9
	v_cvt_i32_f32_e32 v9, v0
	v_add_f32_e32 v6, v6, v10
	v_cvt_i32_f32_e32 v10, v6
	v_add_f32_e32 v11, v7, v11
	v_cvt_f32_i32_dpp v9, v9 row_bcast:15 row_mask:0xf bank_mask:0xf bound_ctrl:1
	v_cvt_i32_f32_e32 v7, v11
	v_add_f32_e32 v8, v8, v12
	v_cvt_f32_i32_dpp v12, v10 row_bcast:15 row_mask:0xf bank_mask:0xf bound_ctrl:1
	v_add_f32_e32 v10, v0, v9
	v_cvt_i32_f32_e32 v0, v10
	v_cvt_f32_i32_dpp v9, v7 row_shr:1 row_mask:0xf bank_mask:0xf bound_ctrl:1
	v_add_f32_e32 v7, v6, v12
	v_cvt_i32_f32_e32 v6, v7
	v_mov_b32_dpp v13, v0 row_bcast:31 row_mask:0xf bank_mask:0xf bound_ctrl:1
	v_cvt_i32_f32_e32 v0, v8
	v_add_f32_e32 v9, v11, v9
	v_cvt_i32_f32_e32 v11, v65
	v_mov_b32_dpp v12, v6 row_bcast:31 row_mask:0xf bank_mask:0xf bound_ctrl:1
	v_cvt_f32_i32_dpp v0, v0 row_shr:2 row_mask:0xf bank_mask:0xf bound_ctrl:1
	v_cvt_i32_f32_e32 v14, v9
	v_cvt_f32_i32_dpp v6, v11 row_shr:8 row_mask:0xf bank_mask:0xf bound_ctrl:1
	v_add_f32_e32 v0, v8, v0
	v_cvt_f32_i32_dpp v11, v14 row_bcast:15 row_mask:0xf bank_mask:0xf bound_ctrl:1
	v_add_f32_e32 v6, v65, v6
	v_cvt_i32_f32_e32 v8, v0
	v_cvt_i32_f32_e32 v14, v6
	v_add_f32_e32 v9, v9, v11
	v_cvt_i32_f32_e32 v11, v64
	v_cvt_f32_i32_dpp v8, v8 row_shr:1 row_mask:0xf bank_mask:0xf bound_ctrl:1
	v_cvt_f32_i32_dpp v14, v14 row_shr:4 row_mask:0xf bank_mask:0xf bound_ctrl:1
	v_cvt_i32_f32_e32 v15, v9
	v_add_f32_e32 v0, v0, v8
	v_cvt_f32_i32_dpp v8, v11 row_shr:8 row_mask:0xf bank_mask:0xf bound_ctrl:1
	v_add_f32_e32 v6, v6, v14
	v_cvt_i32_f32_e32 v11, v6
	v_cvt_i32_f32_e32 v14, v0
	v_add_f32_e32 v8, v64, v8
	v_cvt_i32_f32_e32 v16, v8
	v_cvt_f32_i32_dpp v11, v11 row_shr:2 row_mask:0xf bank_mask:0xf bound_ctrl:1
	v_cvt_f32_i32_dpp v14, v14 row_bcast:15 row_mask:0xf bank_mask:0xf bound_ctrl:1
	v_mov_b32_dpp v15, v15 row_bcast:31 row_mask:0xf bank_mask:0xf bound_ctrl:1
	v_cvt_f32_i32_dpp v16, v16 row_shr:4 row_mask:0xf bank_mask:0xf bound_ctrl:1
	v_add_f32_e32 v6, v6, v11
	v_cvt_i32_f32_e32 v17, v6
	v_add_f32_e32 v11, v0, v14
	v_add_f32_e32 v0, v8, v16
	v_cvt_i32_f32_e32 v8, v0
	v_cvt_f32_i32_dpp v14, v17 row_shr:1 row_mask:0xf bank_mask:0xf bound_ctrl:1
	v_cvt_i32_f32_e32 v16, v63
	v_cvt_i32_f32_e32 v17, v11
	v_cvt_f32_i32_dpp v8, v8 row_shr:2 row_mask:0xf bank_mask:0xf bound_ctrl:1
	v_add_f32_e32 v6, v6, v14
	v_cvt_f32_i32_dpp v14, v16 row_shr:8 row_mask:0xf bank_mask:0xf bound_ctrl:1
	v_cvt_i32_f32_e32 v16, v6
	v_add_f32_e32 v0, v0, v8
	v_cvt_i32_f32_e32 v8, v0
	v_add_f32_e32 v18, v63, v14
	v_cvt_i32_f32_e32 v14, v18
	v_cvt_f32_i32_dpp v16, v16 row_bcast:15 row_mask:0xf bank_mask:0xf bound_ctrl:1
	v_cvt_f32_i32_dpp v8, v8 row_shr:1 row_mask:0xf bank_mask:0xf bound_ctrl:1
	v_mov_b32_dpp v17, v17 row_bcast:31 row_mask:0xf bank_mask:0xf bound_ctrl:1
	v_cvt_f32_i32_dpp v19, v14 row_shr:4 row_mask:0xf bank_mask:0xf bound_ctrl:1
	v_add_f32_e32 v14, v6, v16
	v_cvt_i32_f32_e32 v6, v62
	v_add_f32_e32 v0, v0, v8
	v_add_f32_e32 v8, v18, v19
	v_cvt_i32_f32_e32 v16, v8
	v_cvt_f32_i32_dpp v6, v6 row_shr:8 row_mask:0xf bank_mask:0xf bound_ctrl:1
	v_cvt_i32_f32_e32 v18, v0
	v_cvt_i32_f32_e32 v19, v14
	v_cvt_f32_i32_dpp v16, v16 row_shr:2 row_mask:0xf bank_mask:0xf bound_ctrl:1
	v_add_f32_e32 v6, v62, v6
	v_cvt_i32_f32_e32 v21, v6
	v_cvt_f32_i32_dpp v18, v18 row_bcast:15 row_mask:0xf bank_mask:0xf bound_ctrl:1
	v_add_f32_e32 v8, v8, v16
	v_mov_b32_dpp v20, v19 row_bcast:31 row_mask:0xf bank_mask:0xf bound_ctrl:1
	v_cvt_f32_i32_dpp v19, v21 row_shr:4 row_mask:0xf bank_mask:0xf bound_ctrl:1
	v_cvt_i32_f32_e32 v22, v8
	v_add_f32_e32 v16, v0, v18
	v_cvt_i32_f32_e32 v18, v61
	v_add_f32_e32 v6, v6, v19
	v_cvt_f32_i32_dpp v0, v22 row_shr:1 row_mask:0xf bank_mask:0xf bound_ctrl:1
	v_cvt_i32_f32_e32 v19, v6
	v_cvt_f32_i32_dpp v18, v18 row_shr:8 row_mask:0xf bank_mask:0xf bound_ctrl:1
	v_cvt_i32_f32_e32 v21, v16
	v_add_f32_e32 v0, v8, v0
	v_cvt_f32_i32_dpp v8, v19 row_shr:2 row_mask:0xf bank_mask:0xf bound_ctrl:1
	v_add_f32_e32 v22, v61, v18
	v_cvt_i32_f32_e32 v19, v0
	v_cvt_i32_f32_e32 v18, v22
	v_add_f32_e32 v6, v6, v8
	v_cvt_i32_f32_e32 v8, v6
	v_cvt_f32_i32_dpp v19, v19 row_bcast:15 row_mask:0xf bank_mask:0xf bound_ctrl:1
	v_cvt_f32_i32_dpp v23, v18 row_shr:4 row_mask:0xf bank_mask:0xf bound_ctrl:1
	v_mov_b32_dpp v21, v21 row_bcast:31 row_mask:0xf bank_mask:0xf bound_ctrl:1
	v_cvt_f32_i32_dpp v8, v8 row_shr:1 row_mask:0xf bank_mask:0xf bound_ctrl:1
	v_add_f32_e32 v18, v0, v19
	v_add_f32_e32 v0, v22, v23
	v_cvt_i32_f32_e32 v19, v0
	v_add_f32_e32 v6, v6, v8
	v_cvt_i32_f32_e32 v8, v60
	v_cvt_i32_f32_e32 v22, v6
	v_cvt_f32_i32_dpp v19, v19 row_shr:2 row_mask:0xf bank_mask:0xf bound_ctrl:1
	v_cvt_i32_f32_e32 v23, v18
	v_cvt_f32_i32_dpp v8, v8 row_shr:8 row_mask:0xf bank_mask:0xf bound_ctrl:1
	v_cvt_f32_i32_dpp v24, v22 row_bcast:15 row_mask:0xf bank_mask:0xf bound_ctrl:1
	v_add_f32_e32 v0, v0, v19
	v_cvt_i32_f32_e32 v19, v0
	v_add_f32_e32 v8, v60, v8
	v_cvt_i32_f32_e32 v25, v8
	v_mov_b32_dpp v22, v23 row_bcast:31 row_mask:0xf bank_mask:0xf bound_ctrl:1
	v_cvt_f32_i32_dpp v23, v19 row_shr:1 row_mask:0xf bank_mask:0xf bound_ctrl:1
	v_add_f32_e32 v19, v6, v24
	v_cvt_f32_i32_dpp v6, v25 row_shr:4 row_mask:0xf bank_mask:0xf bound_ctrl:1
	v_cvt_i32_f32_e32 v24, v19
	v_add_f32_e32 v0, v0, v23
	v_cvt_i32_f32_e32 v23, v59
	v_add_f32_e32 v6, v8, v6
	v_cvt_i32_f32_e32 v8, v6
	v_cvt_i32_f32_e32 v25, v0
	v_cvt_f32_i32_dpp v23, v23 row_shr:8 row_mask:0xf bank_mask:0xf bound_ctrl:1
	v_mov_b32_dpp v24, v24 row_bcast:31 row_mask:0xf bank_mask:0xf bound_ctrl:1
	v_cvt_f32_i32_dpp v8, v8 row_shr:2 row_mask:0xf bank_mask:0xf bound_ctrl:1
	v_cvt_f32_i32_dpp v25, v25 row_bcast:15 row_mask:0xf bank_mask:0xf bound_ctrl:1
	v_add_f32_e32 v26, v59, v23
	v_cvt_i32_f32_e32 v23, v26
	v_add_f32_e32 v6, v6, v8
	v_cvt_i32_f32_e32 v8, v58
	v_cvt_i32_f32_e32 v27, v6
	v_cvt_f32_i32_dpp v28, v23 row_shr:4 row_mask:0xf bank_mask:0xf bound_ctrl:1
	v_add_f32_e32 v23, v0, v25
	v_cvt_f32_i32_dpp v0, v8 row_shr:8 row_mask:0xf bank_mask:0xf bound_ctrl:1
	v_cvt_f32_i32_dpp v8, v27 row_shr:1 row_mask:0xf bank_mask:0xf bound_ctrl:1
	v_add_f32_e32 v25, v26, v28
	v_cvt_i32_f32_e32 v26, v25
	v_add_f32_e32 v0, v58, v0
	v_cvt_i32_f32_e32 v27, v0
	v_add_f32_e32 v6, v6, v8
	v_cvt_f32_i32_dpp v26, v26 row_shr:2 row_mask:0xf bank_mask:0xf bound_ctrl:1
	v_cvt_i32_f32_e32 v28, v23
	v_cvt_f32_i32_dpp v8, v27 row_shr:4 row_mask:0xf bank_mask:0xf bound_ctrl:1
	v_cvt_i32_f32_e32 v27, v6
	v_add_f32_e32 v26, v25, v26
	v_cvt_i32_f32_e32 v25, v26
	v_add_f32_e32 v0, v0, v8
	v_cvt_i32_f32_e32 v8, v0
	v_cvt_f32_i32_dpp v27, v27 row_bcast:15 row_mask:0xf bank_mask:0xf bound_ctrl:1
	v_cvt_f32_i32_dpp v29, v25 row_shr:1 row_mask:0xf bank_mask:0xf bound_ctrl:1
	v_mov_b32_dpp v30, v28 row_bcast:31 row_mask:0xf bank_mask:0xf bound_ctrl:1
	v_cvt_f32_i32_dpp v8, v8 row_shr:2 row_mask:0xf bank_mask:0xf bound_ctrl:1
	v_add_f32_e32 v25, v6, v27
	v_add_f32_e32 v6, v26, v29
	v_cvt_i32_f32_e32 v26, v57
	v_add_f32_e32 v0, v0, v8
	v_cvt_i32_f32_e32 v8, v0
	v_cvt_i32_f32_e32 v27, v6
	v_cvt_f32_i32_dpp v26, v26 row_shr:8 row_mask:0xf bank_mask:0xf bound_ctrl:1
	v_cvt_i32_f32_e32 v28, v25
	v_cvt_f32_i32_dpp v8, v8 row_shr:1 row_mask:0xf bank_mask:0xf bound_ctrl:1
	v_cvt_f32_i32_dpp v27, v27 row_bcast:15 row_mask:0xf bank_mask:0xf bound_ctrl:1
	v_add_f32_e32 v29, v57, v26
	v_cvt_i32_f32_e32 v26, v29
	v_add_f32_e32 v0, v0, v8
	v_cvt_i32_f32_e32 v8, v0
	v_mov_b32_dpp v32, v28 row_bcast:31 row_mask:0xf bank_mask:0xf bound_ctrl:1
	v_cvt_f32_i32_dpp v28, v26 row_shr:4 row_mask:0xf bank_mask:0xf bound_ctrl:1
	v_add_f32_e32 v26, v6, v27
	v_cvt_f32_i32_dpp v6, v8 row_bcast:15 row_mask:0xf bank_mask:0xf bound_ctrl:1
	v_cvt_i32_f32_e32 v8, v56
	v_add_f32_e32 v28, v29, v28
	v_cvt_i32_f32_e32 v29, v28
	v_add_f32_e32 v27, v0, v6
	v_cvt_f32_i32_dpp v8, v8 row_shr:8 row_mask:0xf bank_mask:0xf bound_ctrl:1
	v_cvt_i32_f32_e32 v31, v26
	v_cvt_f32_i32_dpp v0, v29 row_shr:2 row_mask:0xf bank_mask:0xf bound_ctrl:1
	v_cvt_i32_f32_e32 v6, v27
	v_add_f32_e32 v8, v56, v8
	v_cvt_i32_f32_e32 v29, v8
	v_add_f32_e32 v0, v28, v0
	v_cvt_i32_f32_e32 v28, v0
	v_mov_b32_dpp v34, v31 row_bcast:31 row_mask:0xf bank_mask:0xf bound_ctrl:1
	v_cvt_f32_i32_dpp v31, v29 row_shr:4 row_mask:0xf bank_mask:0xf bound_ctrl:1
	v_mov_b32_dpp v29, v6 row_bcast:31 row_mask:0xf bank_mask:0xf bound_ctrl:1
	v_cvt_f32_i32_dpp v6, v28 row_shr:1 row_mask:0xf bank_mask:0xf bound_ctrl:1
	v_cvt_i32_f32_e32 v28, v55
	v_add_f32_e32 v8, v8, v31
	v_cvt_i32_f32_e32 v31, v39
	v_add_f32_e32 v0, v0, v6
	v_cvt_f32_i32_dpp v28, v28 row_shr:8 row_mask:0xf bank_mask:0xf bound_ctrl:1
	v_cvt_i32_f32_e32 v33, v8
	v_cvt_f32_i32_dpp v6, v31 row_shr:8 row_mask:0xf bank_mask:0xf bound_ctrl:1
	v_cvt_i32_f32_e32 v36, v0
	v_add_f32_e32 v28, v55, v28
	v_cvt_f32_i32_dpp v31, v33 row_shr:2 row_mask:0xf bank_mask:0xf bound_ctrl:1
	v_add_f32_e32 v6, v39, v6
	v_cvt_i32_f32_e32 v33, v28
	v_cvt_i32_f32_e32 v35, v6
	v_add_f32_e32 v8, v8, v31
	v_cvt_f32_i32_dpp v36, v36 row_bcast:15 row_mask:0xf bank_mask:0xf bound_ctrl:1
	v_cvt_f32_i32_dpp v33, v33 row_shr:4 row_mask:0xf bank_mask:0xf bound_ctrl:1
	v_cvt_f32_i32_dpp v31, v35 row_shr:4 row_mask:0xf bank_mask:0xf bound_ctrl:1
	v_cvt_i32_f32_e32 v35, v8
	v_add_f32_e32 v37, v0, v36
	v_add_f32_e32 v28, v28, v33
	;; [unrolled: 1-line block ×3, first 2 shown]
	v_cvt_i32_f32_e32 v33, v28
	v_cvt_i32_f32_e32 v31, v6
	v_cvt_f32_i32_dpp v35, v35 row_shr:1 row_mask:0xf bank_mask:0xf bound_ctrl:1
	v_cvt_f32_i32_dpp v33, v33 row_shr:2 row_mask:0xf bank_mask:0xf bound_ctrl:1
	;; [unrolled: 1-line block ×3, first 2 shown]
	v_add_f32_e32 v8, v8, v35
	v_cvt_i32_f32_e32 v35, v8
	v_add_f32_e32 v28, v28, v33
	v_add_f32_e32 v6, v6, v31
	v_cvt_i32_f32_e32 v33, v28
	v_cvt_i32_f32_e32 v31, v6
	s_nop 0
	v_cvt_f32_i32_dpp v33, v33 row_shr:1 row_mask:0xf bank_mask:0xf bound_ctrl:1
	v_cvt_f32_i32_dpp v0, v31 row_shr:1 row_mask:0xf bank_mask:0xf bound_ctrl:1
	v_cvt_f32_i32_dpp v31, v35 row_bcast:15 row_mask:0xf bank_mask:0xf bound_ctrl:1
	v_cvt_i32_f32_e32 v35, v37
	v_add_f32_e32 v28, v28, v33
	v_add_f32_e32 v0, v6, v0
	v_cvt_i32_f32_e32 v33, v28
	v_cvt_i32_f32_e32 v6, v0
	v_add_f32_e32 v36, v8, v31
	v_cvt_i32_f32_e32 v8, v36
	v_cvt_f32_i32_dpp v33, v33 row_bcast:15 row_mask:0xf bank_mask:0xf bound_ctrl:1
	v_cvt_f32_i32_dpp v6, v6 row_bcast:15 row_mask:0xf bank_mask:0xf bound_ctrl:1
	v_mov_b32_dpp v45, v35 row_bcast:31 row_mask:0xf bank_mask:0xf bound_ctrl:1
	v_mov_b32_dpp v44, v8 row_bcast:31 row_mask:0xf bank_mask:0xf bound_ctrl:1
	v_add_f32_e32 v33, v28, v33
	v_add_f32_e32 v28, v0, v6
	v_cvt_i32_f32_e32 v31, v33
	v_cvt_i32_f32_e32 v0, v28
	s_nop 0
	v_mov_b32_dpp v35, v31 row_bcast:31 row_mask:0xf bank_mask:0xf bound_ctrl:1
	v_mov_b32_dpp v31, v0 row_bcast:31 row_mask:0xf bank_mask:0xf bound_ctrl:1
	s_and_saveexec_b64 s[36:37], s[0:1]
	s_cbranch_execz .LBB109_50
; %bb.31:                               ;   in Loop: Header=BB109_12 Depth=1
	s_andn2_b64 vcc, exec, s[28:29]
	v_mov_b32_e32 v39, 0
	v_add_u32_e32 v8, 2, v38
	v_add_u32_e32 v6, 3, v38
	v_mov_b32_e32 v63, 0
	v_mov_b32_e32 v62, 0
	;; [unrolled: 1-line block ×9, first 2 shown]
	s_waitcnt vmcnt(5)
	v_mov_b32_e32 v51, 0
	s_waitcnt vmcnt(4)
	v_mov_b32_e32 v50, 0
	;; [unrolled: 2-line block ×6, first 2 shown]
	s_cbranch_vccnz .LBB109_33
; %bb.32:                               ;   in Loop: Header=BB109_12 Depth=1
	v_mul_hi_u32 v0, v38, v52
	v_mul_lo_u32 v0, v0, s12
	v_sub_u32_e32 v0, v38, v0
	v_subrev_u32_e32 v39, s12, v0
	v_cmp_le_u32_e32 vcc, s12, v0
	v_mov_b32_e32 v49, v1
	v_mov_b32_e32 v61, v1
	v_cndmask_b32_e32 v0, v0, v39, vcc
	v_subrev_u32_e32 v39, s12, v0
	v_cmp_le_u32_e32 vcc, s12, v0
	v_mov_b32_e32 v57, v1
	v_mov_b32_e32 v59, v1
	v_cndmask_b32_e32 v0, v0, v39, vcc
	v_add_u32_e32 v39, 1, v38
	v_mul_hi_u32 v48, v39, v52
	v_mul_lo_u32 v48, v48, s12
	v_sub_u32_e32 v39, v39, v48
	v_subrev_u32_e32 v48, s12, v39
	v_cmp_le_u32_e32 vcc, s12, v39
	v_add_u32_e32 v60, s45, v0
	v_lshl_add_u64 v[68:69], v[60:61], 1, s[18:19]
	v_cndmask_b32_e32 v39, v39, v48, vcc
	v_subrev_u32_e32 v48, s12, v39
	v_cmp_le_u32_e32 vcc, s12, v39
	v_lshl_add_u64 v[46:47], v[0:1], 1, s[18:19]
	s_nop 0
	v_cndmask_b32_e32 v48, v39, v48, vcc
	v_mul_hi_u32 v39, v8, v52
	v_mul_lo_u32 v39, v39, s12
	v_sub_u32_e32 v39, v8, v39
	v_lshl_add_u64 v[50:51], v[48:49], 1, s[18:19]
	v_subrev_u32_e32 v49, s12, v39
	v_cmp_le_u32_e32 vcc, s12, v39
	v_add_u32_e32 v60, s45, v48
	v_lshl_add_u64 v[70:71], v[60:61], 1, s[18:19]
	v_cndmask_b32_e32 v39, v39, v49, vcc
	v_subrev_u32_e32 v49, s12, v39
	v_cmp_le_u32_e32 vcc, s12, v39
	s_nop 1
	v_cndmask_b32_e32 v56, v39, v49, vcc
	v_mul_hi_u32 v39, v6, v52
	v_mul_lo_u32 v39, v39, s12
	v_sub_u32_e32 v39, v6, v39
	v_subrev_u32_e32 v49, s12, v39
	v_cmp_le_u32_e32 vcc, s12, v39
	v_add_u32_e32 v60, s45, v56
	v_lshl_add_u64 v[72:73], v[60:61], 1, s[18:19]
	v_cndmask_b32_e32 v39, v39, v49, vcc
	v_subrev_u32_e32 v49, s12, v39
	v_cmp_le_u32_e32 vcc, s12, v39
	v_lshl_add_u64 v[64:65], v[56:57], 1, s[18:19]
	s_nop 0
	v_cndmask_b32_e32 v58, v39, v49, vcc
	v_add_u32_e32 v60, s45, v58
	v_lshl_add_u64 v[66:67], v[58:59], 1, s[18:19]
	v_lshl_add_u64 v[74:75], v[60:61], 1, s[18:19]
	global_load_ushort v39, v[46:47], off
	global_load_ushort v63, v[50:51], off
	;; [unrolled: 1-line block ×8, first 2 shown]
	v_add_u32_e32 v46, s46, v0
	v_mov_b32_e32 v47, v1
	v_add_u32_e32 v0, s47, v0
	v_lshl_add_u64 v[64:65], v[46:47], 1, s[18:19]
	v_add_u32_e32 v46, s46, v48
	v_lshl_add_u64 v[72:73], v[0:1], 1, s[18:19]
	;; [unrolled: 2-line block ×7, first 2 shown]
	v_lshl_add_u64 v[78:79], v[0:1], 1, s[18:19]
	global_load_ushort v58, v[64:65], off
	global_load_ushort v56, v[66:67], off
	;; [unrolled: 1-line block ×8, first 2 shown]
.LBB109_33:                             ;   in Loop: Header=BB109_12 Depth=1
	v_cmp_ne_u32_e32 vcc, 0, v2
	s_and_saveexec_b64 s[6:7], vcc
	s_cbranch_execnz .LBB109_55
; %bb.34:                               ;   in Loop: Header=BB109_12 Depth=1
	s_or_b64 exec, exec, s[6:7]
	v_cmp_ne_u32_e64 s[6:7], 0, v3
	s_and_saveexec_b64 s[8:9], s[6:7]
	s_cbranch_execnz .LBB109_56
.LBB109_35:                             ;   in Loop: Header=BB109_12 Depth=1
	s_or_b64 exec, exec, s[8:9]
	v_cmp_ne_u32_e64 s[8:9], 0, v4
	s_and_saveexec_b64 s[10:11], s[8:9]
	s_cbranch_execnz .LBB109_57
.LBB109_36:                             ;   in Loop: Header=BB109_12 Depth=1
	s_or_b64 exec, exec, s[10:11]
	v_cmp_ne_u32_e64 s[10:11], 0, v5
	s_and_saveexec_b64 s[38:39], s[10:11]
	s_cbranch_execnz .LBB109_58
.LBB109_37:                             ;   in Loop: Header=BB109_12 Depth=1
	s_or_b64 exec, exec, s[38:39]
	v_add_u32_e32 v0, s23, v38
	s_and_saveexec_b64 s[38:39], vcc
	s_cbranch_execnz .LBB109_59
.LBB109_38:                             ;   in Loop: Header=BB109_12 Depth=1
	s_or_b64 exec, exec, s[38:39]
	s_and_saveexec_b64 s[38:39], s[6:7]
	s_cbranch_execnz .LBB109_60
.LBB109_39:                             ;   in Loop: Header=BB109_12 Depth=1
	s_or_b64 exec, exec, s[38:39]
	s_and_saveexec_b64 s[38:39], s[8:9]
	s_cbranch_execnz .LBB109_61
.LBB109_40:                             ;   in Loop: Header=BB109_12 Depth=1
	s_or_b64 exec, exec, s[38:39]
	s_and_saveexec_b64 s[38:39], s[10:11]
	s_cbranch_execnz .LBB109_62
.LBB109_41:                             ;   in Loop: Header=BB109_12 Depth=1
	s_or_b64 exec, exec, s[38:39]
	v_add_u32_e32 v0, s23, v0
	s_and_saveexec_b64 s[38:39], vcc
	s_cbranch_execnz .LBB109_63
.LBB109_42:                             ;   in Loop: Header=BB109_12 Depth=1
	s_or_b64 exec, exec, s[38:39]
	s_and_saveexec_b64 s[38:39], s[6:7]
	s_cbranch_execnz .LBB109_64
.LBB109_43:                             ;   in Loop: Header=BB109_12 Depth=1
	s_or_b64 exec, exec, s[38:39]
	s_and_saveexec_b64 s[38:39], s[8:9]
	s_cbranch_execnz .LBB109_65
.LBB109_44:                             ;   in Loop: Header=BB109_12 Depth=1
	s_or_b64 exec, exec, s[38:39]
	s_and_saveexec_b64 s[38:39], s[10:11]
	s_cbranch_execnz .LBB109_66
.LBB109_45:                             ;   in Loop: Header=BB109_12 Depth=1
	s_or_b64 exec, exec, s[38:39]
	v_add_u32_e32 v0, s23, v0
	s_and_saveexec_b64 s[38:39], vcc
	s_cbranch_execnz .LBB109_67
.LBB109_46:                             ;   in Loop: Header=BB109_12 Depth=1
	s_or_b64 exec, exec, s[38:39]
	s_and_saveexec_b64 s[38:39], s[6:7]
	s_cbranch_execnz .LBB109_68
.LBB109_47:                             ;   in Loop: Header=BB109_12 Depth=1
	s_or_b64 exec, exec, s[38:39]
	s_and_saveexec_b64 s[6:7], s[8:9]
	s_cbranch_execnz .LBB109_69
.LBB109_48:                             ;   in Loop: Header=BB109_12 Depth=1
	s_or_b64 exec, exec, s[6:7]
	s_and_b64 exec, exec, s[10:11]
	s_cbranch_execz .LBB109_50
.LBB109_49:                             ;   in Loop: Header=BB109_12 Depth=1
	v_cvt_f32_i32_e32 v6, v31
	s_waitcnt vmcnt(0)
	v_cvt_f32_f16_e32 v7, v46
	v_add_u32_e32 v0, 3, v0
	v_add_f32_e32 v6, v28, v6
	v_add_f32_e32 v6, v6, v7
	v_cvt_f16_f32_e32 v8, v6
	v_lshl_add_u64 v[6:7], v[0:1], 1, s[24:25]
	global_store_short v[6:7], v8, off
.LBB109_50:                             ;   in Loop: Header=BB109_12 Depth=1
	s_or_b64 exec, exec, s[36:37]
	v_add_u32_e32 v38, s44, v38
	v_add_u32_e32 v0, 4, v38
	v_cmp_gt_u32_e32 vcc, s23, v38
	v_cmp_le_u32_e64 s[6:7], s23, v0
	s_and_b64 s[6:7], vcc, s[6:7]
	s_and_saveexec_b64 s[8:9], s[6:7]
	s_cbranch_execz .LBB109_10
; %bb.51:                               ;   in Loop: Header=BB109_12 Depth=1
	v_cmp_ne_u32_e32 vcc, s13, v38
	s_and_saveexec_b64 s[10:11], vcc
	s_cbranch_execz .LBB109_9
; %bb.52:                               ;   in Loop: Header=BB109_12 Depth=1
	v_subrev_u32_e32 v0, s13, v38
	v_cmp_lt_u32_e32 vcc, 1, v0
	s_mov_b64 s[36:37], 0
	s_mov_b64 s[38:39], 0
	v_cndmask_b32_e32 v0, 1, v0, vcc
.LBB109_53:                             ;   Parent Loop BB109_12 Depth=1
                                        ; =>  This Inner Loop Header: Depth=2
	s_cmp_lg_u32 s38, 3
	s_cselect_b64 vcc, -1, 0
	s_cmp_lg_u32 s38, 2
	v_cndmask_b32_e32 v5, 0, v5, vcc
	s_cselect_b64 vcc, -1, 0
	s_cmp_lg_u32 s38, 1
	v_cndmask_b32_e32 v4, 0, v4, vcc
	;; [unrolled: 3-line block ×3, first 2 shown]
	s_cselect_b64 vcc, -1, 0
	s_add_u32 s38, s38, 1
	s_addc_u32 s39, s39, 0
	v_cmp_eq_u32_e64 s[6:7], s38, v0
	s_or_b64 s[36:37], s[6:7], s[36:37]
	v_cndmask_b32_e32 v2, 0, v2, vcc
	s_andn2_b64 exec, exec, s[36:37]
	s_cbranch_execnz .LBB109_53
; %bb.54:                               ;   in Loop: Header=BB109_12 Depth=1
	s_or_b64 exec, exec, s[36:37]
	s_branch .LBB109_9
.LBB109_55:                             ;   in Loop: Header=BB109_12 Depth=1
	v_cvt_f32_i32_e32 v0, v13
	s_waitcnt vmcnt(15)
	v_cvt_f32_f16_e32 v13, v39
	v_mov_b32_e32 v39, v1
	v_lshl_add_u64 v[64:65], v[38:39], 1, s[24:25]
	v_add_f32_e32 v0, v10, v0
	v_add_f32_e32 v0, v0, v13
	v_cvt_f16_f32_e32 v0, v0
	global_store_short v[64:65], v0, off
	s_or_b64 exec, exec, s[6:7]
	v_cmp_ne_u32_e64 s[6:7], 0, v3
	s_and_saveexec_b64 s[8:9], s[6:7]
	s_cbranch_execz .LBB109_35
.LBB109_56:                             ;   in Loop: Header=BB109_12 Depth=1
	v_cvt_f32_i32_e32 v0, v12
	s_waitcnt vmcnt(14)
	v_cvt_f32_f16_e32 v10, v63
	v_mov_b32_e32 v39, v1
	v_lshl_add_u64 v[12:13], v[38:39], 1, s[30:31]
	v_add_f32_e32 v0, v7, v0
	v_add_f32_e32 v0, v0, v10
	v_cvt_f16_f32_e32 v0, v0
	global_store_short v[12:13], v0, off
	s_or_b64 exec, exec, s[8:9]
	v_cmp_ne_u32_e64 s[8:9], 0, v4
	s_and_saveexec_b64 s[10:11], s[8:9]
	s_cbranch_execz .LBB109_36
.LBB109_57:                             ;   in Loop: Header=BB109_12 Depth=1
	v_cvt_f32_i32_e32 v0, v15
	s_waitcnt vmcnt(13)
	v_cvt_f32_f16_e32 v7, v62
	v_add_f32_e32 v0, v9, v0
	v_add_f32_e32 v0, v0, v7
	v_cvt_f16_f32_e32 v0, v0
	v_mov_b32_e32 v9, v1
	v_lshl_add_u64 v[8:9], v[8:9], 1, s[24:25]
	global_store_short v[8:9], v0, off
	s_or_b64 exec, exec, s[10:11]
	v_cmp_ne_u32_e64 s[10:11], 0, v5
	s_and_saveexec_b64 s[38:39], s[10:11]
	s_cbranch_execz .LBB109_37
.LBB109_58:                             ;   in Loop: Header=BB109_12 Depth=1
	v_cvt_f32_i32_e32 v0, v17
	s_waitcnt vmcnt(12)
	v_cvt_f32_f16_e32 v7, v61
	v_add_f32_e32 v0, v11, v0
	v_add_f32_e32 v0, v0, v7
	v_cvt_f16_f32_e32 v0, v0
	v_mov_b32_e32 v7, v1
	v_lshl_add_u64 v[6:7], v[6:7], 1, s[24:25]
	global_store_short v[6:7], v0, off
	s_or_b64 exec, exec, s[38:39]
	v_add_u32_e32 v0, s23, v38
	s_and_saveexec_b64 s[38:39], vcc
	s_cbranch_execz .LBB109_38
.LBB109_59:                             ;   in Loop: Header=BB109_12 Depth=1
	v_cvt_f32_i32_e32 v6, v20
	s_waitcnt vmcnt(11)
	v_cvt_f32_f16_e32 v7, v60
	v_add_f32_e32 v6, v14, v6
	v_add_f32_e32 v6, v6, v7
	v_cvt_f16_f32_e32 v8, v6
	v_lshl_add_u64 v[6:7], v[0:1], 1, s[24:25]
	global_store_short v[6:7], v8, off
	s_or_b64 exec, exec, s[38:39]
	s_and_saveexec_b64 s[38:39], s[6:7]
	s_cbranch_execz .LBB109_39
.LBB109_60:                             ;   in Loop: Header=BB109_12 Depth=1
	v_cvt_f32_i32_e32 v6, v21
	s_waitcnt vmcnt(10)
	v_cvt_f32_f16_e32 v7, v59
	v_add_f32_e32 v6, v16, v6
	v_add_f32_e32 v6, v6, v7
	v_cvt_f16_f32_e32 v8, v6
	v_add_u32_e32 v6, 1, v0
	v_mov_b32_e32 v7, v1
	v_lshl_add_u64 v[6:7], v[6:7], 1, s[24:25]
	global_store_short v[6:7], v8, off
	s_or_b64 exec, exec, s[38:39]
	s_and_saveexec_b64 s[38:39], s[8:9]
	s_cbranch_execz .LBB109_40
.LBB109_61:                             ;   in Loop: Header=BB109_12 Depth=1
	v_cvt_f32_i32_e32 v6, v22
	s_waitcnt vmcnt(9)
	v_cvt_f32_f16_e32 v7, v57
	v_add_f32_e32 v6, v18, v6
	v_add_f32_e32 v6, v6, v7
	v_cvt_f16_f32_e32 v8, v6
	v_add_u32_e32 v6, 2, v0
	v_mov_b32_e32 v7, v1
	v_lshl_add_u64 v[6:7], v[6:7], 1, s[24:25]
	global_store_short v[6:7], v8, off
	s_or_b64 exec, exec, s[38:39]
	s_and_saveexec_b64 s[38:39], s[10:11]
	s_cbranch_execz .LBB109_41
.LBB109_62:                             ;   in Loop: Header=BB109_12 Depth=1
	v_cvt_f32_i32_e32 v6, v24
	s_waitcnt vmcnt(8)
	v_cvt_f32_f16_e32 v7, v55
	v_add_f32_e32 v6, v19, v6
	v_add_f32_e32 v6, v6, v7
	v_cvt_f16_f32_e32 v8, v6
	v_add_u32_e32 v6, 3, v0
	v_mov_b32_e32 v7, v1
	v_lshl_add_u64 v[6:7], v[6:7], 1, s[24:25]
	global_store_short v[6:7], v8, off
	s_or_b64 exec, exec, s[38:39]
	v_add_u32_e32 v0, s23, v0
	s_and_saveexec_b64 s[38:39], vcc
	s_cbranch_execz .LBB109_42
.LBB109_63:                             ;   in Loop: Header=BB109_12 Depth=1
	v_cvt_f32_i32_e32 v6, v30
	s_waitcnt vmcnt(7)
	v_cvt_f32_f16_e32 v7, v58
	v_add_f32_e32 v6, v23, v6
	v_add_f32_e32 v6, v6, v7
	v_cvt_f16_f32_e32 v8, v6
	v_lshl_add_u64 v[6:7], v[0:1], 1, s[24:25]
	global_store_short v[6:7], v8, off
	s_or_b64 exec, exec, s[38:39]
	s_and_saveexec_b64 s[38:39], s[6:7]
	s_cbranch_execz .LBB109_43
.LBB109_64:                             ;   in Loop: Header=BB109_12 Depth=1
	v_cvt_f32_i32_e32 v6, v32
	s_waitcnt vmcnt(6)
	v_cvt_f32_f16_e32 v7, v56
	v_add_f32_e32 v6, v25, v6
	v_add_f32_e32 v6, v6, v7
	v_cvt_f16_f32_e32 v8, v6
	v_add_u32_e32 v6, 1, v0
	v_mov_b32_e32 v7, v1
	v_lshl_add_u64 v[6:7], v[6:7], 1, s[24:25]
	global_store_short v[6:7], v8, off
	s_or_b64 exec, exec, s[38:39]
	s_and_saveexec_b64 s[38:39], s[8:9]
	s_cbranch_execz .LBB109_44
.LBB109_65:                             ;   in Loop: Header=BB109_12 Depth=1
	v_cvt_f32_i32_e32 v6, v34
	s_waitcnt vmcnt(5)
	v_cvt_f32_f16_e32 v7, v51
	v_add_f32_e32 v6, v26, v6
	v_add_f32_e32 v6, v6, v7
	v_cvt_f16_f32_e32 v8, v6
	v_add_u32_e32 v6, 2, v0
	v_mov_b32_e32 v7, v1
	v_lshl_add_u64 v[6:7], v[6:7], 1, s[24:25]
	global_store_short v[6:7], v8, off
	s_or_b64 exec, exec, s[38:39]
	s_and_saveexec_b64 s[38:39], s[10:11]
	s_cbranch_execz .LBB109_45
.LBB109_66:                             ;   in Loop: Header=BB109_12 Depth=1
	v_cvt_f32_i32_e32 v6, v29
	s_waitcnt vmcnt(4)
	v_cvt_f32_f16_e32 v7, v50
	v_add_f32_e32 v6, v27, v6
	v_add_f32_e32 v6, v6, v7
	v_cvt_f16_f32_e32 v8, v6
	v_add_u32_e32 v6, 3, v0
	v_mov_b32_e32 v7, v1
	v_lshl_add_u64 v[6:7], v[6:7], 1, s[24:25]
	global_store_short v[6:7], v8, off
	s_or_b64 exec, exec, s[38:39]
	v_add_u32_e32 v0, s23, v0
	s_and_saveexec_b64 s[38:39], vcc
	s_cbranch_execz .LBB109_46
.LBB109_67:                             ;   in Loop: Header=BB109_12 Depth=1
	v_cvt_f32_i32_e32 v6, v45
	s_waitcnt vmcnt(3)
	v_cvt_f32_f16_e32 v7, v49
	v_add_f32_e32 v6, v37, v6
	v_add_f32_e32 v6, v6, v7
	v_cvt_f16_f32_e32 v8, v6
	v_lshl_add_u64 v[6:7], v[0:1], 1, s[24:25]
	global_store_short v[6:7], v8, off
	s_or_b64 exec, exec, s[38:39]
	s_and_saveexec_b64 s[38:39], s[6:7]
	s_cbranch_execz .LBB109_47
.LBB109_68:                             ;   in Loop: Header=BB109_12 Depth=1
	v_cvt_f32_i32_e32 v6, v44
	s_waitcnt vmcnt(2)
	v_cvt_f32_f16_e32 v7, v48
	v_add_f32_e32 v6, v36, v6
	v_add_f32_e32 v6, v6, v7
	v_cvt_f16_f32_e32 v8, v6
	v_add_u32_e32 v6, 1, v0
	v_mov_b32_e32 v7, v1
	v_lshl_add_u64 v[6:7], v[6:7], 1, s[24:25]
	global_store_short v[6:7], v8, off
	s_or_b64 exec, exec, s[38:39]
	s_and_saveexec_b64 s[6:7], s[8:9]
	s_cbranch_execz .LBB109_48
.LBB109_69:                             ;   in Loop: Header=BB109_12 Depth=1
	v_cvt_f32_i32_e32 v6, v35
	s_waitcnt vmcnt(1)
	v_cvt_f32_f16_e32 v7, v47
	v_add_f32_e32 v6, v33, v6
	v_add_f32_e32 v6, v6, v7
	v_cvt_f16_f32_e32 v8, v6
	v_add_u32_e32 v6, 2, v0
	v_mov_b32_e32 v7, v1
	v_lshl_add_u64 v[6:7], v[6:7], 1, s[24:25]
	global_store_short v[6:7], v8, off
	s_or_b64 exec, exec, s[6:7]
	s_and_b64 exec, exec, s[10:11]
	s_cbranch_execnz .LBB109_49
	s_branch .LBB109_50
.LBB109_70:
	s_endpgm
	.section	.rodata,"a",@progbits
	.p2align	6, 0x0
	.amdhsa_kernel _Z16wvSplitK_hf_big_I6__halfLi32ELi4ELi16ELi8ELi1ELi4EEviiiiiiPKT_S3_S3_PS1_ii
		.amdhsa_group_segment_fixed_size 65536
		.amdhsa_private_segment_fixed_size 0
		.amdhsa_kernarg_size 64
		.amdhsa_user_sgpr_count 2
		.amdhsa_user_sgpr_dispatch_ptr 0
		.amdhsa_user_sgpr_queue_ptr 0
		.amdhsa_user_sgpr_kernarg_segment_ptr 1
		.amdhsa_user_sgpr_dispatch_id 0
		.amdhsa_user_sgpr_kernarg_preload_length 0
		.amdhsa_user_sgpr_kernarg_preload_offset 0
		.amdhsa_user_sgpr_private_segment_size 0
		.amdhsa_uses_dynamic_stack 0
		.amdhsa_enable_private_segment 0
		.amdhsa_system_sgpr_workgroup_id_x 1
		.amdhsa_system_sgpr_workgroup_id_y 0
		.amdhsa_system_sgpr_workgroup_id_z 0
		.amdhsa_system_sgpr_workgroup_info 0
		.amdhsa_system_vgpr_workitem_id 1
		.amdhsa_next_free_vgpr 80
		.amdhsa_next_free_sgpr 54
		.amdhsa_accum_offset 80
		.amdhsa_reserve_vcc 1
		.amdhsa_float_round_mode_32 0
		.amdhsa_float_round_mode_16_64 0
		.amdhsa_float_denorm_mode_32 3
		.amdhsa_float_denorm_mode_16_64 3
		.amdhsa_dx10_clamp 1
		.amdhsa_ieee_mode 1
		.amdhsa_fp16_overflow 0
		.amdhsa_tg_split 0
		.amdhsa_exception_fp_ieee_invalid_op 0
		.amdhsa_exception_fp_denorm_src 0
		.amdhsa_exception_fp_ieee_div_zero 0
		.amdhsa_exception_fp_ieee_overflow 0
		.amdhsa_exception_fp_ieee_underflow 0
		.amdhsa_exception_fp_ieee_inexact 0
		.amdhsa_exception_int_div_zero 0
	.end_amdhsa_kernel
	.section	.text._Z16wvSplitK_hf_big_I6__halfLi32ELi4ELi16ELi8ELi1ELi4EEviiiiiiPKT_S3_S3_PS1_ii,"axG",@progbits,_Z16wvSplitK_hf_big_I6__halfLi32ELi4ELi16ELi8ELi1ELi4EEviiiiiiPKT_S3_S3_PS1_ii,comdat
.Lfunc_end109:
	.size	_Z16wvSplitK_hf_big_I6__halfLi32ELi4ELi16ELi8ELi1ELi4EEviiiiiiPKT_S3_S3_PS1_ii, .Lfunc_end109-_Z16wvSplitK_hf_big_I6__halfLi32ELi4ELi16ELi8ELi1ELi4EEviiiiiiPKT_S3_S3_PS1_ii
                                        ; -- End function
	.section	.AMDGPU.csdata,"",@progbits
; Kernel info:
; codeLenInByte = 5656
; NumSgprs: 60
; NumVgprs: 80
; NumAgprs: 0
; TotalNumVgprs: 80
; ScratchSize: 0
; MemoryBound: 0
; FloatMode: 240
; IeeeMode: 1
; LDSByteSize: 65536 bytes/workgroup (compile time only)
; SGPRBlocks: 7
; VGPRBlocks: 9
; NumSGPRsForWavesPerEU: 60
; NumVGPRsForWavesPerEU: 80
; AccumOffset: 80
; Occupancy: 2
; WaveLimiterHint : 0
; COMPUTE_PGM_RSRC2:SCRATCH_EN: 0
; COMPUTE_PGM_RSRC2:USER_SGPR: 2
; COMPUTE_PGM_RSRC2:TRAP_HANDLER: 0
; COMPUTE_PGM_RSRC2:TGID_X_EN: 1
; COMPUTE_PGM_RSRC2:TGID_Y_EN: 0
; COMPUTE_PGM_RSRC2:TGID_Z_EN: 0
; COMPUTE_PGM_RSRC2:TIDIG_COMP_CNT: 1
; COMPUTE_PGM_RSRC3_GFX90A:ACCUM_OFFSET: 19
; COMPUTE_PGM_RSRC3_GFX90A:TG_SPLIT: 0
	.section	.text._Z16wvSplitK_hf_sml_I6__halfLi32ELi4ELi16ELi8ELi2ELi4EEviiiiiiPKT_S3_S3_PS1_ii,"axG",@progbits,_Z16wvSplitK_hf_sml_I6__halfLi32ELi4ELi16ELi8ELi2ELi4EEviiiiiiPKT_S3_S3_PS1_ii,comdat
	.protected	_Z16wvSplitK_hf_sml_I6__halfLi32ELi4ELi16ELi8ELi2ELi4EEviiiiiiPKT_S3_S3_PS1_ii ; -- Begin function _Z16wvSplitK_hf_sml_I6__halfLi32ELi4ELi16ELi8ELi2ELi4EEviiiiiiPKT_S3_S3_PS1_ii
	.globl	_Z16wvSplitK_hf_sml_I6__halfLi32ELi4ELi16ELi8ELi2ELi4EEviiiiiiPKT_S3_S3_PS1_ii
	.p2align	8
	.type	_Z16wvSplitK_hf_sml_I6__halfLi32ELi4ELi16ELi8ELi2ELi4EEviiiiiiPKT_S3_S3_PS1_ii,@function
_Z16wvSplitK_hf_sml_I6__halfLi32ELi4ELi16ELi8ELi2ELi4EEviiiiiiPKT_S3_S3_PS1_ii: ; @_Z16wvSplitK_hf_sml_I6__halfLi32ELi4ELi16ELi8ELi2ELi4EEviiiiiiPKT_S3_S3_PS1_ii
; %bb.0:
	s_load_dwordx4 s[4:7], s[0:1], 0x0
	v_and_b32_e32 v4, 0x3ff, v0
	v_bfe_u32 v5, v0, 10, 10
	v_lshlrev_b32_e32 v76, 3, v4
	v_lshl_add_u32 v6, v5, 8, v76
	s_waitcnt lgkmcnt(0)
	s_lshl_b32 s24, s6, 2
	s_min_u32 s3, s24, 0x8000
	v_cmp_gt_u32_e32 vcc, s3, v6
	s_and_saveexec_b64 s[8:9], vcc
	s_cbranch_execz .LBB110_9
; %bb.1:
	s_load_dwordx2 s[10:11], s[0:1], 0x20
	v_lshlrev_b32_e32 v0, 1, v6
	v_add_u32_e32 v1, 0x1000, v6
	v_cmp_gt_u32_e32 vcc, s3, v1
	s_waitcnt lgkmcnt(0)
	global_load_dwordx4 v[8:11], v0, s[10:11]
	s_waitcnt vmcnt(0)
	ds_write_b128 v0, v[8:11]
	s_and_saveexec_b64 s[12:13], vcc
	s_xor_b64 s[12:13], exec, s[12:13]
	s_cbranch_execz .LBB110_9
; %bb.2:
	v_mov_b32_e32 v1, 0
	v_lshl_add_u64 v[2:3], s[10:11], 0, v[0:1]
	v_add_co_u32_e32 v8, vcc, 0x2000, v2
	v_add_u32_e32 v1, 0x2000, v6
	s_nop 0
	v_addc_co_u32_e32 v9, vcc, 0, v3, vcc
	global_load_dwordx4 v[8:11], v[8:9], off
	v_cmp_gt_u32_e32 vcc, s3, v1
	s_waitcnt vmcnt(0)
	ds_write_b128 v0, v[8:11] offset:8192
	s_and_saveexec_b64 s[10:11], vcc
	s_xor_b64 s[10:11], exec, s[10:11]
	s_cbranch_execz .LBB110_9
; %bb.3:
	v_add_co_u32_e32 v8, vcc, 0x4000, v2
	v_add_u32_e32 v1, 0x3000, v6
	s_nop 0
	v_addc_co_u32_e32 v9, vcc, 0, v3, vcc
	global_load_dwordx4 v[8:11], v[8:9], off
	v_cmp_gt_u32_e32 vcc, s3, v1
	s_waitcnt vmcnt(0)
	ds_write_b128 v0, v[8:11] offset:16384
	s_and_saveexec_b64 s[10:11], vcc
	s_xor_b64 s[10:11], exec, s[10:11]
	s_cbranch_execz .LBB110_9
; %bb.4:
	;; [unrolled: 12-line block ×6, first 2 shown]
	v_add_co_u32_e32 v2, vcc, 0xe000, v2
	s_nop 1
	v_addc_co_u32_e32 v3, vcc, 0, v3, vcc
	global_load_dwordx4 v[6:9], v[2:3], off
	s_waitcnt vmcnt(0)
	ds_write_b128 v0, v[6:9] offset:57344
.LBB110_9:
	s_or_b64 exec, exec, s[8:9]
	s_load_dwordx2 s[16:17], s[0:1], 0x38
	s_waitcnt lgkmcnt(0)
	s_barrier
	v_cmp_gt_u32_e32 vcc, s16, v5
	s_and_saveexec_b64 s[8:9], vcc
	s_cbranch_execz .LBB110_26
; %bb.10:
	s_load_dwordx2 s[12:13], s[0:1], 0x10
	s_mul_i32 s2, s2, s16
	v_add_lshl_u32 v56, s2, v5, 2
	v_cmp_gt_u32_e32 vcc, s7, v56
	s_and_b64 exec, exec, vcc
	s_cbranch_execz .LBB110_26
; %bb.11:
	s_load_dwordx4 s[8:11], s[0:1], 0x28
	s_load_dwordx2 s[14:15], s[0:1], 0x18
	s_cmp_lg_u32 s4, 0
	s_cselect_b64 s[2:3], -1, 0
	s_add_i32 s25, s4, -8
	s_add_i32 s26, s7, -1
	s_waitcnt lgkmcnt(0)
	s_cmp_lg_u64 s[8:9], 0
	s_cselect_b64 s[18:19], -1, 0
	s_abs_i32 s21, s13
	v_cvt_f32_u32_e32 v0, s12
	v_cvt_f32_u32_e32 v1, s21
	s_mul_i32 s20, s16, s17
	s_lshl_b32 s13, s20, 2
	v_rcp_iflag_f32_e32 v0, v0
	v_rcp_iflag_f32_e32 v1, v1
	s_sub_i32 s20, 0, s12
	v_cmp_eq_u32_e64 s[0:1], 31, v4
	v_mul_f32_e32 v0, 0x4f7ffffe, v0
	v_mul_f32_e32 v1, 0x4f7ffffe, v1
	v_cvt_u32_f32_e32 v0, v0
	v_cvt_u32_f32_e32 v1, v1
	s_mov_b64 s[16:17], 0
	v_mov_b32_e32 v59, 0
	v_mul_lo_u32 v2, s20, v0
	s_sub_i32 s20, 0, s21
	v_readfirstlane_b32 s22, v1
	s_mul_i32 s20, s20, s22
	s_mul_hi_u32 s20, s22, s20
	s_add_i32 s22, s22, s20
	s_sub_i32 s20, 1, s21
	s_cmp_lt_u32 s21, 2
	s_cselect_b32 s20, s20, 1
	s_sub_i32 s23, s20, s21
	s_cmp_ge_u32 s20, s21
	s_cselect_b32 s27, s23, s20
	s_lshr_b32 s20, s22, 31
	s_mul_i32 s20, s20, s21
	s_sub_i32 s20, 2, s20
	s_sub_i32 s23, s20, s21
	s_cmp_ge_u32 s20, s21
	s_cselect_b32 s20, s23, s20
	s_sub_i32 s23, s20, s21
	s_cmp_ge_u32 s20, s21
	s_cselect_b32 s28, s23, s20
	s_mul_hi_u32 s20, s22, 3
	s_mul_i32 s20, s20, s21
	s_sub_i32 s20, 3, s20
	s_sub_i32 s22, s20, s21
	s_cmp_ge_u32 s20, s21
	s_cselect_b32 s20, s22, s20
	s_sub_i32 s22, s20, s21
	v_mul_hi_u32 v2, v0, v2
	s_cmp_ge_u32 s20, s21
	v_add_u32_e32 v77, v0, v2
	s_cselect_b32 s29, s22, s20
	v_cndmask_b32_e64 v0, 0, 1, s[2:3]
	s_mul_i32 s27, s27, s12
	s_mul_i32 s28, s28, s12
	s_mul_i32 s29, s29, s12
	s_mul_i32 s30, s6, 6
	v_lshlrev_b32_e32 v78, 4, v4
	s_lshl_b32 s6, s6, 1
	v_cmp_ne_u32_e64 s[2:3], 1, v0
	s_branch .LBB110_14
.LBB110_12:                             ;   in Loop: Header=BB110_14 Depth=1
	v_cvt_f32_i32_e32 v2, v2
	v_cvt_f32_i32_e32 v4, v4
	;; [unrolled: 1-line block ×4, first 2 shown]
	v_add_f32_e32 v0, v0, v2
	v_cvt_f32_i32_e32 v2, v10
	v_add_f32_e32 v1, v1, v4
	v_add_f32_e32 v4, v5, v8
	v_cvt_f32_i32_e32 v8, v18
	v_add_f32_e32 v5, v7, v2
	v_cvt_f32_i32_e32 v2, v12
	v_cvt_f32_i32_e32 v7, v15
	v_add_f32_e32 v8, v16, v8
	s_waitcnt vmcnt(15)
	v_cvt_f32_f16_e32 v16, v47
	v_add_f32_e32 v9, v9, v2
	v_cvt_f32_i32_e32 v2, v20
	v_add_f32_e32 v7, v13, v7
	v_add_f32_e32 v0, v0, v16
	s_waitcnt vmcnt(13)
	v_cvt_f32_f16_e32 v16, v45
	v_add_f32_e32 v13, v17, v2
	v_cvt_f32_i32_e32 v2, v30
	v_cvt_f16_f32_e32 v18, v0
	s_waitcnt vmcnt(12)
	v_cvt_f32_f16_e32 v0, v44
	v_add_f32_e32 v3, v3, v6
	v_add_f32_e32 v17, v25, v2
	v_cvt_f32_f16_e32 v2, v46
	v_add_f32_e32 v0, v4, v0
	v_add_u32_e32 v58, s7, v56
	v_cvt_f32_i32_e32 v6, v14
	v_add_f32_e32 v1, v1, v2
	v_add_f32_e32 v2, v3, v16
	v_cvt_f16_f32_e32 v2, v2
	v_cvt_f16_f32_e32 v3, v0
	;; [unrolled: 1-line block ×3, first 2 shown]
	s_waitcnt vmcnt(11)
	v_cvt_f32_f16_e32 v16, v41
	v_lshl_add_u64 v[0:1], v[56:57], 1, s[10:11]
	v_pack_b32_f16 v3, v2, v3
	v_pack_b32_f16 v2, v18, v4
	global_store_dwordx2 v[0:1], v[2:3], off
	v_add_f32_e32 v0, v5, v16
	v_cvt_f16_f32_e32 v2, v0
	s_waitcnt vmcnt(11)
	v_cvt_f32_f16_e32 v3, v39
	v_lshl_add_u64 v[0:1], v[58:59], 1, s[10:11]
	v_add_f32_e32 v6, v11, v6
	global_store_short v[0:1], v2, off
	v_add_f32_e32 v0, v9, v3
	v_cvt_f16_f32_e32 v2, v0
	s_waitcnt vmcnt(11)
	v_cvt_f32_f16_e32 v3, v37
	v_add_u32_e32 v0, 1, v58
	v_mov_b32_e32 v1, v59
	v_lshl_add_u64 v[0:1], v[0:1], 1, s[10:11]
	global_store_short v[0:1], v2, off
	v_add_f32_e32 v0, v6, v3
	v_cvt_f16_f32_e32 v2, v0
	s_waitcnt vmcnt(11)
	v_cvt_f32_f16_e32 v3, v35
	v_add_u32_e32 v0, 2, v58
	v_mov_b32_e32 v1, v59
	v_lshl_add_u64 v[0:1], v[0:1], 1, s[10:11]
	global_store_short v[0:1], v2, off
	v_add_f32_e32 v0, v7, v3
	v_cvt_f16_f32_e32 v2, v0
	s_waitcnt vmcnt(11)
	v_cvt_f32_f16_e32 v3, v43
	s_waitcnt vmcnt(10)
	v_cvt_f32_f16_e32 v4, v42
	v_add_u32_e32 v0, 3, v58
	v_mov_b32_e32 v1, v59
	v_lshl_add_u64 v[0:1], v[0:1], 1, s[10:11]
	global_store_short v[0:1], v2, off
	v_add_f32_e32 v0, v8, v3
	v_cvt_f16_f32_e32 v2, v0
	v_add_f32_e32 v0, v13, v4
	v_cvt_f32_i32_e32 v10, v22
	v_cvt_f16_f32_e32 v3, v0
	s_waitcnt vmcnt(10)
	v_cvt_f32_f16_e32 v4, v40
	v_add_u32_e32 v58, s7, v58
	v_add_f32_e32 v10, v19, v10
	v_lshl_add_u64 v[0:1], v[58:59], 1, s[10:11]
	v_pack_b32_f16 v2, v2, v3
	v_cvt_f32_i32_e32 v11, v23
	global_store_dword v[0:1], v2, off
	v_add_f32_e32 v0, v10, v4
	v_cvt_f16_f32_e32 v2, v0
	s_waitcnt vmcnt(10)
	v_cvt_f32_f16_e32 v3, v38
	v_add_u32_e32 v0, 2, v58
	v_mov_b32_e32 v1, v59
	v_add_f32_e32 v11, v21, v11
	v_lshl_add_u64 v[0:1], v[0:1], 1, s[10:11]
	v_cvt_f32_i32_e32 v12, v31
	global_store_short v[0:1], v2, off
	v_add_f32_e32 v0, v11, v3
	v_cvt_f16_f32_e32 v2, v0
	s_waitcnt vmcnt(10)
	v_cvt_f32_f16_e32 v3, v36
	v_add_u32_e32 v0, 3, v58
	v_mov_b32_e32 v1, v59
	v_add_f32_e32 v12, v24, v12
	v_lshl_add_u64 v[0:1], v[0:1], 1, s[10:11]
	global_store_short v[0:1], v2, off
	v_add_f32_e32 v0, v12, v3
	v_cvt_f16_f32_e32 v2, v0
	s_waitcnt vmcnt(10)
	v_cvt_f32_f16_e32 v3, v34
	v_add_u32_e32 v58, s7, v58
	v_lshl_add_u64 v[0:1], v[58:59], 1, s[10:11]
	v_cvt_f32_i32_e32 v14, v29
	global_store_short v[0:1], v2, off
	v_add_f32_e32 v0, v17, v3
	v_cvt_f16_f32_e32 v2, v0
	s_waitcnt vmcnt(10)
	v_cvt_f32_f16_e32 v3, v33
	v_add_u32_e32 v0, 1, v58
	v_mov_b32_e32 v1, v59
	v_cvt_f32_i32_e32 v15, v28
	v_add_f32_e32 v14, v26, v14
	v_lshl_add_u64 v[0:1], v[0:1], 1, s[10:11]
	global_store_short v[0:1], v2, off
	v_add_f32_e32 v0, v14, v3
	s_waitcnt vmcnt(10)
	v_cvt_f32_f16_e32 v3, v32
	v_add_f32_e32 v15, v27, v15
	v_cvt_f16_f32_e32 v2, v0
	v_add_u32_e32 v0, 2, v58
	v_add_f32_e32 v3, v15, v3
	v_cvt_f16_f32_e32 v3, v3
	v_mov_b32_e32 v1, v59
	v_lshl_add_u64 v[0:1], v[0:1], 1, s[10:11]
	v_add_u32_e32 v58, 3, v58
	global_store_short v[0:1], v2, off
	v_lshl_add_u64 v[0:1], v[58:59], 1, s[10:11]
	global_store_short v[0:1], v3, off
.LBB110_13:                             ;   in Loop: Header=BB110_14 Depth=1
	s_or_b64 exec, exec, s[20:21]
	v_add_u32_e32 v56, s13, v56
	v_cmp_le_u32_e32 vcc, s7, v56
	s_or_b64 s[16:17], vcc, s[16:17]
	s_andn2_b64 exec, exec, s[16:17]
	s_cbranch_execz .LBB110_26
.LBB110_14:                             ; =>This Loop Header: Depth=1
                                        ;     Child Loop BB110_18 Depth 2
	s_mov_b32 s31, 0
	s_and_b64 vcc, exec, s[2:3]
	v_mov_b32_e32 v93, v59
	v_mov_b32_e32 v92, v59
	;; [unrolled: 1-line block ×16, first 2 shown]
	s_cbranch_vccnz .LBB110_21
; %bb.15:                               ;   in Loop: Header=BB110_14 Depth=1
	v_min_u32_e32 v0, s26, v56
	v_mul_lo_u32 v58, v0, s5
	v_or_b32_e32 v0, 1, v56
	v_or_b32_e32 v2, 2, v56
	;; [unrolled: 1-line block ×3, first 2 shown]
	v_min_u32_e32 v0, s26, v0
	v_min_u32_e32 v2, s26, v2
	;; [unrolled: 1-line block ×3, first 2 shown]
	v_mul_lo_u32 v0, v0, s5
	v_mov_b32_e32 v1, v59
	v_mul_lo_u32 v2, v2, s5
	v_mov_b32_e32 v3, v59
	;; [unrolled: 2-line block ×3, first 2 shown]
	v_mov_b32_e32 v85, 0
	v_lshlrev_b64 v[60:61], 1, v[58:59]
	v_lshlrev_b64 v[62:63], 1, v[0:1]
	;; [unrolled: 1-line block ×4, first 2 shown]
	v_mov_b32_e32 v94, v78
	v_mov_b32_e32 v84, 0
	;; [unrolled: 1-line block ×16, first 2 shown]
	s_branch .LBB110_18
.LBB110_16:                             ;   in Loop: Header=BB110_18 Depth=2
	s_or_b64 exec, exec, s[22:23]
.LBB110_17:                             ;   in Loop: Header=BB110_18 Depth=2
	s_or_b64 exec, exec, s[20:21]
	s_waitcnt vmcnt(7) lgkmcnt(4)
	;;#ASMSTART
	v_dot2c_f32_f16 v93, v52, v40
	;;#ASMEND
	s_waitcnt vmcnt(6)
	;;#ASMSTART
	v_dot2c_f32_f16 v92, v52, v32
	;;#ASMEND
	s_waitcnt vmcnt(5)
	;; [unrolled: 4-line block ×3, first 2 shown]
	;;#ASMSTART
	v_dot2c_f32_f16 v90, v52, v24
	;;#ASMEND
	s_waitcnt lgkmcnt(3)
	;;#ASMSTART
	v_dot2c_f32_f16 v89, v48, v40
	;;#ASMEND
	;;#ASMSTART
	v_dot2c_f32_f16 v88, v48, v32
	;;#ASMEND
	;;#ASMSTART
	v_dot2c_f32_f16 v87, v48, v28
	;;#ASMEND
	;;#ASMSTART
	v_dot2c_f32_f16 v86, v48, v24
	;;#ASMEND
	s_waitcnt lgkmcnt(2)
	;;#ASMSTART
	v_dot2c_f32_f16 v85, v72, v40
	;;#ASMEND
	;;#ASMSTART
	v_dot2c_f32_f16 v84, v72, v32
	;;#ASMEND
	;;#ASMSTART
	v_dot2c_f32_f16 v83, v72, v28
	;;#ASMEND
	;; [unrolled: 13-line block ×3, first 2 shown]
	;;#ASMSTART
	v_dot2c_f32_f16 v57, v44, v24
	;;#ASMEND
	;;#ASMSTART
	v_dot2c_f32_f16 v93, v53, v41
	;;#ASMEND
	;;#ASMSTART
	v_dot2c_f32_f16 v92, v53, v33
	;;#ASMEND
	;;#ASMSTART
	v_dot2c_f32_f16 v91, v53, v29
	;;#ASMEND
	;;#ASMSTART
	v_dot2c_f32_f16 v90, v53, v25
	;;#ASMEND
	;;#ASMSTART
	v_dot2c_f32_f16 v89, v49, v41
	;;#ASMEND
	;;#ASMSTART
	v_dot2c_f32_f16 v88, v49, v33
	;;#ASMEND
	;;#ASMSTART
	v_dot2c_f32_f16 v87, v49, v29
	;;#ASMEND
	;;#ASMSTART
	v_dot2c_f32_f16 v86, v49, v25
	;;#ASMEND
	;;#ASMSTART
	v_dot2c_f32_f16 v85, v73, v41
	;;#ASMEND
	;;#ASMSTART
	v_dot2c_f32_f16 v84, v73, v33
	;;#ASMEND
	;;#ASMSTART
	v_dot2c_f32_f16 v83, v73, v29
	;;#ASMEND
	;;#ASMSTART
	v_dot2c_f32_f16 v82, v73, v25
	;;#ASMEND
	s_nop 0
	;;#ASMSTART
	v_dot2c_f32_f16 v81, v45, v41
	;;#ASMEND
	;;#ASMSTART
	v_dot2c_f32_f16 v80, v45, v33
	;;#ASMEND
	;;#ASMSTART
	v_dot2c_f32_f16 v79, v45, v29
	;;#ASMEND
	;;#ASMSTART
	v_dot2c_f32_f16 v57, v45, v25
	;;#ASMEND
	;;#ASMSTART
	v_dot2c_f32_f16 v93, v54, v42
	;;#ASMEND
	;;#ASMSTART
	v_dot2c_f32_f16 v92, v54, v34
	;;#ASMEND
	;;#ASMSTART
	v_dot2c_f32_f16 v91, v54, v30
	;;#ASMEND
	;;#ASMSTART
	v_dot2c_f32_f16 v90, v54, v26
	;;#ASMEND
	;;#ASMSTART
	v_dot2c_f32_f16 v89, v50, v42
	;;#ASMEND
	;;#ASMSTART
	v_dot2c_f32_f16 v88, v50, v34
	;;#ASMEND
	;;#ASMSTART
	v_dot2c_f32_f16 v87, v50, v30
	;;#ASMEND
	;;#ASMSTART
	v_dot2c_f32_f16 v86, v50, v26
	;;#ASMEND
	;;#ASMSTART
	v_dot2c_f32_f16 v85, v74, v42
	;;#ASMEND
	;;#ASMSTART
	v_dot2c_f32_f16 v84, v74, v34
	;;#ASMEND
	;;#ASMSTART
	v_dot2c_f32_f16 v83, v74, v30
	;;#ASMEND
	;;#ASMSTART
	v_dot2c_f32_f16 v82, v74, v26
	;;#ASMEND
	s_nop 0
	;;#ASMSTART
	v_dot2c_f32_f16 v81, v46, v42
	;;#ASMEND
	;;#ASMSTART
	v_dot2c_f32_f16 v80, v46, v34
	;;#ASMEND
	;;#ASMSTART
	v_dot2c_f32_f16 v79, v46, v30
	;;#ASMEND
	;; [unrolled: 49-line block ×3, first 2 shown]
	;;#ASMSTART
	v_dot2c_f32_f16 v57, v47, v27
	;;#ASMEND
	s_waitcnt vmcnt(3)
	;;#ASMSTART
	v_dot2c_f32_f16 v93, v36, v12
	;;#ASMEND
	s_waitcnt vmcnt(2)
	;; [unrolled: 4-line block ×4, first 2 shown]
	;;#ASMSTART
	v_dot2c_f32_f16 v90, v36, v0
	;;#ASMEND
	;;#ASMSTART
	v_dot2c_f32_f16 v89, v20, v12
	;;#ASMEND
	;; [unrolled: 3-line block ×16, first 2 shown]
	s_nop 0
	;;#ASMSTART
	v_dot2c_f32_f16 v90, v37, v1
	;;#ASMEND
	;;#ASMSTART
	v_dot2c_f32_f16 v89, v21, v13
	;;#ASMEND
	;; [unrolled: 3-line block ×13, first 2 shown]
	s_addk_i32 s31, 0x200
	;;#ASMSTART
	v_dot2c_f32_f16 v93, v38, v14
	;;#ASMEND
	;;#ASMSTART
	v_dot2c_f32_f16 v92, v38, v10
	;;#ASMEND
	;; [unrolled: 3-line block ×16, first 2 shown]
	s_cmp_ge_u32 s31, s4
	v_add_u32_e32 v94, 0x400, v94
	;;#ASMSTART
	v_dot2c_f32_f16 v93, v39, v15
	;;#ASMEND
	;;#ASMSTART
	v_dot2c_f32_f16 v92, v39, v11
	;;#ASMEND
	;; [unrolled: 3-line block ×16, first 2 shown]
	s_cbranch_scc1 .LBB110_21
.LBB110_18:                             ;   Parent Loop BB110_14 Depth=1
                                        ; =>  This Inner Loop Header: Depth=2
	v_add_u32_e32 v20, s31, v76
	v_min_u32_e32 v58, s25, v20
	v_lshl_add_u64 v[0:1], v[58:59], 1, s[14:15]
	v_lshl_add_u64 v[2:3], v[0:1], 0, v[60:61]
	v_add_u32_e32 v95, 0x100, v20
	v_lshl_add_u64 v[4:5], v[0:1], 0, v[62:63]
	global_load_dwordx4 v[40:43], v[2:3], off nt
	global_load_dwordx4 v[32:35], v[4:5], off nt
	v_lshl_add_u64 v[2:3], v[0:1], 0, v[64:65]
	v_lshl_add_u64 v[0:1], v[0:1], 0, v[66:67]
	v_min_u32_e32 v58, s25, v95
	global_load_dwordx4 v[28:31], v[2:3], off nt
	global_load_dwordx4 v[24:27], v[0:1], off nt
	v_lshl_add_u64 v[0:1], v[58:59], 1, s[14:15]
	v_lshl_add_u64 v[2:3], v[0:1], 0, v[60:61]
	;; [unrolled: 1-line block ×4, first 2 shown]
	global_load_dwordx4 v[12:15], v[2:3], off nt
	global_load_dwordx4 v[8:11], v[4:5], off nt
	v_lshl_add_u64 v[18:19], v[0:1], 0, v[66:67]
	global_load_dwordx4 v[4:7], v[16:17], off nt
	global_load_dwordx4 v[0:3], v[18:19], off nt
	v_cmp_gt_u32_e32 vcc, s4, v20
	v_mov_b32_e32 v52, 0
	v_mov_b32_e32 v53, 0
	;; [unrolled: 1-line block ×32, first 2 shown]
	s_and_saveexec_b64 s[20:21], vcc
	s_cbranch_execz .LBB110_17
; %bb.19:                               ;   in Loop: Header=BB110_18 Depth=2
	v_add_u32_e32 v97, s6, v94
	v_add_u32_e32 v58, s24, v94
	ds_read_b128 v[52:55], v94
	ds_read_b128 v[48:51], v97
	ds_read2_b32 v[72:73], v58 offset1:1
	v_add_u32_e32 v96, s30, v94
	ds_read2_b32 v[74:75], v58 offset0:2 offset1:3
	ds_read_b128 v[44:47], v96
	v_cmp_gt_u32_e32 vcc, s4, v95
	v_mov_b32_e32 v19, 0
	v_mov_b32_e32 v18, 0
	;; [unrolled: 1-line block ×16, first 2 shown]
	s_and_saveexec_b64 s[22:23], vcc
	s_cbranch_execz .LBB110_16
; %bb.20:                               ;   in Loop: Header=BB110_18 Depth=2
	ds_read_b128 v[36:39], v94 offset:512
	ds_read_b128 v[20:23], v97 offset:512
	ds_read2_b32 v[70:71], v58 offset0:128 offset1:129
	ds_read2_b32 v[68:69], v58 offset0:130 offset1:131
	ds_read_b128 v[16:19], v96 offset:512
	s_branch .LBB110_16
.LBB110_21:                             ;   in Loop: Header=BB110_14 Depth=1
	; sched_barrier mask(0x00000000)
	v_cvt_i32_f32_e32 v0, v93
	v_cvt_i32_f32_e32 v1, v92
	;; [unrolled: 1-line block ×4, first 2 shown]
	v_cvt_f32_i32_dpp v0, v0 row_shr:8 row_mask:0xf bank_mask:0xf bound_ctrl:1
	v_cvt_f32_i32_dpp v1, v1 row_shr:8 row_mask:0xf bank_mask:0xf bound_ctrl:1
	;; [unrolled: 1-line block ×4, first 2 shown]
	v_add_f32_e32 v0, v93, v0
	v_cvt_i32_f32_e32 v4, v0
	v_add_f32_e32 v1, v92, v1
	v_cvt_i32_f32_e32 v5, v1
	v_add_f32_e32 v2, v91, v2
	v_cvt_f32_i32_dpp v4, v4 row_shr:4 row_mask:0xf bank_mask:0xf bound_ctrl:1
	v_cvt_i32_f32_e32 v6, v2
	v_cvt_f32_i32_dpp v5, v5 row_shr:4 row_mask:0xf bank_mask:0xf bound_ctrl:1
	v_add_f32_e32 v3, v90, v3
	v_add_f32_e32 v0, v0, v4
	v_cvt_i32_f32_e32 v4, v0
	v_add_f32_e32 v1, v1, v5
	v_cvt_i32_f32_e32 v5, v1
	v_cvt_f32_i32_dpp v6, v6 row_shr:4 row_mask:0xf bank_mask:0xf bound_ctrl:1
	v_cvt_f32_i32_dpp v4, v4 row_shr:2 row_mask:0xf bank_mask:0xf bound_ctrl:1
	v_cvt_i32_f32_e32 v7, v3
	v_cvt_f32_i32_dpp v5, v5 row_shr:2 row_mask:0xf bank_mask:0xf bound_ctrl:1
	v_add_f32_e32 v2, v2, v6
	v_add_f32_e32 v0, v0, v4
	v_cvt_i32_f32_e32 v4, v0
	v_add_f32_e32 v1, v1, v5
	v_cvt_i32_f32_e32 v5, v1
	v_cvt_i32_f32_e32 v6, v2
	v_cvt_f32_i32_dpp v4, v4 row_shr:1 row_mask:0xf bank_mask:0xf bound_ctrl:1
	v_cvt_f32_i32_dpp v7, v7 row_shr:4 row_mask:0xf bank_mask:0xf bound_ctrl:1
	;; [unrolled: 1-line block ×4, first 2 shown]
	v_add_f32_e32 v0, v0, v4
	v_cvt_i32_f32_e32 v4, v0
	v_add_f32_e32 v1, v1, v5
	v_cvt_i32_f32_e32 v5, v1
	v_add_f32_e32 v6, v2, v6
	v_cvt_f32_i32_dpp v4, v4 row_bcast:15 row_mask:0xf bank_mask:0xf bound_ctrl:1
	v_cvt_i32_f32_e32 v2, v6
	v_cvt_f32_i32_dpp v5, v5 row_bcast:15 row_mask:0xf bank_mask:0xf bound_ctrl:1
	v_add_f32_e32 v3, v3, v7
	v_add_f32_e32 v0, v0, v4
	v_cvt_i32_f32_e32 v4, v0
	v_cvt_f32_i32_dpp v7, v2 row_shr:1 row_mask:0xf bank_mask:0xf bound_ctrl:1
	v_add_f32_e32 v1, v1, v5
	v_cvt_i32_f32_e32 v5, v1
	v_mov_b32_dpp v2, v4 row_bcast:31 row_mask:0xf bank_mask:0xf bound_ctrl:1
	v_cvt_i32_f32_e32 v4, v3
	v_add_f32_e32 v6, v6, v7
	v_cvt_i32_f32_e32 v7, v89
	v_cvt_i32_f32_e32 v8, v6
	v_cvt_f32_i32_dpp v9, v4 row_shr:2 row_mask:0xf bank_mask:0xf bound_ctrl:1
	v_mov_b32_dpp v4, v5 row_bcast:31 row_mask:0xf bank_mask:0xf bound_ctrl:1
	v_cvt_f32_i32_dpp v5, v7 row_shr:8 row_mask:0xf bank_mask:0xf bound_ctrl:1
	v_cvt_f32_i32_dpp v7, v8 row_bcast:15 row_mask:0xf bank_mask:0xf bound_ctrl:1
	v_add_f32_e32 v8, v3, v9
	v_cvt_i32_f32_e32 v9, v8
	v_add_f32_e32 v5, v89, v5
	v_cvt_i32_f32_e32 v10, v5
	v_add_f32_e32 v3, v6, v7
	v_cvt_f32_i32_dpp v6, v9 row_shr:1 row_mask:0xf bank_mask:0xf bound_ctrl:1
	v_cvt_i32_f32_e32 v7, v88
	v_cvt_f32_i32_dpp v9, v10 row_shr:4 row_mask:0xf bank_mask:0xf bound_ctrl:1
	v_cvt_i32_f32_e32 v10, v3
	v_add_f32_e32 v8, v8, v6
	v_cvt_f32_i32_dpp v6, v7 row_shr:8 row_mask:0xf bank_mask:0xf bound_ctrl:1
	v_add_f32_e32 v5, v5, v9
	v_cvt_i32_f32_e32 v7, v5
	v_cvt_i32_f32_e32 v9, v8
	v_add_f32_e32 v11, v88, v6
	v_cvt_i32_f32_e32 v12, v11
	v_cvt_f32_i32_dpp v7, v7 row_shr:2 row_mask:0xf bank_mask:0xf bound_ctrl:1
	v_mov_b32_dpp v6, v10 row_bcast:31 row_mask:0xf bank_mask:0xf bound_ctrl:1
	v_cvt_f32_i32_dpp v9, v9 row_bcast:15 row_mask:0xf bank_mask:0xf bound_ctrl:1
	v_cvt_f32_i32_dpp v10, v12 row_shr:4 row_mask:0xf bank_mask:0xf bound_ctrl:1
	v_add_f32_e32 v7, v5, v7
	v_cvt_i32_f32_e32 v12, v7
	v_add_f32_e32 v5, v8, v9
	v_add_f32_e32 v8, v11, v10
	v_cvt_i32_f32_e32 v9, v8
	v_cvt_f32_i32_dpp v10, v12 row_shr:1 row_mask:0xf bank_mask:0xf bound_ctrl:1
	v_cvt_i32_f32_e32 v11, v87
	v_cvt_i32_f32_e32 v12, v5
	v_cvt_f32_i32_dpp v9, v9 row_shr:2 row_mask:0xf bank_mask:0xf bound_ctrl:1
	v_add_f32_e32 v7, v7, v10
	v_cvt_f32_i32_dpp v10, v11 row_shr:8 row_mask:0xf bank_mask:0xf bound_ctrl:1
	v_cvt_i32_f32_e32 v11, v7
	v_add_f32_e32 v9, v8, v9
	v_cvt_i32_f32_e32 v8, v9
	v_add_f32_e32 v10, v87, v10
	v_cvt_i32_f32_e32 v13, v10
	v_cvt_f32_i32_dpp v11, v11 row_bcast:15 row_mask:0xf bank_mask:0xf bound_ctrl:1
	v_cvt_f32_i32_dpp v14, v8 row_shr:1 row_mask:0xf bank_mask:0xf bound_ctrl:1
	v_mov_b32_dpp v8, v12 row_bcast:31 row_mask:0xf bank_mask:0xf bound_ctrl:1
	v_cvt_f32_i32_dpp v12, v13 row_shr:4 row_mask:0xf bank_mask:0xf bound_ctrl:1
	v_add_f32_e32 v7, v7, v11
	v_cvt_i32_f32_e32 v11, v86
	v_add_f32_e32 v9, v9, v14
	v_add_f32_e32 v10, v10, v12
	v_cvt_i32_f32_e32 v12, v10
	v_cvt_f32_i32_dpp v11, v11 row_shr:8 row_mask:0xf bank_mask:0xf bound_ctrl:1
	v_cvt_i32_f32_e32 v14, v7
	v_cvt_i32_f32_e32 v13, v9
	v_cvt_f32_i32_dpp v12, v12 row_shr:2 row_mask:0xf bank_mask:0xf bound_ctrl:1
	v_add_f32_e32 v11, v86, v11
	v_cvt_i32_f32_e32 v15, v11
	v_cvt_f32_i32_dpp v13, v13 row_bcast:15 row_mask:0xf bank_mask:0xf bound_ctrl:1
	v_add_f32_e32 v12, v10, v12
	v_mov_b32_dpp v10, v14 row_bcast:31 row_mask:0xf bank_mask:0xf bound_ctrl:1
	v_cvt_f32_i32_dpp v14, v15 row_shr:4 row_mask:0xf bank_mask:0xf bound_ctrl:1
	v_cvt_i32_f32_e32 v16, v12
	v_cvt_i32_f32_e32 v15, v85
	v_add_f32_e32 v9, v9, v13
	v_add_f32_e32 v11, v11, v14
	v_cvt_f32_i32_dpp v13, v16 row_shr:1 row_mask:0xf bank_mask:0xf bound_ctrl:1
	v_cvt_i32_f32_e32 v14, v11
	v_cvt_f32_i32_dpp v15, v15 row_shr:8 row_mask:0xf bank_mask:0xf bound_ctrl:1
	v_cvt_i32_f32_e32 v16, v9
	v_add_f32_e32 v13, v12, v13
	v_cvt_f32_i32_dpp v12, v14 row_shr:2 row_mask:0xf bank_mask:0xf bound_ctrl:1
	v_add_f32_e32 v15, v85, v15
	v_cvt_i32_f32_e32 v14, v13
	v_cvt_i32_f32_e32 v17, v15
	v_add_f32_e32 v18, v11, v12
	v_cvt_i32_f32_e32 v11, v18
	v_cvt_f32_i32_dpp v14, v14 row_bcast:15 row_mask:0xf bank_mask:0xf bound_ctrl:1
	v_cvt_f32_i32_dpp v17, v17 row_shr:4 row_mask:0xf bank_mask:0xf bound_ctrl:1
	v_mov_b32_dpp v12, v16 row_bcast:31 row_mask:0xf bank_mask:0xf bound_ctrl:1
	v_cvt_f32_i32_dpp v16, v11 row_shr:1 row_mask:0xf bank_mask:0xf bound_ctrl:1
	v_add_f32_e32 v11, v13, v14
	v_add_f32_e32 v13, v15, v17
	v_cvt_i32_f32_e32 v14, v13
	v_add_f32_e32 v15, v18, v16
	v_cvt_i32_f32_e32 v16, v84
	v_cvt_i32_f32_e32 v17, v15
	v_cvt_f32_i32_dpp v14, v14 row_shr:2 row_mask:0xf bank_mask:0xf bound_ctrl:1
	v_cvt_i32_f32_e32 v18, v11
	v_cvt_f32_i32_dpp v16, v16 row_shr:8 row_mask:0xf bank_mask:0xf bound_ctrl:1
	v_cvt_f32_i32_dpp v17, v17 row_bcast:15 row_mask:0xf bank_mask:0xf bound_ctrl:1
	v_add_f32_e32 v19, v13, v14
	v_cvt_i32_f32_e32 v13, v19
	v_add_f32_e32 v16, v84, v16
	v_cvt_i32_f32_e32 v20, v16
	v_mov_b32_dpp v14, v18 row_bcast:31 row_mask:0xf bank_mask:0xf bound_ctrl:1
	v_cvt_f32_i32_dpp v18, v13 row_shr:1 row_mask:0xf bank_mask:0xf bound_ctrl:1
	v_add_f32_e32 v13, v15, v17
	v_cvt_f32_i32_dpp v15, v20 row_shr:4 row_mask:0xf bank_mask:0xf bound_ctrl:1
	v_cvt_i32_f32_e32 v17, v13
	v_add_f32_e32 v18, v19, v18
	v_cvt_i32_f32_e32 v19, v83
	v_add_f32_e32 v16, v16, v15
	v_cvt_i32_f32_e32 v20, v16
	v_cvt_i32_f32_e32 v21, v18
	v_cvt_f32_i32_dpp v19, v19 row_shr:8 row_mask:0xf bank_mask:0xf bound_ctrl:1
	v_mov_b32_dpp v15, v17 row_bcast:31 row_mask:0xf bank_mask:0xf bound_ctrl:1
	v_cvt_f32_i32_dpp v17, v20 row_shr:2 row_mask:0xf bank_mask:0xf bound_ctrl:1
	v_cvt_f32_i32_dpp v20, v21 row_bcast:15 row_mask:0xf bank_mask:0xf bound_ctrl:1
	v_add_f32_e32 v19, v83, v19
	v_cvt_i32_f32_e32 v21, v19
	v_cvt_i32_f32_e32 v22, v82
	v_add_f32_e32 v17, v16, v17
	v_add_f32_e32 v16, v18, v20
	v_cvt_f32_i32_dpp v21, v21 row_shr:4 row_mask:0xf bank_mask:0xf bound_ctrl:1
	v_cvt_f32_i32_dpp v18, v22 row_shr:8 row_mask:0xf bank_mask:0xf bound_ctrl:1
	v_cvt_i32_f32_e32 v23, v17
	v_add_f32_e32 v19, v19, v21
	v_cvt_i32_f32_e32 v21, v19
	v_add_f32_e32 v18, v82, v18
	v_cvt_f32_i32_dpp v20, v23 row_shr:1 row_mask:0xf bank_mask:0xf bound_ctrl:1
	v_cvt_i32_f32_e32 v22, v18
	v_cvt_f32_i32_dpp v21, v21 row_shr:2 row_mask:0xf bank_mask:0xf bound_ctrl:1
	v_cvt_i32_f32_e32 v23, v16
	v_add_f32_e32 v17, v17, v20
	v_cvt_f32_i32_dpp v20, v22 row_shr:4 row_mask:0xf bank_mask:0xf bound_ctrl:1
	v_add_f32_e32 v19, v19, v21
	v_cvt_i32_f32_e32 v21, v19
	v_cvt_i32_f32_e32 v22, v17
	v_add_f32_e32 v20, v18, v20
	v_cvt_i32_f32_e32 v24, v20
	v_cvt_f32_i32_dpp v21, v21 row_shr:1 row_mask:0xf bank_mask:0xf bound_ctrl:1
	v_mov_b32_dpp v18, v23 row_bcast:31 row_mask:0xf bank_mask:0xf bound_ctrl:1
	v_cvt_f32_i32_dpp v22, v22 row_bcast:15 row_mask:0xf bank_mask:0xf bound_ctrl:1
	v_cvt_f32_i32_dpp v23, v24 row_shr:2 row_mask:0xf bank_mask:0xf bound_ctrl:1
	v_add_f32_e32 v19, v19, v21
	v_cvt_i32_f32_e32 v21, v81
	v_add_f32_e32 v17, v17, v22
	v_add_f32_e32 v20, v20, v23
	v_cvt_i32_f32_e32 v22, v20
	v_cvt_f32_i32_dpp v21, v21 row_shr:8 row_mask:0xf bank_mask:0xf bound_ctrl:1
	v_cvt_i32_f32_e32 v24, v17
	v_cvt_i32_f32_e32 v23, v19
	v_cvt_f32_i32_dpp v22, v22 row_shr:1 row_mask:0xf bank_mask:0xf bound_ctrl:1
	v_add_f32_e32 v21, v81, v21
	v_cvt_i32_f32_e32 v25, v21
	v_cvt_f32_i32_dpp v23, v23 row_bcast:15 row_mask:0xf bank_mask:0xf bound_ctrl:1
	v_add_f32_e32 v22, v20, v22
	v_mov_b32_dpp v20, v24 row_bcast:31 row_mask:0xf bank_mask:0xf bound_ctrl:1
	v_cvt_f32_i32_dpp v24, v25 row_shr:4 row_mask:0xf bank_mask:0xf bound_ctrl:1
	v_cvt_i32_f32_e32 v26, v22
	v_cvt_i32_f32_e32 v25, v80
	v_add_f32_e32 v19, v19, v23
	v_add_f32_e32 v24, v21, v24
	v_cvt_f32_i32_dpp v23, v26 row_bcast:15 row_mask:0xf bank_mask:0xf bound_ctrl:1
	v_cvt_i32_f32_e32 v26, v24
	v_cvt_f32_i32_dpp v25, v25 row_shr:8 row_mask:0xf bank_mask:0xf bound_ctrl:1
	v_cvt_i32_f32_e32 v27, v19
	v_add_f32_e32 v21, v22, v23
	v_cvt_f32_i32_dpp v22, v26 row_shr:2 row_mask:0xf bank_mask:0xf bound_ctrl:1
	v_add_f32_e32 v25, v80, v25
	v_cvt_i32_f32_e32 v26, v25
	v_cvt_i32_f32_e32 v23, v21
	v_add_f32_e32 v24, v24, v22
	v_cvt_i32_f32_e32 v28, v24
	v_cvt_f32_i32_dpp v26, v26 row_shr:4 row_mask:0xf bank_mask:0xf bound_ctrl:1
	v_mov_b32_dpp v22, v27 row_bcast:31 row_mask:0xf bank_mask:0xf bound_ctrl:1
	v_mov_b32_dpp v23, v23 row_bcast:31 row_mask:0xf bank_mask:0xf bound_ctrl:1
	v_cvt_f32_i32_dpp v27, v28 row_shr:1 row_mask:0xf bank_mask:0xf bound_ctrl:1
	v_cvt_i32_f32_e32 v28, v79
	v_add_f32_e32 v25, v25, v26
	v_cvt_i32_f32_e32 v26, v57
	v_cvt_i32_f32_e32 v29, v25
	v_cvt_f32_i32_dpp v28, v28 row_shr:8 row_mask:0xf bank_mask:0xf bound_ctrl:1
	v_add_f32_e32 v24, v24, v27
	v_cvt_f32_i32_dpp v26, v26 row_shr:8 row_mask:0xf bank_mask:0xf bound_ctrl:1
	v_cvt_f32_i32_dpp v27, v29 row_shr:2 row_mask:0xf bank_mask:0xf bound_ctrl:1
	v_add_f32_e32 v28, v79, v28
	v_cvt_i32_f32_e32 v29, v28
	v_add_f32_e32 v26, v57, v26
	v_cvt_i32_f32_e32 v30, v26
	v_add_f32_e32 v25, v25, v27
	v_cvt_f32_i32_dpp v29, v29 row_shr:4 row_mask:0xf bank_mask:0xf bound_ctrl:1
	v_cvt_i32_f32_e32 v31, v24
	v_cvt_f32_i32_dpp v27, v30 row_shr:4 row_mask:0xf bank_mask:0xf bound_ctrl:1
	v_cvt_i32_f32_e32 v30, v25
	v_add_f32_e32 v28, v28, v29
	v_cvt_i32_f32_e32 v29, v28
	v_add_f32_e32 v26, v26, v27
	v_cvt_i32_f32_e32 v27, v26
	v_cvt_f32_i32_dpp v30, v30 row_shr:1 row_mask:0xf bank_mask:0xf bound_ctrl:1
	v_cvt_f32_i32_dpp v29, v29 row_shr:2 row_mask:0xf bank_mask:0xf bound_ctrl:1
	v_cvt_f32_i32_dpp v31, v31 row_bcast:15 row_mask:0xf bank_mask:0xf bound_ctrl:1
	v_cvt_f32_i32_dpp v27, v27 row_shr:2 row_mask:0xf bank_mask:0xf bound_ctrl:1
	v_add_f32_e32 v25, v25, v30
	v_add_f32_e32 v28, v28, v29
	v_cvt_i32_f32_e32 v29, v28
	v_add_f32_e32 v26, v26, v27
	v_cvt_i32_f32_e32 v27, v26
	v_cvt_i32_f32_e32 v30, v25
	v_cvt_f32_i32_dpp v29, v29 row_shr:1 row_mask:0xf bank_mask:0xf bound_ctrl:1
	v_add_f32_e32 v24, v24, v31
	v_cvt_f32_i32_dpp v27, v27 row_shr:1 row_mask:0xf bank_mask:0xf bound_ctrl:1
	v_cvt_f32_i32_dpp v30, v30 row_bcast:15 row_mask:0xf bank_mask:0xf bound_ctrl:1
	v_add_f32_e32 v28, v28, v29
	v_cvt_i32_f32_e32 v29, v28
	v_add_f32_e32 v27, v26, v27
	v_cvt_i32_f32_e32 v26, v27
	v_add_f32_e32 v25, v25, v30
	v_cvt_f32_i32_dpp v29, v29 row_bcast:15 row_mask:0xf bank_mask:0xf bound_ctrl:1
	v_cvt_i32_f32_e32 v31, v24
	v_cvt_f32_i32_dpp v30, v26 row_bcast:15 row_mask:0xf bank_mask:0xf bound_ctrl:1
	v_cvt_i32_f32_e32 v32, v25
	v_add_f32_e32 v26, v28, v29
	v_cvt_i32_f32_e32 v28, v26
	v_add_f32_e32 v27, v27, v30
	v_cvt_i32_f32_e32 v33, v27
	v_mov_b32_dpp v31, v31 row_bcast:31 row_mask:0xf bank_mask:0xf bound_ctrl:1
	v_mov_b32_dpp v30, v32 row_bcast:31 row_mask:0xf bank_mask:0xf bound_ctrl:1
	;; [unrolled: 1-line block ×4, first 2 shown]
	s_and_saveexec_b64 s[20:21], s[0:1]
	s_cbranch_execz .LBB110_13
; %bb.22:                               ;   in Loop: Header=BB110_14 Depth=1
	s_and_b64 vcc, exec, s[18:19]
	s_cbranch_vccz .LBB110_24
; %bb.23:                               ;   in Loop: Header=BB110_14 Depth=1
	v_mul_hi_u32 v32, v56, v77
	v_mul_lo_u32 v32, v32, s12
	v_sub_u32_e32 v32, v56, v32
	v_or_b32_e32 v34, 1, v56
	v_subrev_u32_e32 v33, s12, v32
	v_cmp_le_u32_e32 vcc, s12, v32
	v_mul_hi_u32 v35, v34, v77
	v_mul_lo_u32 v35, v35, s12
	v_cndmask_b32_e32 v32, v32, v33, vcc
	v_subrev_u32_e32 v33, s12, v32
	v_cmp_le_u32_e32 vcc, s12, v32
	v_sub_u32_e32 v34, v34, v35
	v_subrev_u32_e32 v35, s12, v34
	v_cndmask_b32_e32 v58, v32, v33, vcc
	v_cmp_le_u32_e32 vcc, s12, v34
	v_mov_b32_e32 v37, v59
	v_add_u32_e32 v40, s27, v58
	v_cndmask_b32_e32 v34, v34, v35, vcc
	v_subrev_u32_e32 v35, s12, v34
	v_cmp_le_u32_e32 vcc, s12, v34
	v_mov_b32_e32 v41, v59
	v_lshl_add_u64 v[52:53], v[40:41], 1, s[8:9]
	v_cndmask_b32_e32 v34, v34, v35, vcc
	v_mov_b32_e32 v35, v59
	v_lshl_add_u64 v[42:43], v[34:35], 1, s[8:9]
	v_or_b32_e32 v35, 2, v56
	v_mul_hi_u32 v36, v35, v77
	v_mul_lo_u32 v36, v36, s12
	v_sub_u32_e32 v35, v35, v36
	v_subrev_u32_e32 v36, s12, v35
	v_cmp_le_u32_e32 vcc, s12, v35
	v_add_u32_e32 v40, s27, v34
	v_lshl_add_u64 v[54:55], v[40:41], 1, s[8:9]
	v_cndmask_b32_e32 v35, v35, v36, vcc
	v_subrev_u32_e32 v36, s12, v35
	v_cmp_le_u32_e32 vcc, s12, v35
	v_lshl_add_u64 v[32:33], v[58:59], 1, s[8:9]
	v_mov_b32_e32 v39, v59
	v_cndmask_b32_e32 v36, v35, v36, vcc
	v_or_b32_e32 v35, 3, v56
	v_lshl_add_u64 v[48:49], v[36:37], 1, s[8:9]
	v_mul_hi_u32 v37, v35, v77
	v_mul_lo_u32 v37, v37, s12
	v_sub_u32_e32 v35, v35, v37
	v_subrev_u32_e32 v37, s12, v35
	v_cmp_le_u32_e32 vcc, s12, v35
	v_add_u32_e32 v40, s27, v36
	v_lshl_add_u64 v[60:61], v[40:41], 1, s[8:9]
	v_cndmask_b32_e32 v35, v35, v37, vcc
	v_subrev_u32_e32 v37, s12, v35
	v_cmp_le_u32_e32 vcc, s12, v35
	v_mov_b32_e32 v57, v59
	s_nop 0
	v_cndmask_b32_e32 v38, v35, v37, vcc
	v_add_u32_e32 v40, s27, v38
	v_lshl_add_u64 v[50:51], v[38:39], 1, s[8:9]
	v_lshl_add_u64 v[62:63], v[40:41], 1, s[8:9]
	global_load_ushort v47, v[32:33], off
	global_load_ushort v46, v[42:43], off
	;; [unrolled: 1-line block ×8, first 2 shown]
	v_add_u32_e32 v32, s28, v58
	v_mov_b32_e32 v33, v59
	v_add_u32_e32 v58, s29, v58
	v_lshl_add_u64 v[48:49], v[32:33], 1, s[8:9]
	v_add_u32_e32 v32, s28, v34
	v_lshl_add_u64 v[60:61], v[58:59], 1, s[8:9]
	;; [unrolled: 2-line block ×7, first 2 shown]
	v_lshl_add_u64 v[66:67], v[58:59], 1, s[8:9]
	global_load_ushort v43, v[48:49], off
	global_load_ushort v42, v[50:51], off
	;; [unrolled: 1-line block ×8, first 2 shown]
	s_cbranch_execnz .LBB110_12
	s_branch .LBB110_25
.LBB110_24:                             ;   in Loop: Header=BB110_14 Depth=1
                                        ; implicit-def: $vgpr32
                                        ; implicit-def: $vgpr33
                                        ; implicit-def: $vgpr34
                                        ; implicit-def: $vgpr36
                                        ; implicit-def: $vgpr38
                                        ; implicit-def: $vgpr40
                                        ; implicit-def: $vgpr42
                                        ; implicit-def: $vgpr43
                                        ; implicit-def: $vgpr35
                                        ; implicit-def: $vgpr37
                                        ; implicit-def: $vgpr39
                                        ; implicit-def: $vgpr41
                                        ; implicit-def: $vgpr44
                                        ; implicit-def: $vgpr45
                                        ; implicit-def: $vgpr46
                                        ; implicit-def: $vgpr47
.LBB110_25:                             ;   in Loop: Header=BB110_14 Depth=1
	v_mov_b32_e32 v57, v59
	s_waitcnt vmcnt(15)
	v_mov_b32_e32 v47, 0
	s_waitcnt vmcnt(14)
	;; [unrolled: 2-line block ×16, first 2 shown]
	v_mov_b32_e32 v32, 0
	s_branch .LBB110_12
.LBB110_26:
	s_endpgm
	.section	.rodata,"a",@progbits
	.p2align	6, 0x0
	.amdhsa_kernel _Z16wvSplitK_hf_sml_I6__halfLi32ELi4ELi16ELi8ELi2ELi4EEviiiiiiPKT_S3_S3_PS1_ii
		.amdhsa_group_segment_fixed_size 65536
		.amdhsa_private_segment_fixed_size 0
		.amdhsa_kernarg_size 64
		.amdhsa_user_sgpr_count 2
		.amdhsa_user_sgpr_dispatch_ptr 0
		.amdhsa_user_sgpr_queue_ptr 0
		.amdhsa_user_sgpr_kernarg_segment_ptr 1
		.amdhsa_user_sgpr_dispatch_id 0
		.amdhsa_user_sgpr_kernarg_preload_length 0
		.amdhsa_user_sgpr_kernarg_preload_offset 0
		.amdhsa_user_sgpr_private_segment_size 0
		.amdhsa_uses_dynamic_stack 0
		.amdhsa_enable_private_segment 0
		.amdhsa_system_sgpr_workgroup_id_x 1
		.amdhsa_system_sgpr_workgroup_id_y 0
		.amdhsa_system_sgpr_workgroup_id_z 0
		.amdhsa_system_sgpr_workgroup_info 0
		.amdhsa_system_vgpr_workitem_id 1
		.amdhsa_next_free_vgpr 98
		.amdhsa_next_free_sgpr 32
		.amdhsa_accum_offset 100
		.amdhsa_reserve_vcc 1
		.amdhsa_float_round_mode_32 0
		.amdhsa_float_round_mode_16_64 0
		.amdhsa_float_denorm_mode_32 3
		.amdhsa_float_denorm_mode_16_64 3
		.amdhsa_dx10_clamp 1
		.amdhsa_ieee_mode 1
		.amdhsa_fp16_overflow 0
		.amdhsa_tg_split 0
		.amdhsa_exception_fp_ieee_invalid_op 0
		.amdhsa_exception_fp_denorm_src 0
		.amdhsa_exception_fp_ieee_div_zero 0
		.amdhsa_exception_fp_ieee_overflow 0
		.amdhsa_exception_fp_ieee_underflow 0
		.amdhsa_exception_fp_ieee_inexact 0
		.amdhsa_exception_int_div_zero 0
	.end_amdhsa_kernel
	.section	.text._Z16wvSplitK_hf_sml_I6__halfLi32ELi4ELi16ELi8ELi2ELi4EEviiiiiiPKT_S3_S3_PS1_ii,"axG",@progbits,_Z16wvSplitK_hf_sml_I6__halfLi32ELi4ELi16ELi8ELi2ELi4EEviiiiiiPKT_S3_S3_PS1_ii,comdat
.Lfunc_end110:
	.size	_Z16wvSplitK_hf_sml_I6__halfLi32ELi4ELi16ELi8ELi2ELi4EEviiiiiiPKT_S3_S3_PS1_ii, .Lfunc_end110-_Z16wvSplitK_hf_sml_I6__halfLi32ELi4ELi16ELi8ELi2ELi4EEviiiiiiPKT_S3_S3_PS1_ii
                                        ; -- End function
	.section	.AMDGPU.csdata,"",@progbits
; Kernel info:
; codeLenInByte = 5580
; NumSgprs: 38
; NumVgprs: 98
; NumAgprs: 0
; TotalNumVgprs: 98
; ScratchSize: 0
; MemoryBound: 0
; FloatMode: 240
; IeeeMode: 1
; LDSByteSize: 65536 bytes/workgroup (compile time only)
; SGPRBlocks: 4
; VGPRBlocks: 12
; NumSGPRsForWavesPerEU: 38
; NumVGPRsForWavesPerEU: 98
; AccumOffset: 100
; Occupancy: 2
; WaveLimiterHint : 0
; COMPUTE_PGM_RSRC2:SCRATCH_EN: 0
; COMPUTE_PGM_RSRC2:USER_SGPR: 2
; COMPUTE_PGM_RSRC2:TRAP_HANDLER: 0
; COMPUTE_PGM_RSRC2:TGID_X_EN: 1
; COMPUTE_PGM_RSRC2:TGID_Y_EN: 0
; COMPUTE_PGM_RSRC2:TGID_Z_EN: 0
; COMPUTE_PGM_RSRC2:TIDIG_COMP_CNT: 1
; COMPUTE_PGM_RSRC3_GFX90A:ACCUM_OFFSET: 24
; COMPUTE_PGM_RSRC3_GFX90A:TG_SPLIT: 0
	.section	.text._Z12wvSplitK_hf_I6__halfLi32ELi4ELi16ELi8ELi2ELi4EEviiiiiiPKT_S3_S3_PS1_ii,"axG",@progbits,_Z12wvSplitK_hf_I6__halfLi32ELi4ELi16ELi8ELi2ELi4EEviiiiiiPKT_S3_S3_PS1_ii,comdat
	.protected	_Z12wvSplitK_hf_I6__halfLi32ELi4ELi16ELi8ELi2ELi4EEviiiiiiPKT_S3_S3_PS1_ii ; -- Begin function _Z12wvSplitK_hf_I6__halfLi32ELi4ELi16ELi8ELi2ELi4EEviiiiiiPKT_S3_S3_PS1_ii
	.globl	_Z12wvSplitK_hf_I6__halfLi32ELi4ELi16ELi8ELi2ELi4EEviiiiiiPKT_S3_S3_PS1_ii
	.p2align	8
	.type	_Z12wvSplitK_hf_I6__halfLi32ELi4ELi16ELi8ELi2ELi4EEviiiiiiPKT_S3_S3_PS1_ii,@function
_Z12wvSplitK_hf_I6__halfLi32ELi4ELi16ELi8ELi2ELi4EEviiiiiiPKT_S3_S3_PS1_ii: ; @_Z12wvSplitK_hf_I6__halfLi32ELi4ELi16ELi8ELi2ELi4EEviiiiiiPKT_S3_S3_PS1_ii
; %bb.0:
	s_load_dwordx2 s[8:9], s[0:1], 0x38
	s_load_dwordx2 s[10:11], s[0:1], 0x20
	s_load_dwordx4 s[12:15], s[0:1], 0x0
	s_load_dwordx2 s[20:21], s[0:1], 0x10
	v_bfe_u32 v1, v0, 10, 10
	s_waitcnt lgkmcnt(0)
	s_mul_i32 s2, s2, s8
	v_add_lshl_u32 v70, s2, v1, 2
	s_mov_b32 s4, 1
	v_add_u32_e32 v2, 4, v70
	s_mov_b32 s5, s4
	v_cmp_gt_u32_e32 vcc, s15, v70
	v_cmp_le_u32_e64 s[2:3], s15, v2
	s_mov_b32 s6, s4
	s_mov_b32 s7, s4
	v_mov_b64_e32 v[2:3], s[4:5]
	s_and_b64 s[16:17], vcc, s[2:3]
	v_mov_b64_e32 v[4:5], s[6:7]
	s_and_saveexec_b64 s[2:3], s[16:17]
	s_cbranch_execz .LBB111_6
; %bb.1:
	s_add_i32 s24, s15, -4
	v_mov_b64_e32 v[2:3], s[4:5]
	v_cmp_ne_u32_e32 vcc, s24, v70
	v_mov_b64_e32 v[4:5], s[6:7]
	s_and_saveexec_b64 s[16:17], vcc
	s_cbranch_execz .LBB111_5
; %bb.2:
	v_subrev_u32_e32 v2, s24, v70
	v_cmp_lt_u32_e32 vcc, 1, v2
	s_mov_b64 s[18:19], 0
	s_mov_b64 s[22:23], 0
	v_cndmask_b32_e32 v6, 1, v2, vcc
	s_mov_b32 s5, s4
	s_mov_b32 s6, s4
	;; [unrolled: 1-line block ×3, first 2 shown]
.LBB111_3:                              ; =>This Inner Loop Header: Depth=1
	s_cmp_lg_u32 s22, 3
	s_cselect_b32 s7, s7, 0
	s_cmp_lg_u32 s22, 2
	s_cselect_b32 s6, s6, 0
	;; [unrolled: 2-line block ×4, first 2 shown]
	s_add_u32 s22, s22, 1
	s_addc_u32 s23, s23, 0
	v_cmp_eq_u32_e32 vcc, s22, v6
	v_mov_b64_e32 v[2:3], s[4:5]
	s_or_b64 s[18:19], vcc, s[18:19]
	v_mov_b64_e32 v[4:5], s[6:7]
	s_andn2_b64 exec, exec, s[18:19]
	s_cbranch_execnz .LBB111_3
; %bb.4:
	s_or_b64 exec, exec, s[18:19]
	v_mov_b32_e32 v70, s24
.LBB111_5:
	s_or_b64 exec, exec, s[16:17]
.LBB111_6:
	s_or_b64 exec, exec, s[2:3]
	v_and_b32_e32 v10, 0x3ff, v0
	v_lshlrev_b32_e32 v0, 3, v10
	s_lshl_b32 s33, s14, 2
	v_lshl_add_u32 v11, v1, 8, v0
	s_min_u32 s4, s33, 0x8000
	v_cmp_gt_u32_e32 vcc, s4, v11
	s_and_saveexec_b64 s[2:3], vcc
	s_cbranch_execz .LBB111_15
; %bb.7:
	v_lshlrev_b32_e32 v6, 1, v11
	global_load_dwordx4 v[12:15], v6, s[10:11]
	v_add_u32_e32 v7, 0x1000, v11
	v_cmp_gt_u32_e32 vcc, s4, v7
	s_waitcnt vmcnt(0)
	ds_write_b128 v6, v[12:15]
	s_and_saveexec_b64 s[6:7], vcc
	s_xor_b64 s[6:7], exec, s[6:7]
	s_cbranch_execz .LBB111_15
; %bb.8:
	v_mov_b32_e32 v7, 0
	v_lshl_add_u64 v[8:9], s[10:11], 0, v[6:7]
	v_add_co_u32_e32 v12, vcc, 0x2000, v8
	v_add_u32_e32 v7, 0x2000, v11
	s_nop 0
	v_addc_co_u32_e32 v13, vcc, 0, v9, vcc
	global_load_dwordx4 v[12:15], v[12:13], off
	v_cmp_gt_u32_e32 vcc, s4, v7
	s_waitcnt vmcnt(0)
	ds_write_b128 v6, v[12:15] offset:8192
	s_and_saveexec_b64 s[6:7], vcc
	s_xor_b64 s[6:7], exec, s[6:7]
	s_cbranch_execz .LBB111_15
; %bb.9:
	v_add_co_u32_e32 v12, vcc, 0x4000, v8
	v_add_u32_e32 v7, 0x3000, v11
	s_nop 0
	v_addc_co_u32_e32 v13, vcc, 0, v9, vcc
	global_load_dwordx4 v[12:15], v[12:13], off
	v_cmp_gt_u32_e32 vcc, s4, v7
	s_waitcnt vmcnt(0)
	ds_write_b128 v6, v[12:15] offset:16384
	s_and_saveexec_b64 s[6:7], vcc
	s_xor_b64 s[6:7], exec, s[6:7]
	s_cbranch_execz .LBB111_15
; %bb.10:
	;; [unrolled: 12-line block ×6, first 2 shown]
	v_add_co_u32_e32 v8, vcc, 0xe000, v8
	s_nop 1
	v_addc_co_u32_e32 v9, vcc, 0, v9, vcc
	global_load_dwordx4 v[12:15], v[8:9], off
	s_waitcnt vmcnt(0)
	ds_write_b128 v6, v[12:15] offset:57344
.LBB111_15:
	s_or_b64 exec, exec, s[2:3]
	v_cmp_gt_u32_e32 vcc, s8, v1
	v_cmp_gt_u32_e64 s[2:3], s15, v70
	s_and_b64 s[2:3], vcc, s[2:3]
	s_waitcnt lgkmcnt(0)
	s_barrier
	s_and_saveexec_b64 s[4:5], s[2:3]
	s_cbranch_execz .LBB111_98
; %bb.16:
	s_load_dwordx4 s[16:19], s[0:1], 0x28
	s_load_dwordx2 s[22:23], s[0:1], 0x18
	s_cmp_lg_u32 s12, 0
	s_cselect_b64 s[2:3], -1, 0
	s_add_i32 s36, s12, -8
	s_add_i32 s37, s15, -1
	s_mul_i32 s4, s8, s9
	s_waitcnt lgkmcnt(0)
	s_cmp_lg_u64 s[16:17], 0
	s_cselect_b64 s[26:27], -1, 0
	s_lshl_b32 s38, s4, 2
	s_abs_i32 s4, s21
	v_cvt_f32_u32_e32 v1, s20
	v_cvt_f32_u32_e32 v6, s4
	s_sub_i32 s5, 0, s20
	s_add_i32 s21, s15, -4
	v_rcp_iflag_f32_e32 v1, v1
	v_rcp_iflag_f32_e32 v6, v6
	v_cmp_eq_u32_e64 s[0:1], 31, v10
	s_mov_b64 s[24:25], 0
	v_mul_f32_e32 v1, 0x4f7ffffe, v1
	v_mul_f32_e32 v6, 0x4f7ffffe, v6
	v_cvt_u32_f32_e32 v1, v1
	v_cvt_u32_f32_e32 v6, v6
	v_mov_b32_e32 v73, 0
	v_lshlrev_b32_e32 v96, 4, v10
	v_mul_lo_u32 v7, s5, v1
	s_sub_i32 s5, 0, s4
	v_readfirstlane_b32 s6, v6
	s_mul_i32 s5, s5, s6
	s_mul_hi_u32 s5, s6, s5
	s_add_i32 s6, s6, s5
	s_sub_i32 s5, 1, s4
	s_cmp_lt_u32 s4, 2
	s_cselect_b32 s5, s5, 1
	s_sub_i32 s7, s5, s4
	s_cmp_ge_u32 s5, s4
	s_cselect_b32 s39, s7, s5
	s_lshr_b32 s5, s6, 31
	s_mul_i32 s5, s5, s4
	s_sub_i32 s5, 2, s5
	s_sub_i32 s7, s5, s4
	s_cmp_ge_u32 s5, s4
	s_cselect_b32 s5, s7, s5
	s_sub_i32 s7, s5, s4
	s_cmp_ge_u32 s5, s4
	s_cselect_b32 s40, s7, s5
	s_mul_hi_u32 s5, s6, 3
	s_mul_i32 s5, s5, s4
	s_sub_i32 s5, 3, s5
	s_sub_i32 s6, s5, s4
	s_cmp_ge_u32 s5, s4
	s_cselect_b32 s5, s6, s5
	v_mul_hi_u32 v7, v1, v7
	s_sub_i32 s6, s5, s4
	v_add_u32_e32 v1, v1, v7
	s_cmp_ge_u32 s5, s4
	s_cselect_b32 s41, s6, s5
	s_lshl_b32 s42, s14, 1
	v_mad_u64_u32 v[74:75], s[4:5], s14, 3, v[0:1]
	v_cndmask_b32_e64 v6, 0, 1, s[2:3]
	s_mul_i32 s39, s39, s20
	s_mul_i32 s40, s40, s20
	;; [unrolled: 1-line block ×3, first 2 shown]
	v_add_u32_e32 v97, s42, v0
	s_mul_i32 s43, s14, 6
	v_add_u32_e32 v75, s14, v0
	v_cmp_ne_u32_e64 s[2:3], 1, v6
	s_movk_i32 s14, 0x7fff
	s_mov_b32 s28, 0
	s_branch .LBB111_19
.LBB111_17:                             ;   in Loop: Header=BB111_19 Depth=1
	s_or_b64 exec, exec, s[8:9]
	v_mov_b32_e32 v70, s21
.LBB111_18:                             ;   in Loop: Header=BB111_19 Depth=1
	s_or_b64 exec, exec, s[6:7]
	v_cmp_le_u32_e32 vcc, s15, v70
	s_or_b64 s[24:25], vcc, s[24:25]
	s_andn2_b64 exec, exec, s[24:25]
	s_cbranch_execz .LBB111_98
.LBB111_19:                             ; =>This Loop Header: Depth=1
                                        ;     Child Loop BB111_24 Depth 2
                                        ;     Child Loop BB111_81 Depth 2
	s_and_b64 vcc, exec, s[2:3]
	v_add_u32_e32 v80, 1, v70
	v_add_u32_e32 v78, 2, v70
	;; [unrolled: 1-line block ×3, first 2 shown]
	v_mov_b32_e32 v109, v73
	v_mov_b32_e32 v108, v73
	;; [unrolled: 1-line block ×16, first 2 shown]
	s_cbranch_vccnz .LBB111_58
; %bb.20:                               ;   in Loop: Header=BB111_19 Depth=1
	v_min_u32_e32 v6, s37, v70
	v_mul_lo_u32 v72, v6, s13
	v_min_u32_e32 v6, s37, v80
	v_min_u32_e32 v8, s37, v78
	;; [unrolled: 1-line block ×3, first 2 shown]
	v_mul_lo_u32 v6, v6, s13
	v_mov_b32_e32 v7, v73
	v_mul_lo_u32 v8, v8, s13
	v_mov_b32_e32 v9, v73
	;; [unrolled: 2-line block ×3, first 2 shown]
	v_mov_b32_e32 v101, 0
	v_lshlrev_b64 v[82:83], 1, v[72:73]
	v_lshlrev_b64 v[84:85], 1, v[6:7]
	;; [unrolled: 1-line block ×4, first 2 shown]
	v_mov_b32_e32 v110, v96
	v_mov_b32_e32 v100, 0
	;; [unrolled: 1-line block ×16, first 2 shown]
	s_mov_b32 s30, s28
	s_branch .LBB111_24
.LBB111_21:                             ;   in Loop: Header=BB111_24 Depth=2
	s_or_b64 exec, exec, s[8:9]
.LBB111_22:                             ;   in Loop: Header=BB111_24 Depth=2
	s_or_b64 exec, exec, s[6:7]
.LBB111_23:                             ;   in Loop: Header=BB111_24 Depth=2
	s_or_b64 exec, exec, s[4:5]
	s_waitcnt vmcnt(0) lgkmcnt(0)
	;;#ASMSTART
	v_dot2c_f32_f16 v109, v50, v34
	;;#ASMEND
	;;#ASMSTART
	v_dot2c_f32_f16 v108, v50, v30
	;;#ASMEND
	;;#ASMSTART
	v_dot2c_f32_f16 v107, v50, v26
	;;#ASMEND
	;;#ASMSTART
	v_dot2c_f32_f16 v106, v50, v22
	;;#ASMEND
	;;#ASMSTART
	v_dot2c_f32_f16 v105, v46, v34
	;;#ASMEND
	;;#ASMSTART
	v_dot2c_f32_f16 v104, v46, v30
	;;#ASMEND
	;;#ASMSTART
	v_dot2c_f32_f16 v103, v46, v26
	;;#ASMEND
	;;#ASMSTART
	v_dot2c_f32_f16 v102, v46, v22
	;;#ASMEND
	;;#ASMSTART
	v_dot2c_f32_f16 v101, v42, v34
	;;#ASMEND
	;;#ASMSTART
	v_dot2c_f32_f16 v100, v42, v30
	;;#ASMEND
	;;#ASMSTART
	v_dot2c_f32_f16 v99, v42, v26
	;;#ASMEND
	;;#ASMSTART
	v_dot2c_f32_f16 v98, v42, v22
	;;#ASMEND
	;;#ASMSTART
	v_dot2c_f32_f16 v81, v38, v34
	;;#ASMEND
	;;#ASMSTART
	v_dot2c_f32_f16 v79, v38, v30
	;;#ASMEND
	;;#ASMSTART
	v_dot2c_f32_f16 v77, v38, v26
	;;#ASMEND
	;;#ASMSTART
	v_dot2c_f32_f16 v71, v38, v22
	;;#ASMEND
	s_nop 0
	;;#ASMSTART
	v_dot2c_f32_f16 v109, v51, v35
	;;#ASMEND
	;;#ASMSTART
	v_dot2c_f32_f16 v108, v51, v31
	;;#ASMEND
	;;#ASMSTART
	v_dot2c_f32_f16 v107, v51, v27
	;;#ASMEND
	;;#ASMSTART
	v_dot2c_f32_f16 v106, v51, v23
	;;#ASMEND
	;;#ASMSTART
	v_dot2c_f32_f16 v105, v47, v35
	;;#ASMEND
	;;#ASMSTART
	v_dot2c_f32_f16 v104, v47, v31
	;;#ASMEND
	;;#ASMSTART
	v_dot2c_f32_f16 v103, v47, v27
	;;#ASMEND
	;;#ASMSTART
	v_dot2c_f32_f16 v102, v47, v23
	;;#ASMEND
	;;#ASMSTART
	v_dot2c_f32_f16 v101, v43, v35
	;;#ASMEND
	;;#ASMSTART
	v_dot2c_f32_f16 v100, v43, v31
	;;#ASMEND
	;;#ASMSTART
	v_dot2c_f32_f16 v99, v43, v27
	;;#ASMEND
	;;#ASMSTART
	v_dot2c_f32_f16 v98, v43, v23
	;;#ASMEND
	;;#ASMSTART
	v_dot2c_f32_f16 v81, v39, v35
	;;#ASMEND
	;;#ASMSTART
	v_dot2c_f32_f16 v79, v39, v31
	;;#ASMEND
	;;#ASMSTART
	v_dot2c_f32_f16 v77, v39, v27
	;;#ASMEND
	;;#ASMSTART
	v_dot2c_f32_f16 v71, v39, v23
	;;#ASMEND
	s_nop 0
	;; [unrolled: 49-line block ×5, first 2 shown]
	;;#ASMSTART
	v_dot2c_f32_f16 v109, v67, v19
	;;#ASMEND
	;;#ASMSTART
	v_dot2c_f32_f16 v108, v67, v15
	;;#ASMEND
	;; [unrolled: 3-line block ×16, first 2 shown]
	s_addk_i32 s30, 0x200
	;;#ASMSTART
	v_dot2c_f32_f16 v109, v68, v20
	;;#ASMEND
	;;#ASMSTART
	v_dot2c_f32_f16 v108, v68, v16
	;;#ASMEND
	;; [unrolled: 3-line block ×16, first 2 shown]
	s_cmp_ge_u32 s30, s12
	v_add_u32_e32 v110, 0x400, v110
	;;#ASMSTART
	v_dot2c_f32_f16 v109, v69, v21
	;;#ASMEND
	;;#ASMSTART
	v_dot2c_f32_f16 v108, v69, v17
	;;#ASMEND
	;; [unrolled: 3-line block ×16, first 2 shown]
	s_cbranch_scc1 .LBB111_58
.LBB111_24:                             ;   Parent Loop BB111_19 Depth=1
                                        ; =>  This Inner Loop Header: Depth=2
	v_add_u32_e32 v92, s30, v0
	v_min_u32_e32 v72, s36, v92
	v_lshl_add_u64 v[6:7], v[72:73], 1, s[22:23]
	v_lshl_add_u64 v[8:9], v[6:7], 0, v[82:83]
	v_add_u32_e32 v90, 0x100, v92
	v_lshl_add_u64 v[10:11], v[6:7], 0, v[84:85]
	global_load_dwordx4 v[34:37], v[8:9], off nt
	global_load_dwordx4 v[30:33], v[10:11], off nt
	v_lshl_add_u64 v[8:9], v[6:7], 0, v[86:87]
	v_lshl_add_u64 v[6:7], v[6:7], 0, v[88:89]
	v_min_u32_e32 v72, s36, v90
	global_load_dwordx4 v[26:29], v[8:9], off nt
	global_load_dwordx4 v[22:25], v[6:7], off nt
	v_lshl_add_u64 v[6:7], v[72:73], 1, s[22:23]
	v_lshl_add_u64 v[8:9], v[6:7], 0, v[82:83]
	;; [unrolled: 1-line block ×3, first 2 shown]
	s_waitcnt vmcnt(4)
	v_lshl_add_u64 v[38:39], v[6:7], 0, v[86:87]
	global_load_dwordx4 v[18:21], v[8:9], off nt
	global_load_dwordx4 v[14:17], v[10:11], off nt
	v_lshl_add_u64 v[40:41], v[6:7], 0, v[88:89]
	global_load_dwordx4 v[10:13], v[38:39], off nt
	global_load_dwordx4 v[6:9], v[40:41], off nt
	s_mov_b32 s29, s28
	v_cmp_gt_u32_e32 vcc, s12, v92
	v_mov_b64_e32 v[60:61], s[28:29]
	v_mov_b32_e32 v57, 0
	v_mov_b32_e32 v56, 0
	;; [unrolled: 1-line block ×4, first 2 shown]
	v_mov_b64_e32 v[58:59], s[28:29]
	v_mov_b64_e32 v[64:65], s[28:29]
	;; [unrolled: 1-line block ×13, first 2 shown]
	s_and_saveexec_b64 s[4:5], vcc
	s_cbranch_execz .LBB111_23
; %bb.25:                               ;   in Loop: Header=BB111_24 Depth=2
	v_cmp_lt_u32_e32 vcc, s14, v92
                                        ; implicit-def: $vgpr52_vgpr53
	s_and_saveexec_b64 s[6:7], vcc
	s_xor_b64 s[6:7], exec, s[6:7]
	s_cbranch_execz .LBB111_27
; %bb.26:                               ;   in Loop: Header=BB111_24 Depth=2
	v_mov_b32_e32 v93, v73
	v_lshl_add_u64 v[38:39], v[92:93], 1, s[10:11]
	global_load_dwordx4 v[50:53], v[38:39], off
.LBB111_27:                             ;   in Loop: Header=BB111_24 Depth=2
	s_andn2_saveexec_b64 s[6:7], s[6:7]
	s_cbranch_execz .LBB111_29
; %bb.28:                               ;   in Loop: Header=BB111_24 Depth=2
	s_waitcnt vmcnt(0)
	ds_read_b128 v[50:53], v110
.LBB111_29:                             ;   in Loop: Header=BB111_24 Depth=2
	s_or_b64 exec, exec, s[6:7]
	v_add_u32_e32 v72, s30, v75
	v_cmp_lt_u32_e32 vcc, s14, v72
                                        ; implicit-def: $vgpr48_vgpr49
	s_and_saveexec_b64 s[6:7], vcc
	s_xor_b64 s[6:7], exec, s[6:7]
	s_cbranch_execz .LBB111_31
; %bb.30:                               ;   in Loop: Header=BB111_24 Depth=2
	v_lshl_add_u64 v[38:39], v[72:73], 1, s[10:11]
	global_load_dwordx4 v[46:49], v[38:39], off
.LBB111_31:                             ;   in Loop: Header=BB111_24 Depth=2
	s_andn2_saveexec_b64 s[6:7], s[6:7]
	s_cbranch_execz .LBB111_33
; %bb.32:                               ;   in Loop: Header=BB111_24 Depth=2
	v_add_u32_e32 v38, s42, v110
	s_waitcnt vmcnt(0)
	ds_read_b128 v[46:49], v38
.LBB111_33:                             ;   in Loop: Header=BB111_24 Depth=2
	s_or_b64 exec, exec, s[6:7]
	v_add_u32_e32 v94, s30, v97
	v_cmp_lt_u32_e32 vcc, s14, v94
                                        ; implicit-def: $vgpr44_vgpr45
	s_and_saveexec_b64 s[6:7], vcc
	s_xor_b64 s[6:7], exec, s[6:7]
	s_cbranch_execz .LBB111_35
; %bb.34:                               ;   in Loop: Header=BB111_24 Depth=2
	v_mov_b32_e32 v95, v73
	v_lshl_add_u64 v[38:39], v[94:95], 1, s[10:11]
	global_load_dwordx4 v[42:45], v[38:39], off
.LBB111_35:                             ;   in Loop: Header=BB111_24 Depth=2
	s_andn2_saveexec_b64 s[6:7], s[6:7]
	s_cbranch_execz .LBB111_37
; %bb.36:                               ;   in Loop: Header=BB111_24 Depth=2
	v_add_u32_e32 v38, s33, v110
	s_waitcnt vmcnt(0)
	ds_read2_b32 v[42:43], v38 offset1:1
	ds_read2_b32 v[44:45], v38 offset0:2 offset1:3
.LBB111_37:                             ;   in Loop: Header=BB111_24 Depth=2
	s_or_b64 exec, exec, s[6:7]
	v_add_u32_e32 v92, s30, v74
	v_cmp_lt_u32_e32 vcc, s14, v92
                                        ; implicit-def: $vgpr40_vgpr41
	s_and_saveexec_b64 s[6:7], vcc
	s_xor_b64 s[6:7], exec, s[6:7]
	s_cbranch_execz .LBB111_39
; %bb.38:                               ;   in Loop: Header=BB111_24 Depth=2
	v_mov_b32_e32 v93, v73
	v_lshl_add_u64 v[38:39], v[92:93], 1, s[10:11]
	global_load_dwordx4 v[38:41], v[38:39], off
.LBB111_39:                             ;   in Loop: Header=BB111_24 Depth=2
	s_andn2_saveexec_b64 s[6:7], s[6:7]
	s_cbranch_execz .LBB111_41
; %bb.40:                               ;   in Loop: Header=BB111_24 Depth=2
	s_waitcnt vmcnt(0)
	v_add_u32_e32 v38, s43, v110
	ds_read_b128 v[38:41], v38
.LBB111_41:                             ;   in Loop: Header=BB111_24 Depth=2
	s_or_b64 exec, exec, s[6:7]
	s_mov_b32 s29, s28
	v_cmp_gt_u32_e32 vcc, s12, v90
	v_mov_b32_e32 v57, 0
	v_mov_b64_e32 v[60:61], s[28:29]
	v_mov_b32_e32 v56, 0
	v_mov_b32_e32 v55, 0
	;; [unrolled: 1-line block ×3, first 2 shown]
	v_mov_b64_e32 v[58:59], s[28:29]
	v_mov_b64_e32 v[64:65], s[28:29]
	;; [unrolled: 1-line block ×5, first 2 shown]
	s_and_saveexec_b64 s[6:7], vcc
	s_cbranch_execz .LBB111_22
; %bb.42:                               ;   in Loop: Header=BB111_24 Depth=2
	v_cmp_lt_u32_e32 vcc, s14, v90
                                        ; implicit-def: $vgpr68_vgpr69
	s_and_saveexec_b64 s[8:9], vcc
	s_xor_b64 s[8:9], exec, s[8:9]
	s_cbranch_execz .LBB111_44
; %bb.43:                               ;   in Loop: Header=BB111_24 Depth=2
	v_mov_b32_e32 v91, v73
	v_lshl_add_u64 v[54:55], v[90:91], 1, s[10:11]
	global_load_dwordx4 v[66:69], v[54:55], off
.LBB111_44:                             ;   in Loop: Header=BB111_24 Depth=2
	s_andn2_saveexec_b64 s[8:9], s[8:9]
	s_cbranch_execz .LBB111_46
; %bb.45:                               ;   in Loop: Header=BB111_24 Depth=2
	s_waitcnt vmcnt(0)
	ds_read_b128 v[66:69], v110 offset:512
.LBB111_46:                             ;   in Loop: Header=BB111_24 Depth=2
	s_or_b64 exec, exec, s[8:9]
	v_add_u32_e32 v72, 0x100, v72
	v_cmp_lt_u32_e32 vcc, s14, v72
                                        ; implicit-def: $vgpr64_vgpr65
	s_and_saveexec_b64 s[8:9], vcc
	s_xor_b64 s[8:9], exec, s[8:9]
	s_cbranch_execz .LBB111_48
; %bb.47:                               ;   in Loop: Header=BB111_24 Depth=2
	v_lshl_add_u64 v[54:55], v[72:73], 1, s[10:11]
	global_load_dwordx4 v[62:65], v[54:55], off
.LBB111_48:                             ;   in Loop: Header=BB111_24 Depth=2
	s_andn2_saveexec_b64 s[8:9], s[8:9]
	s_cbranch_execz .LBB111_50
; %bb.49:                               ;   in Loop: Header=BB111_24 Depth=2
	v_add_u32_e32 v54, s42, v110
	s_waitcnt vmcnt(0)
	ds_read_b128 v[62:65], v54 offset:512
.LBB111_50:                             ;   in Loop: Header=BB111_24 Depth=2
	s_or_b64 exec, exec, s[8:9]
	v_add_u32_e32 v72, 0x100, v94
	v_cmp_lt_u32_e32 vcc, s14, v72
                                        ; implicit-def: $vgpr60_vgpr61
	s_and_saveexec_b64 s[8:9], vcc
	s_xor_b64 s[8:9], exec, s[8:9]
	s_cbranch_execz .LBB111_52
; %bb.51:                               ;   in Loop: Header=BB111_24 Depth=2
	v_lshl_add_u64 v[54:55], v[72:73], 1, s[10:11]
	global_load_dwordx4 v[58:61], v[54:55], off
.LBB111_52:                             ;   in Loop: Header=BB111_24 Depth=2
	s_andn2_saveexec_b64 s[8:9], s[8:9]
	s_cbranch_execz .LBB111_54
; %bb.53:                               ;   in Loop: Header=BB111_24 Depth=2
	v_add_u32_e32 v54, s33, v110
	s_waitcnt vmcnt(0)
	ds_read2_b32 v[58:59], v54 offset0:128 offset1:129
	ds_read2_b32 v[60:61], v54 offset0:130 offset1:131
.LBB111_54:                             ;   in Loop: Header=BB111_24 Depth=2
	s_or_b64 exec, exec, s[8:9]
	v_add_u32_e32 v72, 0x100, v92
	v_cmp_lt_u32_e32 vcc, s14, v72
                                        ; implicit-def: $vgpr57
	s_and_saveexec_b64 s[8:9], vcc
	s_xor_b64 s[8:9], exec, s[8:9]
	s_cbranch_execz .LBB111_56
; %bb.55:                               ;   in Loop: Header=BB111_24 Depth=2
	v_lshl_add_u64 v[54:55], v[72:73], 1, s[10:11]
	global_load_dwordx4 v[54:57], v[54:55], off
.LBB111_56:                             ;   in Loop: Header=BB111_24 Depth=2
	s_andn2_saveexec_b64 s[8:9], s[8:9]
	s_cbranch_execz .LBB111_21
; %bb.57:                               ;   in Loop: Header=BB111_24 Depth=2
	s_waitcnt vmcnt(0)
	v_add_u32_e32 v54, s43, v110
	ds_read_b128 v[54:57], v54 offset:512
	s_branch .LBB111_21
.LBB111_58:                             ;   in Loop: Header=BB111_19 Depth=1
	v_cvt_i32_f32_e32 v6, v109
	v_cvt_i32_f32_e32 v7, v108
	;; [unrolled: 1-line block ×4, first 2 shown]
	v_cvt_f32_i32_dpp v6, v6 row_shr:8 row_mask:0xf bank_mask:0xf bound_ctrl:1
	v_cvt_f32_i32_dpp v7, v7 row_shr:8 row_mask:0xf bank_mask:0xf bound_ctrl:1
	;; [unrolled: 1-line block ×4, first 2 shown]
	v_add_f32_e32 v6, v109, v6
	v_cvt_i32_f32_e32 v10, v6
	v_add_f32_e32 v7, v108, v7
	v_cvt_i32_f32_e32 v11, v7
	v_add_f32_e32 v8, v107, v8
	v_cvt_f32_i32_dpp v10, v10 row_shr:4 row_mask:0xf bank_mask:0xf bound_ctrl:1
	v_cvt_i32_f32_e32 v12, v8
	v_cvt_f32_i32_dpp v11, v11 row_shr:4 row_mask:0xf bank_mask:0xf bound_ctrl:1
	v_add_f32_e32 v9, v106, v9
	v_add_f32_e32 v6, v6, v10
	v_cvt_i32_f32_e32 v10, v6
	v_add_f32_e32 v7, v7, v11
	v_cvt_i32_f32_e32 v11, v7
	v_cvt_f32_i32_dpp v12, v12 row_shr:4 row_mask:0xf bank_mask:0xf bound_ctrl:1
	v_cvt_f32_i32_dpp v10, v10 row_shr:2 row_mask:0xf bank_mask:0xf bound_ctrl:1
	v_cvt_i32_f32_e32 v13, v9
	v_cvt_f32_i32_dpp v11, v11 row_shr:2 row_mask:0xf bank_mask:0xf bound_ctrl:1
	v_add_f32_e32 v8, v8, v12
	v_add_f32_e32 v6, v6, v10
	v_cvt_i32_f32_e32 v10, v6
	v_add_f32_e32 v7, v7, v11
	v_cvt_i32_f32_e32 v11, v7
	v_cvt_i32_f32_e32 v12, v8
	v_cvt_f32_i32_dpp v10, v10 row_shr:1 row_mask:0xf bank_mask:0xf bound_ctrl:1
	v_cvt_f32_i32_dpp v13, v13 row_shr:4 row_mask:0xf bank_mask:0xf bound_ctrl:1
	;; [unrolled: 1-line block ×4, first 2 shown]
	v_add_f32_e32 v6, v6, v10
	v_cvt_i32_f32_e32 v10, v6
	v_add_f32_e32 v7, v7, v11
	v_cvt_i32_f32_e32 v11, v7
	v_add_f32_e32 v12, v8, v12
	v_cvt_f32_i32_dpp v10, v10 row_bcast:15 row_mask:0xf bank_mask:0xf bound_ctrl:1
	v_add_f32_e32 v9, v9, v13
	v_cvt_i32_f32_e32 v13, v12
	v_cvt_f32_i32_dpp v11, v11 row_bcast:15 row_mask:0xf bank_mask:0xf bound_ctrl:1
	v_add_f32_e32 v8, v6, v10
	v_cvt_i32_f32_e32 v10, v8
	v_cvt_f32_i32_dpp v13, v13 row_shr:1 row_mask:0xf bank_mask:0xf bound_ctrl:1
	v_add_f32_e32 v6, v7, v11
	v_cvt_i32_f32_e32 v7, v6
	v_mov_b32_dpp v11, v10 row_bcast:31 row_mask:0xf bank_mask:0xf bound_ctrl:1
	v_cvt_i32_f32_e32 v10, v9
	v_add_f32_e32 v12, v12, v13
	v_cvt_i32_f32_e32 v13, v105
	v_cvt_i32_f32_e32 v14, v12
	v_cvt_f32_i32_dpp v15, v10 row_shr:2 row_mask:0xf bank_mask:0xf bound_ctrl:1
	v_mov_b32_dpp v10, v7 row_bcast:31 row_mask:0xf bank_mask:0xf bound_ctrl:1
	v_cvt_f32_i32_dpp v7, v13 row_shr:8 row_mask:0xf bank_mask:0xf bound_ctrl:1
	v_cvt_f32_i32_dpp v13, v14 row_bcast:15 row_mask:0xf bank_mask:0xf bound_ctrl:1
	v_add_f32_e32 v9, v9, v15
	v_cvt_i32_f32_e32 v14, v9
	v_add_f32_e32 v15, v105, v7
	v_cvt_i32_f32_e32 v16, v15
	v_add_f32_e32 v7, v12, v13
	v_cvt_f32_i32_dpp v12, v14 row_shr:1 row_mask:0xf bank_mask:0xf bound_ctrl:1
	v_cvt_i32_f32_e32 v13, v104
	v_cvt_f32_i32_dpp v14, v16 row_shr:4 row_mask:0xf bank_mask:0xf bound_ctrl:1
	v_cvt_i32_f32_e32 v16, v7
	v_add_f32_e32 v9, v9, v12
	v_cvt_f32_i32_dpp v12, v13 row_shr:8 row_mask:0xf bank_mask:0xf bound_ctrl:1
	v_add_f32_e32 v14, v15, v14
	v_cvt_i32_f32_e32 v13, v14
	v_cvt_i32_f32_e32 v15, v9
	v_add_f32_e32 v12, v104, v12
	v_cvt_i32_f32_e32 v17, v12
	v_cvt_f32_i32_dpp v18, v13 row_shr:2 row_mask:0xf bank_mask:0xf bound_ctrl:1
	v_mov_b32_dpp v13, v16 row_bcast:31 row_mask:0xf bank_mask:0xf bound_ctrl:1
	v_cvt_f32_i32_dpp v15, v15 row_bcast:15 row_mask:0xf bank_mask:0xf bound_ctrl:1
	v_cvt_f32_i32_dpp v16, v17 row_shr:4 row_mask:0xf bank_mask:0xf bound_ctrl:1
	v_add_f32_e32 v14, v14, v18
	v_cvt_i32_f32_e32 v17, v14
	v_add_f32_e32 v9, v9, v15
	v_add_f32_e32 v12, v12, v16
	v_cvt_i32_f32_e32 v15, v12
	v_cvt_f32_i32_dpp v16, v17 row_shr:1 row_mask:0xf bank_mask:0xf bound_ctrl:1
	v_cvt_i32_f32_e32 v17, v103
	v_cvt_i32_f32_e32 v18, v9
	v_cvt_f32_i32_dpp v15, v15 row_shr:2 row_mask:0xf bank_mask:0xf bound_ctrl:1
	v_add_f32_e32 v14, v14, v16
	v_cvt_f32_i32_dpp v16, v17 row_shr:8 row_mask:0xf bank_mask:0xf bound_ctrl:1
	v_cvt_i32_f32_e32 v17, v14
	v_add_f32_e32 v19, v12, v15
	v_cvt_i32_f32_e32 v12, v19
	v_add_f32_e32 v16, v103, v16
	v_cvt_i32_f32_e32 v20, v16
	v_cvt_f32_i32_dpp v17, v17 row_bcast:15 row_mask:0xf bank_mask:0xf bound_ctrl:1
	v_mov_b32_dpp v15, v18 row_bcast:31 row_mask:0xf bank_mask:0xf bound_ctrl:1
	v_cvt_f32_i32_dpp v21, v12 row_shr:1 row_mask:0xf bank_mask:0xf bound_ctrl:1
	v_cvt_f32_i32_dpp v18, v20 row_shr:4 row_mask:0xf bank_mask:0xf bound_ctrl:1
	v_add_f32_e32 v12, v14, v17
	v_cvt_i32_f32_e32 v17, v102
	v_add_f32_e32 v14, v19, v21
	v_add_f32_e32 v16, v16, v18
	v_cvt_i32_f32_e32 v18, v16
	v_cvt_f32_i32_dpp v17, v17 row_shr:8 row_mask:0xf bank_mask:0xf bound_ctrl:1
	v_cvt_i32_f32_e32 v19, v14
	v_cvt_i32_f32_e32 v20, v12
	v_cvt_f32_i32_dpp v18, v18 row_shr:2 row_mask:0xf bank_mask:0xf bound_ctrl:1
	v_add_f32_e32 v17, v102, v17
	v_cvt_i32_f32_e32 v21, v17
	v_cvt_f32_i32_dpp v19, v19 row_bcast:15 row_mask:0xf bank_mask:0xf bound_ctrl:1
	v_add_f32_e32 v16, v16, v18
	v_cvt_i32_f32_e32 v22, v16
	v_mov_b32_dpp v18, v20 row_bcast:31 row_mask:0xf bank_mask:0xf bound_ctrl:1
	v_cvt_f32_i32_dpp v20, v21 row_shr:4 row_mask:0xf bank_mask:0xf bound_ctrl:1
	v_cvt_i32_f32_e32 v21, v101
	v_add_f32_e32 v14, v14, v19
	v_cvt_f32_i32_dpp v19, v22 row_shr:1 row_mask:0xf bank_mask:0xf bound_ctrl:1
	v_add_f32_e32 v17, v17, v20
	v_cvt_f32_i32_dpp v21, v21 row_shr:8 row_mask:0xf bank_mask:0xf bound_ctrl:1
	v_cvt_i32_f32_e32 v20, v17
	v_add_f32_e32 v16, v16, v19
	v_cvt_i32_f32_e32 v22, v14
	v_add_f32_e32 v21, v101, v21
	v_cvt_f32_i32_dpp v19, v20 row_shr:2 row_mask:0xf bank_mask:0xf bound_ctrl:1
	v_cvt_i32_f32_e32 v20, v16
	v_cvt_i32_f32_e32 v23, v21
	v_add_f32_e32 v17, v17, v19
	v_cvt_f32_i32_dpp v20, v20 row_bcast:15 row_mask:0xf bank_mask:0xf bound_ctrl:1
	v_cvt_f32_i32_dpp v23, v23 row_shr:4 row_mask:0xf bank_mask:0xf bound_ctrl:1
	v_cvt_i32_f32_e32 v24, v17
	v_mov_b32_dpp v19, v22 row_bcast:31 row_mask:0xf bank_mask:0xf bound_ctrl:1
	v_add_f32_e32 v16, v16, v20
	v_add_f32_e32 v20, v21, v23
	v_cvt_f32_i32_dpp v22, v24 row_shr:1 row_mask:0xf bank_mask:0xf bound_ctrl:1
	v_cvt_i32_f32_e32 v21, v20
	v_cvt_i32_f32_e32 v24, v16
	v_add_f32_e32 v17, v17, v22
	v_cvt_i32_f32_e32 v22, v100
	v_cvt_f32_i32_dpp v21, v21 row_shr:2 row_mask:0xf bank_mask:0xf bound_ctrl:1
	v_cvt_i32_f32_e32 v23, v17
	v_cvt_f32_i32_dpp v22, v22 row_shr:8 row_mask:0xf bank_mask:0xf bound_ctrl:1
	v_add_f32_e32 v21, v20, v21
	v_cvt_i32_f32_e32 v25, v21
	v_cvt_f32_i32_dpp v23, v23 row_bcast:15 row_mask:0xf bank_mask:0xf bound_ctrl:1
	v_add_f32_e32 v22, v100, v22
	v_cvt_i32_f32_e32 v26, v22
	v_mov_b32_dpp v20, v24 row_bcast:31 row_mask:0xf bank_mask:0xf bound_ctrl:1
	v_cvt_f32_i32_dpp v24, v25 row_shr:1 row_mask:0xf bank_mask:0xf bound_ctrl:1
	v_add_f32_e32 v17, v17, v23
	v_cvt_f32_i32_dpp v23, v26 row_shr:4 row_mask:0xf bank_mask:0xf bound_ctrl:1
	v_cvt_i32_f32_e32 v25, v17
	v_add_f32_e32 v21, v21, v24
	v_cvt_i32_f32_e32 v24, v99
	v_add_f32_e32 v23, v22, v23
	v_cvt_i32_f32_e32 v26, v23
	v_cvt_i32_f32_e32 v27, v21
	v_cvt_f32_i32_dpp v24, v24 row_shr:8 row_mask:0xf bank_mask:0xf bound_ctrl:1
	v_mov_b32_dpp v22, v25 row_bcast:31 row_mask:0xf bank_mask:0xf bound_ctrl:1
	v_cvt_f32_i32_dpp v25, v26 row_shr:2 row_mask:0xf bank_mask:0xf bound_ctrl:1
	v_cvt_f32_i32_dpp v26, v27 row_bcast:15 row_mask:0xf bank_mask:0xf bound_ctrl:1
	v_add_f32_e32 v24, v99, v24
	v_cvt_i32_f32_e32 v27, v24
	v_add_f32_e32 v23, v23, v25
	v_cvt_i32_f32_e32 v25, v98
	v_cvt_i32_f32_e32 v28, v23
	v_cvt_f32_i32_dpp v27, v27 row_shr:4 row_mask:0xf bank_mask:0xf bound_ctrl:1
	v_add_f32_e32 v21, v21, v26
	v_cvt_f32_i32_dpp v25, v25 row_shr:8 row_mask:0xf bank_mask:0xf bound_ctrl:1
	v_cvt_f32_i32_dpp v26, v28 row_shr:1 row_mask:0xf bank_mask:0xf bound_ctrl:1
	v_add_f32_e32 v24, v24, v27
	v_cvt_i32_f32_e32 v27, v24
	v_add_f32_e32 v25, v98, v25
	v_cvt_i32_f32_e32 v28, v25
	v_add_f32_e32 v23, v23, v26
	v_cvt_f32_i32_dpp v27, v27 row_shr:2 row_mask:0xf bank_mask:0xf bound_ctrl:1
	v_cvt_i32_f32_e32 v29, v21
	v_cvt_f32_i32_dpp v26, v28 row_shr:4 row_mask:0xf bank_mask:0xf bound_ctrl:1
	v_cvt_i32_f32_e32 v28, v23
	v_add_f32_e32 v24, v24, v27
	v_cvt_i32_f32_e32 v27, v24
	v_add_f32_e32 v25, v25, v26
	v_cvt_i32_f32_e32 v26, v25
	v_cvt_f32_i32_dpp v30, v28 row_bcast:15 row_mask:0xf bank_mask:0xf bound_ctrl:1
	v_cvt_f32_i32_dpp v27, v27 row_shr:1 row_mask:0xf bank_mask:0xf bound_ctrl:1
	v_mov_b32_dpp v28, v29 row_bcast:31 row_mask:0xf bank_mask:0xf bound_ctrl:1
	v_cvt_f32_i32_dpp v26, v26 row_shr:2 row_mask:0xf bank_mask:0xf bound_ctrl:1
	v_add_f32_e32 v23, v23, v30
	v_add_f32_e32 v24, v24, v27
	v_cvt_i32_f32_e32 v27, v81
	v_add_f32_e32 v25, v25, v26
	v_cvt_i32_f32_e32 v26, v25
	v_cvt_i32_f32_e32 v29, v24
	v_cvt_f32_i32_dpp v27, v27 row_shr:8 row_mask:0xf bank_mask:0xf bound_ctrl:1
	v_cvt_i32_f32_e32 v30, v23
	v_cvt_f32_i32_dpp v26, v26 row_shr:1 row_mask:0xf bank_mask:0xf bound_ctrl:1
	v_cvt_f32_i32_dpp v29, v29 row_bcast:15 row_mask:0xf bank_mask:0xf bound_ctrl:1
	v_add_f32_e32 v27, v81, v27
	v_cvt_i32_f32_e32 v31, v27
	v_add_f32_e32 v25, v25, v26
	v_cvt_i32_f32_e32 v26, v25
	v_add_f32_e32 v24, v24, v29
	v_cvt_f32_i32_dpp v31, v31 row_shr:4 row_mask:0xf bank_mask:0xf bound_ctrl:1
	v_cvt_i32_f32_e32 v29, v79
	v_cvt_f32_i32_dpp v26, v26 row_bcast:15 row_mask:0xf bank_mask:0xf bound_ctrl:1
	v_cvt_i32_f32_e32 v32, v24
	v_add_f32_e32 v27, v27, v31
	v_cvt_i32_f32_e32 v31, v27
	v_cvt_f32_i32_dpp v29, v29 row_shr:8 row_mask:0xf bank_mask:0xf bound_ctrl:1
	v_add_f32_e32 v25, v25, v26
	v_mov_b32_dpp v30, v30 row_bcast:31 row_mask:0xf bank_mask:0xf bound_ctrl:1
	v_cvt_f32_i32_dpp v26, v31 row_shr:2 row_mask:0xf bank_mask:0xf bound_ctrl:1
	v_add_f32_e32 v29, v79, v29
	v_cvt_i32_f32_e32 v33, v29
	v_cvt_i32_f32_e32 v31, v25
	v_add_f32_e32 v26, v27, v26
	v_cvt_i32_f32_e32 v34, v26
	v_cvt_f32_i32_dpp v33, v33 row_shr:4 row_mask:0xf bank_mask:0xf bound_ctrl:1
	v_mov_b32_dpp v27, v31 row_bcast:31 row_mask:0xf bank_mask:0xf bound_ctrl:1
	v_mov_b32_dpp v32, v32 row_bcast:31 row_mask:0xf bank_mask:0xf bound_ctrl:1
	v_cvt_f32_i32_dpp v31, v34 row_shr:1 row_mask:0xf bank_mask:0xf bound_ctrl:1
	v_cvt_i32_f32_e32 v34, v77
	v_add_f32_e32 v29, v29, v33
	v_cvt_i32_f32_e32 v33, v71
	v_add_f32_e32 v26, v26, v31
	v_cvt_f32_i32_dpp v34, v34 row_shr:8 row_mask:0xf bank_mask:0xf bound_ctrl:1
	v_cvt_i32_f32_e32 v35, v29
	v_cvt_f32_i32_dpp v31, v33 row_shr:8 row_mask:0xf bank_mask:0xf bound_ctrl:1
	v_cvt_i32_f32_e32 v37, v26
	v_add_f32_e32 v34, v77, v34
	v_cvt_f32_i32_dpp v33, v35 row_shr:2 row_mask:0xf bank_mask:0xf bound_ctrl:1
	v_add_f32_e32 v31, v71, v31
	v_cvt_i32_f32_e32 v35, v34
	v_cvt_i32_f32_e32 v36, v31
	v_add_f32_e32 v29, v29, v33
	v_cvt_f32_i32_dpp v37, v37 row_bcast:15 row_mask:0xf bank_mask:0xf bound_ctrl:1
	v_cvt_f32_i32_dpp v35, v35 row_shr:4 row_mask:0xf bank_mask:0xf bound_ctrl:1
	v_cvt_f32_i32_dpp v33, v36 row_shr:4 row_mask:0xf bank_mask:0xf bound_ctrl:1
	v_cvt_i32_f32_e32 v36, v29
	v_add_f32_e32 v34, v34, v35
	v_add_f32_e32 v31, v31, v33
	v_cvt_i32_f32_e32 v35, v34
	v_cvt_i32_f32_e32 v33, v31
	v_cvt_f32_i32_dpp v36, v36 row_shr:1 row_mask:0xf bank_mask:0xf bound_ctrl:1
	v_cvt_f32_i32_dpp v35, v35 row_shr:2 row_mask:0xf bank_mask:0xf bound_ctrl:1
	;; [unrolled: 1-line block ×3, first 2 shown]
	v_add_f32_e32 v29, v29, v36
	v_cvt_i32_f32_e32 v36, v29
	v_add_f32_e32 v34, v34, v35
	v_add_f32_e32 v31, v31, v33
	v_cvt_i32_f32_e32 v35, v34
	v_cvt_i32_f32_e32 v33, v31
	s_waitcnt vmcnt(0)
	v_cvt_f32_i32_dpp v38, v35 row_shr:1 row_mask:0xf bank_mask:0xf bound_ctrl:1
	v_add_f32_e32 v35, v26, v37
	v_cvt_f32_i32_dpp v26, v33 row_shr:1 row_mask:0xf bank_mask:0xf bound_ctrl:1
	v_cvt_f32_i32_dpp v33, v36 row_bcast:15 row_mask:0xf bank_mask:0xf bound_ctrl:1
	v_add_f32_e32 v36, v34, v38
	v_cvt_i32_f32_e32 v34, v36
	v_add_f32_e32 v26, v31, v26
	v_cvt_i32_f32_e32 v31, v26
	v_cvt_i32_f32_e32 v37, v35
	v_cvt_f32_i32_dpp v38, v34 row_bcast:15 row_mask:0xf bank_mask:0xf bound_ctrl:1
	v_add_f32_e32 v34, v29, v33
	v_cvt_f32_i32_dpp v29, v31 row_bcast:15 row_mask:0xf bank_mask:0xf bound_ctrl:1
	v_cvt_i32_f32_e32 v33, v34
	v_add_f32_e32 v31, v36, v38
	v_cvt_i32_f32_e32 v38, v31
	v_add_f32_e32 v26, v26, v29
	v_cvt_i32_f32_e32 v29, v26
	v_mov_b32_dpp v37, v37 row_bcast:31 row_mask:0xf bank_mask:0xf bound_ctrl:1
	v_mov_b32_dpp v36, v33 row_bcast:31 row_mask:0xf bank_mask:0xf bound_ctrl:1
	;; [unrolled: 1-line block ×4, first 2 shown]
	s_and_saveexec_b64 s[30:31], s[0:1]
	s_cbranch_execz .LBB111_78
; %bb.59:                               ;   in Loop: Header=BB111_19 Depth=1
	s_andn2_b64 vcc, exec, s[26:27]
	v_mov_b32_e32 v53, 0
	v_mov_b32_e32 v52, 0
	;; [unrolled: 1-line block ×16, first 2 shown]
	s_cbranch_vccnz .LBB111_61
; %bb.60:                               ;   in Loop: Header=BB111_19 Depth=1
	v_mul_hi_u32 v38, v70, v1
	v_mul_lo_u32 v38, v38, s20
	v_sub_u32_e32 v38, v70, v38
	v_subrev_u32_e32 v39, s20, v38
	v_cmp_le_u32_e32 vcc, s20, v38
	v_mul_hi_u32 v40, v80, v1
	v_mul_lo_u32 v40, v40, s20
	v_cndmask_b32_e32 v38, v38, v39, vcc
	v_subrev_u32_e32 v39, s20, v38
	v_cmp_le_u32_e32 vcc, s20, v38
	v_sub_u32_e32 v40, v80, v40
	v_subrev_u32_e32 v41, s20, v40
	v_cndmask_b32_e32 v72, v38, v39, vcc
	v_cmp_le_u32_e32 vcc, s20, v40
	v_mov_b32_e32 v45, v73
	v_lshl_add_u64 v[38:39], v[72:73], 1, s[16:17]
	v_cndmask_b32_e32 v40, v40, v41, vcc
	v_subrev_u32_e32 v41, s20, v40
	v_cmp_le_u32_e32 vcc, s20, v40
	v_mov_b32_e32 v55, v73
	v_mov_b32_e32 v59, v73
	v_cndmask_b32_e32 v40, v40, v41, vcc
	v_mov_b32_e32 v41, v73
	v_lshl_add_u64 v[42:43], v[40:41], 1, s[16:17]
	v_mul_hi_u32 v41, v78, v1
	v_mul_lo_u32 v41, v41, s20
	v_sub_u32_e32 v41, v78, v41
	v_subrev_u32_e32 v44, s20, v41
	v_cmp_le_u32_e32 vcc, s20, v41
	s_nop 1
	v_cndmask_b32_e32 v41, v41, v44, vcc
	v_subrev_u32_e32 v44, s20, v41
	v_cmp_le_u32_e32 vcc, s20, v41
	s_nop 1
	v_cndmask_b32_e32 v54, v41, v44, vcc
	v_mul_hi_u32 v41, v76, v1
	v_mul_lo_u32 v41, v41, s20
	v_sub_u32_e32 v41, v76, v41
	v_subrev_u32_e32 v44, s20, v41
	v_cmp_le_u32_e32 vcc, s20, v41
	v_lshl_add_u64 v[56:57], v[54:55], 1, s[16:17]
	s_nop 0
	v_cndmask_b32_e32 v41, v41, v44, vcc
	v_subrev_u32_e32 v44, s20, v41
	v_cmp_le_u32_e32 vcc, s20, v41
	s_nop 1
	v_cndmask_b32_e32 v58, v41, v44, vcc
	v_add_u32_e32 v44, s39, v72
	v_lshl_add_u64 v[62:63], v[44:45], 1, s[16:17]
	v_add_u32_e32 v44, s39, v40
	v_lshl_add_u64 v[64:65], v[44:45], 1, s[16:17]
	;; [unrolled: 2-line block ×4, first 2 shown]
	v_lshl_add_u64 v[68:69], v[44:45], 1, s[16:17]
	global_load_ushort v53, v[38:39], off
	global_load_ushort v52, v[42:43], off
	;; [unrolled: 1-line block ×8, first 2 shown]
	v_add_u32_e32 v38, s40, v72
	v_mov_b32_e32 v39, v73
	v_add_u32_e32 v72, s41, v72
	v_lshl_add_u64 v[56:57], v[38:39], 1, s[16:17]
	v_add_u32_e32 v38, s40, v40
	v_lshl_add_u64 v[66:67], v[72:73], 1, s[16:17]
	;; [unrolled: 2-line block ×7, first 2 shown]
	v_lshl_add_u64 v[58:59], v[72:73], 1, s[16:17]
	global_load_ushort v47, v[56:57], off
	global_load_ushort v45, v[60:61], off
	;; [unrolled: 1-line block ×8, first 2 shown]
.LBB111_61:                             ;   in Loop: Header=BB111_19 Depth=1
	v_cmp_ne_u32_e32 vcc, 0, v2
	s_and_saveexec_b64 s[4:5], vcc
	s_cbranch_execnz .LBB111_83
; %bb.62:                               ;   in Loop: Header=BB111_19 Depth=1
	s_or_b64 exec, exec, s[4:5]
	v_cmp_ne_u32_e64 s[4:5], 0, v3
	s_and_saveexec_b64 s[6:7], s[4:5]
	s_cbranch_execnz .LBB111_84
.LBB111_63:                             ;   in Loop: Header=BB111_19 Depth=1
	s_or_b64 exec, exec, s[6:7]
	v_cmp_ne_u32_e64 s[6:7], 0, v4
	s_and_saveexec_b64 s[8:9], s[6:7]
	s_cbranch_execnz .LBB111_85
.LBB111_64:                             ;   in Loop: Header=BB111_19 Depth=1
	s_or_b64 exec, exec, s[8:9]
	v_cmp_ne_u32_e64 s[8:9], 0, v5
	s_and_saveexec_b64 s[34:35], s[8:9]
	s_cbranch_execnz .LBB111_86
.LBB111_65:                             ;   in Loop: Header=BB111_19 Depth=1
	s_or_b64 exec, exec, s[34:35]
	v_add_u32_e32 v72, s15, v70
	s_and_saveexec_b64 s[34:35], vcc
	s_cbranch_execnz .LBB111_87
.LBB111_66:                             ;   in Loop: Header=BB111_19 Depth=1
	s_or_b64 exec, exec, s[34:35]
	s_and_saveexec_b64 s[34:35], s[4:5]
	s_cbranch_execnz .LBB111_88
.LBB111_67:                             ;   in Loop: Header=BB111_19 Depth=1
	s_or_b64 exec, exec, s[34:35]
	s_and_saveexec_b64 s[34:35], s[6:7]
	s_cbranch_execnz .LBB111_89
.LBB111_68:                             ;   in Loop: Header=BB111_19 Depth=1
	s_or_b64 exec, exec, s[34:35]
	s_and_saveexec_b64 s[34:35], s[8:9]
	s_cbranch_execnz .LBB111_90
.LBB111_69:                             ;   in Loop: Header=BB111_19 Depth=1
	s_or_b64 exec, exec, s[34:35]
	v_add_u32_e32 v72, s15, v72
	s_and_saveexec_b64 s[34:35], vcc
	s_cbranch_execnz .LBB111_91
.LBB111_70:                             ;   in Loop: Header=BB111_19 Depth=1
	s_or_b64 exec, exec, s[34:35]
	s_and_saveexec_b64 s[34:35], s[4:5]
	s_cbranch_execnz .LBB111_92
.LBB111_71:                             ;   in Loop: Header=BB111_19 Depth=1
	s_or_b64 exec, exec, s[34:35]
	s_and_saveexec_b64 s[34:35], s[6:7]
	s_cbranch_execnz .LBB111_93
.LBB111_72:                             ;   in Loop: Header=BB111_19 Depth=1
	s_or_b64 exec, exec, s[34:35]
	s_and_saveexec_b64 s[34:35], s[8:9]
	s_cbranch_execnz .LBB111_94
.LBB111_73:                             ;   in Loop: Header=BB111_19 Depth=1
	s_or_b64 exec, exec, s[34:35]
	v_add_u32_e32 v72, s15, v72
	s_and_saveexec_b64 s[34:35], vcc
	s_cbranch_execnz .LBB111_95
.LBB111_74:                             ;   in Loop: Header=BB111_19 Depth=1
	s_or_b64 exec, exec, s[34:35]
	s_and_saveexec_b64 s[34:35], s[4:5]
	s_cbranch_execnz .LBB111_96
.LBB111_75:                             ;   in Loop: Header=BB111_19 Depth=1
	s_or_b64 exec, exec, s[34:35]
	s_and_saveexec_b64 s[4:5], s[6:7]
	s_cbranch_execnz .LBB111_97
.LBB111_76:                             ;   in Loop: Header=BB111_19 Depth=1
	s_or_b64 exec, exec, s[4:5]
	s_and_b64 exec, exec, s[8:9]
	s_cbranch_execz .LBB111_78
.LBB111_77:                             ;   in Loop: Header=BB111_19 Depth=1
	v_cvt_f32_i32_e32 v6, v29
	s_waitcnt vmcnt(0)
	v_cvt_f32_f16_e32 v7, v38
	v_add_u32_e32 v72, 3, v72
	v_add_f32_e32 v6, v26, v6
	v_add_f32_e32 v6, v6, v7
	v_cvt_f16_f32_e32 v8, v6
	v_lshl_add_u64 v[6:7], v[72:73], 1, s[18:19]
	global_store_short v[6:7], v8, off
.LBB111_78:                             ;   in Loop: Header=BB111_19 Depth=1
	s_or_b64 exec, exec, s[30:31]
	v_add_u32_e32 v70, s38, v70
	v_add_u32_e32 v6, 4, v70
	v_cmp_gt_u32_e32 vcc, s15, v70
	v_cmp_le_u32_e64 s[4:5], s15, v6
	s_and_b64 s[4:5], vcc, s[4:5]
	s_and_saveexec_b64 s[6:7], s[4:5]
	s_cbranch_execz .LBB111_18
; %bb.79:                               ;   in Loop: Header=BB111_19 Depth=1
	v_cmp_ne_u32_e32 vcc, s21, v70
	s_and_saveexec_b64 s[8:9], vcc
	s_cbranch_execz .LBB111_17
; %bb.80:                               ;   in Loop: Header=BB111_19 Depth=1
	v_subrev_u32_e32 v6, s21, v70
	v_cmp_lt_u32_e32 vcc, 1, v6
	s_mov_b64 s[30:31], 0
	s_mov_b64 s[34:35], 0
	v_cndmask_b32_e32 v6, 1, v6, vcc
.LBB111_81:                             ;   Parent Loop BB111_19 Depth=1
                                        ; =>  This Inner Loop Header: Depth=2
	s_cmp_lg_u32 s34, 3
	s_cselect_b64 vcc, -1, 0
	s_cmp_lg_u32 s34, 2
	v_cndmask_b32_e32 v5, 0, v5, vcc
	s_cselect_b64 vcc, -1, 0
	s_cmp_lg_u32 s34, 1
	v_cndmask_b32_e32 v4, 0, v4, vcc
	;; [unrolled: 3-line block ×3, first 2 shown]
	s_cselect_b64 vcc, -1, 0
	s_add_u32 s34, s34, 1
	s_addc_u32 s35, s35, 0
	v_cmp_eq_u32_e64 s[4:5], s34, v6
	s_or_b64 s[30:31], s[4:5], s[30:31]
	v_cndmask_b32_e32 v2, 0, v2, vcc
	s_andn2_b64 exec, exec, s[30:31]
	s_cbranch_execnz .LBB111_81
; %bb.82:                               ;   in Loop: Header=BB111_19 Depth=1
	s_or_b64 exec, exec, s[30:31]
	s_branch .LBB111_17
.LBB111_83:                             ;   in Loop: Header=BB111_19 Depth=1
	v_cvt_f32_i32_e32 v11, v11
	s_waitcnt vmcnt(15)
	v_cvt_f32_f16_e32 v53, v53
	v_mov_b32_e32 v71, v73
	v_lshl_add_u64 v[54:55], v[70:71], 1, s[18:19]
	v_add_f32_e32 v8, v8, v11
	v_add_f32_e32 v8, v8, v53
	v_cvt_f16_f32_e32 v8, v8
	global_store_short v[54:55], v8, off
	s_or_b64 exec, exec, s[4:5]
	v_cmp_ne_u32_e64 s[4:5], 0, v3
	s_and_saveexec_b64 s[6:7], s[4:5]
	s_cbranch_execz .LBB111_63
.LBB111_84:                             ;   in Loop: Header=BB111_19 Depth=1
	v_cvt_f32_i32_e32 v8, v10
	s_waitcnt vmcnt(14)
	v_cvt_f32_f16_e32 v10, v52
	v_mov_b32_e32 v81, v73
	v_add_f32_e32 v6, v6, v8
	v_add_f32_e32 v6, v6, v10
	v_cvt_f16_f32_e32 v6, v6
	v_lshl_add_u64 v[10:11], v[80:81], 1, s[18:19]
	global_store_short v[10:11], v6, off
	s_or_b64 exec, exec, s[6:7]
	v_cmp_ne_u32_e64 s[6:7], 0, v4
	s_and_saveexec_b64 s[8:9], s[6:7]
	s_cbranch_execz .LBB111_64
.LBB111_85:                             ;   in Loop: Header=BB111_19 Depth=1
	v_cvt_f32_i32_e32 v6, v13
	s_waitcnt vmcnt(13)
	v_cvt_f32_f16_e32 v8, v51
	v_mov_b32_e32 v79, v73
	v_add_f32_e32 v6, v7, v6
	v_add_f32_e32 v6, v6, v8
	v_cvt_f16_f32_e32 v8, v6
	v_lshl_add_u64 v[6:7], v[78:79], 1, s[18:19]
	global_store_short v[6:7], v8, off
	s_or_b64 exec, exec, s[8:9]
	v_cmp_ne_u32_e64 s[8:9], 0, v5
	s_and_saveexec_b64 s[34:35], s[8:9]
	s_cbranch_execz .LBB111_65
.LBB111_86:                             ;   in Loop: Header=BB111_19 Depth=1
	v_cvt_f32_i32_e32 v6, v15
	s_waitcnt vmcnt(12)
	v_cvt_f32_f16_e32 v7, v50
	v_mov_b32_e32 v77, v73
	v_add_f32_e32 v6, v9, v6
	v_add_f32_e32 v6, v6, v7
	v_cvt_f16_f32_e32 v8, v6
	v_lshl_add_u64 v[6:7], v[76:77], 1, s[18:19]
	global_store_short v[6:7], v8, off
	s_or_b64 exec, exec, s[34:35]
	v_add_u32_e32 v72, s15, v70
	s_and_saveexec_b64 s[34:35], vcc
	s_cbranch_execz .LBB111_66
.LBB111_87:                             ;   in Loop: Header=BB111_19 Depth=1
	v_cvt_f32_i32_e32 v6, v18
	s_waitcnt vmcnt(11)
	v_cvt_f32_f16_e32 v7, v49
	v_add_f32_e32 v6, v12, v6
	v_add_f32_e32 v6, v6, v7
	v_cvt_f16_f32_e32 v8, v6
	v_lshl_add_u64 v[6:7], v[72:73], 1, s[18:19]
	global_store_short v[6:7], v8, off
	s_or_b64 exec, exec, s[34:35]
	s_and_saveexec_b64 s[34:35], s[4:5]
	s_cbranch_execz .LBB111_67
.LBB111_88:                             ;   in Loop: Header=BB111_19 Depth=1
	v_cvt_f32_i32_e32 v6, v19
	s_waitcnt vmcnt(10)
	v_cvt_f32_f16_e32 v7, v48
	v_add_f32_e32 v6, v14, v6
	v_add_f32_e32 v6, v6, v7
	v_cvt_f16_f32_e32 v8, v6
	v_add_u32_e32 v6, 1, v72
	v_mov_b32_e32 v7, v73
	v_lshl_add_u64 v[6:7], v[6:7], 1, s[18:19]
	global_store_short v[6:7], v8, off
	s_or_b64 exec, exec, s[34:35]
	s_and_saveexec_b64 s[34:35], s[6:7]
	s_cbranch_execz .LBB111_68
.LBB111_89:                             ;   in Loop: Header=BB111_19 Depth=1
	v_cvt_f32_i32_e32 v6, v20
	s_waitcnt vmcnt(9)
	v_cvt_f32_f16_e32 v7, v46
	v_add_f32_e32 v6, v16, v6
	v_add_f32_e32 v6, v6, v7
	v_cvt_f16_f32_e32 v8, v6
	v_add_u32_e32 v6, 2, v72
	v_mov_b32_e32 v7, v73
	v_lshl_add_u64 v[6:7], v[6:7], 1, s[18:19]
	global_store_short v[6:7], v8, off
	s_or_b64 exec, exec, s[34:35]
	s_and_saveexec_b64 s[34:35], s[8:9]
	s_cbranch_execz .LBB111_69
.LBB111_90:                             ;   in Loop: Header=BB111_19 Depth=1
	v_cvt_f32_i32_e32 v6, v22
	s_waitcnt vmcnt(8)
	v_cvt_f32_f16_e32 v7, v44
	v_add_f32_e32 v6, v17, v6
	v_add_f32_e32 v6, v6, v7
	v_cvt_f16_f32_e32 v8, v6
	v_add_u32_e32 v6, 3, v72
	v_mov_b32_e32 v7, v73
	v_lshl_add_u64 v[6:7], v[6:7], 1, s[18:19]
	global_store_short v[6:7], v8, off
	s_or_b64 exec, exec, s[34:35]
	v_add_u32_e32 v72, s15, v72
	s_and_saveexec_b64 s[34:35], vcc
	s_cbranch_execz .LBB111_70
.LBB111_91:                             ;   in Loop: Header=BB111_19 Depth=1
	v_cvt_f32_i32_e32 v6, v28
	s_waitcnt vmcnt(7)
	v_cvt_f32_f16_e32 v7, v47
	v_add_f32_e32 v6, v21, v6
	v_add_f32_e32 v6, v6, v7
	v_cvt_f16_f32_e32 v8, v6
	v_lshl_add_u64 v[6:7], v[72:73], 1, s[18:19]
	global_store_short v[6:7], v8, off
	s_or_b64 exec, exec, s[34:35]
	s_and_saveexec_b64 s[34:35], s[4:5]
	s_cbranch_execz .LBB111_71
.LBB111_92:                             ;   in Loop: Header=BB111_19 Depth=1
	v_cvt_f32_i32_e32 v6, v30
	s_waitcnt vmcnt(6)
	v_cvt_f32_f16_e32 v7, v45
	v_add_f32_e32 v6, v23, v6
	v_add_f32_e32 v6, v6, v7
	v_cvt_f16_f32_e32 v8, v6
	v_add_u32_e32 v6, 1, v72
	v_mov_b32_e32 v7, v73
	v_lshl_add_u64 v[6:7], v[6:7], 1, s[18:19]
	global_store_short v[6:7], v8, off
	s_or_b64 exec, exec, s[34:35]
	s_and_saveexec_b64 s[34:35], s[6:7]
	s_cbranch_execz .LBB111_72
.LBB111_93:                             ;   in Loop: Header=BB111_19 Depth=1
	v_cvt_f32_i32_e32 v6, v32
	s_waitcnt vmcnt(5)
	v_cvt_f32_f16_e32 v7, v43
	v_add_f32_e32 v6, v24, v6
	v_add_f32_e32 v6, v6, v7
	v_cvt_f16_f32_e32 v8, v6
	v_add_u32_e32 v6, 2, v72
	v_mov_b32_e32 v7, v73
	v_lshl_add_u64 v[6:7], v[6:7], 1, s[18:19]
	global_store_short v[6:7], v8, off
	s_or_b64 exec, exec, s[34:35]
	s_and_saveexec_b64 s[34:35], s[8:9]
	s_cbranch_execz .LBB111_73
.LBB111_94:                             ;   in Loop: Header=BB111_19 Depth=1
	v_cvt_f32_i32_e32 v6, v27
	s_waitcnt vmcnt(4)
	v_cvt_f32_f16_e32 v7, v42
	v_add_f32_e32 v6, v25, v6
	v_add_f32_e32 v6, v6, v7
	v_cvt_f16_f32_e32 v8, v6
	v_add_u32_e32 v6, 3, v72
	v_mov_b32_e32 v7, v73
	v_lshl_add_u64 v[6:7], v[6:7], 1, s[18:19]
	global_store_short v[6:7], v8, off
	s_or_b64 exec, exec, s[34:35]
	v_add_u32_e32 v72, s15, v72
	s_and_saveexec_b64 s[34:35], vcc
	s_cbranch_execz .LBB111_74
.LBB111_95:                             ;   in Loop: Header=BB111_19 Depth=1
	v_cvt_f32_i32_e32 v6, v37
	s_waitcnt vmcnt(3)
	v_cvt_f32_f16_e32 v7, v41
	v_add_f32_e32 v6, v35, v6
	v_add_f32_e32 v6, v6, v7
	v_cvt_f16_f32_e32 v8, v6
	v_lshl_add_u64 v[6:7], v[72:73], 1, s[18:19]
	global_store_short v[6:7], v8, off
	s_or_b64 exec, exec, s[34:35]
	s_and_saveexec_b64 s[34:35], s[4:5]
	s_cbranch_execz .LBB111_75
.LBB111_96:                             ;   in Loop: Header=BB111_19 Depth=1
	v_cvt_f32_i32_e32 v6, v36
	s_waitcnt vmcnt(2)
	v_cvt_f32_f16_e32 v7, v40
	v_add_f32_e32 v6, v34, v6
	v_add_f32_e32 v6, v6, v7
	v_cvt_f16_f32_e32 v8, v6
	v_add_u32_e32 v6, 1, v72
	v_mov_b32_e32 v7, v73
	v_lshl_add_u64 v[6:7], v[6:7], 1, s[18:19]
	global_store_short v[6:7], v8, off
	s_or_b64 exec, exec, s[34:35]
	s_and_saveexec_b64 s[4:5], s[6:7]
	s_cbranch_execz .LBB111_76
.LBB111_97:                             ;   in Loop: Header=BB111_19 Depth=1
	v_cvt_f32_i32_e32 v6, v33
	s_waitcnt vmcnt(1)
	v_cvt_f32_f16_e32 v7, v39
	v_add_f32_e32 v6, v31, v6
	v_add_f32_e32 v6, v6, v7
	v_cvt_f16_f32_e32 v8, v6
	v_add_u32_e32 v6, 2, v72
	v_mov_b32_e32 v7, v73
	v_lshl_add_u64 v[6:7], v[6:7], 1, s[18:19]
	global_store_short v[6:7], v8, off
	s_or_b64 exec, exec, s[4:5]
	s_and_b64 exec, exec, s[8:9]
	s_cbranch_execnz .LBB111_77
	s_branch .LBB111_78
.LBB111_98:
	s_endpgm
	.section	.rodata,"a",@progbits
	.p2align	6, 0x0
	.amdhsa_kernel _Z12wvSplitK_hf_I6__halfLi32ELi4ELi16ELi8ELi2ELi4EEviiiiiiPKT_S3_S3_PS1_ii
		.amdhsa_group_segment_fixed_size 65536
		.amdhsa_private_segment_fixed_size 0
		.amdhsa_kernarg_size 64
		.amdhsa_user_sgpr_count 2
		.amdhsa_user_sgpr_dispatch_ptr 0
		.amdhsa_user_sgpr_queue_ptr 0
		.amdhsa_user_sgpr_kernarg_segment_ptr 1
		.amdhsa_user_sgpr_dispatch_id 0
		.amdhsa_user_sgpr_kernarg_preload_length 0
		.amdhsa_user_sgpr_kernarg_preload_offset 0
		.amdhsa_user_sgpr_private_segment_size 0
		.amdhsa_uses_dynamic_stack 0
		.amdhsa_enable_private_segment 0
		.amdhsa_system_sgpr_workgroup_id_x 1
		.amdhsa_system_sgpr_workgroup_id_y 0
		.amdhsa_system_sgpr_workgroup_id_z 0
		.amdhsa_system_sgpr_workgroup_info 0
		.amdhsa_system_vgpr_workitem_id 1
		.amdhsa_next_free_vgpr 111
		.amdhsa_next_free_sgpr 44
		.amdhsa_accum_offset 112
		.amdhsa_reserve_vcc 1
		.amdhsa_float_round_mode_32 0
		.amdhsa_float_round_mode_16_64 0
		.amdhsa_float_denorm_mode_32 3
		.amdhsa_float_denorm_mode_16_64 3
		.amdhsa_dx10_clamp 1
		.amdhsa_ieee_mode 1
		.amdhsa_fp16_overflow 0
		.amdhsa_tg_split 0
		.amdhsa_exception_fp_ieee_invalid_op 0
		.amdhsa_exception_fp_denorm_src 0
		.amdhsa_exception_fp_ieee_div_zero 0
		.amdhsa_exception_fp_ieee_overflow 0
		.amdhsa_exception_fp_ieee_underflow 0
		.amdhsa_exception_fp_ieee_inexact 0
		.amdhsa_exception_int_div_zero 0
	.end_amdhsa_kernel
	.section	.text._Z12wvSplitK_hf_I6__halfLi32ELi4ELi16ELi8ELi2ELi4EEviiiiiiPKT_S3_S3_PS1_ii,"axG",@progbits,_Z12wvSplitK_hf_I6__halfLi32ELi4ELi16ELi8ELi2ELi4EEviiiiiiPKT_S3_S3_PS1_ii,comdat
.Lfunc_end111:
	.size	_Z12wvSplitK_hf_I6__halfLi32ELi4ELi16ELi8ELi2ELi4EEviiiiiiPKT_S3_S3_PS1_ii, .Lfunc_end111-_Z12wvSplitK_hf_I6__halfLi32ELi4ELi16ELi8ELi2ELi4EEviiiiiiPKT_S3_S3_PS1_ii
                                        ; -- End function
	.section	.AMDGPU.csdata,"",@progbits
; Kernel info:
; codeLenInByte = 6716
; NumSgprs: 50
; NumVgprs: 111
; NumAgprs: 0
; TotalNumVgprs: 111
; ScratchSize: 0
; MemoryBound: 1
; FloatMode: 240
; IeeeMode: 1
; LDSByteSize: 65536 bytes/workgroup (compile time only)
; SGPRBlocks: 6
; VGPRBlocks: 13
; NumSGPRsForWavesPerEU: 50
; NumVGPRsForWavesPerEU: 111
; AccumOffset: 112
; Occupancy: 2
; WaveLimiterHint : 0
; COMPUTE_PGM_RSRC2:SCRATCH_EN: 0
; COMPUTE_PGM_RSRC2:USER_SGPR: 2
; COMPUTE_PGM_RSRC2:TRAP_HANDLER: 0
; COMPUTE_PGM_RSRC2:TGID_X_EN: 1
; COMPUTE_PGM_RSRC2:TGID_Y_EN: 0
; COMPUTE_PGM_RSRC2:TGID_Z_EN: 0
; COMPUTE_PGM_RSRC2:TIDIG_COMP_CNT: 1
; COMPUTE_PGM_RSRC3_GFX90A:ACCUM_OFFSET: 27
; COMPUTE_PGM_RSRC3_GFX90A:TG_SPLIT: 0
	.section	.text._Z16wvSplitK_hf_big_I6__halfLi32ELi4ELi16ELi8ELi2ELi4EEviiiiiiPKT_S3_S3_PS1_ii,"axG",@progbits,_Z16wvSplitK_hf_big_I6__halfLi32ELi4ELi16ELi8ELi2ELi4EEviiiiiiPKT_S3_S3_PS1_ii,comdat
	.protected	_Z16wvSplitK_hf_big_I6__halfLi32ELi4ELi16ELi8ELi2ELi4EEviiiiiiPKT_S3_S3_PS1_ii ; -- Begin function _Z16wvSplitK_hf_big_I6__halfLi32ELi4ELi16ELi8ELi2ELi4EEviiiiiiPKT_S3_S3_PS1_ii
	.globl	_Z16wvSplitK_hf_big_I6__halfLi32ELi4ELi16ELi8ELi2ELi4EEviiiiiiPKT_S3_S3_PS1_ii
	.p2align	8
	.type	_Z16wvSplitK_hf_big_I6__halfLi32ELi4ELi16ELi8ELi2ELi4EEviiiiiiPKT_S3_S3_PS1_ii,@function
_Z16wvSplitK_hf_big_I6__halfLi32ELi4ELi16ELi8ELi2ELi4EEviiiiiiPKT_S3_S3_PS1_ii: ; @_Z16wvSplitK_hf_big_I6__halfLi32ELi4ELi16ELi8ELi2ELi4EEviiiiiiPKT_S3_S3_PS1_ii
; %bb.0:
	s_load_dwordx2 s[8:9], s[0:1], 0x38
	v_bfe_u32 v7, v0, 10, 10
	s_waitcnt lgkmcnt(0)
	v_cmp_gt_u32_e32 vcc, s8, v7
	s_and_saveexec_b64 s[4:5], vcc
	s_cbranch_execz .LBB112_72
; %bb.1:
	s_load_dwordx4 s[20:23], s[0:1], 0x0
	s_mul_i32 s2, s2, s8
	v_add_lshl_u32 v70, s2, v7, 2
	s_mov_b32 s4, 1
	v_add_u32_e32 v1, 4, v70
	s_mov_b32 s5, s4
	s_waitcnt lgkmcnt(0)
	v_cmp_gt_u32_e32 vcc, s23, v70
	v_cmp_le_u32_e64 s[2:3], s23, v1
	s_mov_b32 s6, s4
	s_mov_b32 s7, s4
	v_mov_b64_e32 v[2:3], s[4:5]
	s_and_b64 s[10:11], vcc, s[2:3]
	v_mov_b64_e32 v[4:5], s[6:7]
	s_and_saveexec_b64 s[2:3], s[10:11]
	s_cbranch_execz .LBB112_7
; %bb.2:
	s_add_i32 s16, s23, -4
	v_mov_b64_e32 v[2:3], s[4:5]
	v_cmp_ne_u32_e32 vcc, s16, v70
	v_mov_b64_e32 v[4:5], s[6:7]
	s_and_saveexec_b64 s[10:11], vcc
	s_cbranch_execz .LBB112_6
; %bb.3:
	v_subrev_u32_e32 v1, s16, v70
	v_cmp_lt_u32_e32 vcc, 1, v1
	s_mov_b64 s[12:13], 0
	s_mov_b64 s[14:15], 0
	v_cndmask_b32_e32 v6, 1, v1, vcc
	s_mov_b32 s5, s4
	s_mov_b32 s6, s4
	;; [unrolled: 1-line block ×3, first 2 shown]
.LBB112_4:                              ; =>This Inner Loop Header: Depth=1
	s_cmp_lg_u32 s14, 3
	s_cselect_b32 s7, s7, 0
	s_cmp_lg_u32 s14, 2
	s_cselect_b32 s6, s6, 0
	;; [unrolled: 2-line block ×4, first 2 shown]
	s_add_u32 s14, s14, 1
	s_addc_u32 s15, s15, 0
	v_cmp_eq_u32_e32 vcc, s14, v6
	v_mov_b64_e32 v[2:3], s[4:5]
	s_or_b64 s[12:13], vcc, s[12:13]
	v_mov_b64_e32 v[4:5], s[6:7]
	s_andn2_b64 exec, exec, s[12:13]
	s_cbranch_execnz .LBB112_4
; %bb.5:
	s_or_b64 exec, exec, s[12:13]
	v_mov_b32_e32 v70, s16
.LBB112_6:
	s_or_b64 exec, exec, s[10:11]
.LBB112_7:
	s_or_b64 exec, exec, s[2:3]
	s_lshl_b32 s2, s8, 2
	s_abs_i32 s3, s2
	v_cvt_f32_u32_e32 v1, s3
	s_sub_i32 s6, 0, s3
	s_abs_i32 s5, s23
	s_ashr_i32 s4, s23, 31
	v_rcp_iflag_f32_e32 v1, v1
	s_nop 0
	v_mul_f32_e32 v1, 0x4f7ffffe, v1
	v_cvt_u32_f32_e32 v1, v1
	s_nop 0
	v_readfirstlane_b32 s7, v1
	s_mul_i32 s6, s6, s7
	s_mul_hi_u32 s6, s7, s6
	s_add_i32 s7, s7, s6
	s_mul_hi_u32 s6, s5, s7
	s_mul_i32 s6, s6, s3
	s_sub_i32 s5, s5, s6
	s_sub_i32 s6, s5, s3
	s_cmp_ge_u32 s5, s3
	s_cselect_b32 s5, s6, s5
	s_sub_i32 s6, s5, s3
	s_cmp_ge_u32 s5, s3
	s_cselect_b32 s3, s6, s5
	s_xor_b32 s3, s3, s4
	s_sub_i32 s3, s3, s4
	s_add_i32 s2, s2, s23
	s_sub_i32 s2, s2, s3
	s_cmp_eq_u32 s3, 0
	s_cselect_b32 s33, s23, s2
	v_cmp_gt_u32_e32 vcc, s33, v70
	s_and_b64 exec, exec, vcc
	s_cbranch_execz .LBB112_72
; %bb.8:
	s_load_dwordx8 s[12:19], s[0:1], 0x10
	s_min_u32 s40, s22, 0x2000
	s_cmp_lg_u32 s20, 0
	s_load_dwordx2 s[24:25], s[0:1], 0x30
	s_cselect_b64 s[2:3], -1, 0
	s_cmp_lg_u32 s22, 0
	s_mul_i32 s0, s9, s8
	s_cselect_b64 s[4:5], -1, 0
	s_lshl_b32 s41, s8, 8
	s_add_i32 s42, s20, -8
	s_add_i32 s43, s23, -1
	s_lshl_b32 s44, s0, 2
	s_waitcnt lgkmcnt(0)
	s_cmp_lg_u64 s[18:19], 0
	s_cselect_b64 s[28:29], -1, 0
	s_abs_i32 s6, s13
	v_cvt_f32_u32_e32 v1, s12
	v_cvt_f32_u32_e32 v6, s6
	s_sub_i32 s7, 0, s12
	s_add_i32 s13, s23, -4
	v_rcp_iflag_f32_e32 v1, v1
	v_rcp_iflag_f32_e32 v6, v6
	v_and_b32_e32 v0, 0x3ff, v0
	v_lshlrev_b32_e32 v73, 3, v0
	v_mul_f32_e32 v1, 0x4f7ffffe, v1
	v_mul_f32_e32 v6, 0x4f7ffffe, v6
	v_cvt_u32_f32_e32 v1, v1
	v_cvt_u32_f32_e32 v6, v6
	v_cmp_eq_u32_e64 s[0:1], 31, v0
	v_lshlrev_b32_e32 v0, 4, v0
	v_mul_lo_u32 v8, s7, v1
	s_sub_i32 s7, 0, s6
	v_readfirstlane_b32 s9, v6
	s_mul_i32 s7, s7, s9
	s_mul_hi_u32 s7, s9, s7
	s_add_i32 s9, s9, s7
	s_sub_i32 s7, 1, s6
	s_cmp_lt_u32 s6, 2
	s_cselect_b32 s7, s7, 1
	s_sub_i32 s10, s7, s6
	s_cmp_ge_u32 s7, s6
	s_cselect_b32 s45, s10, s7
	s_lshr_b32 s7, s9, 31
	s_mul_i32 s7, s7, s6
	s_sub_i32 s7, 2, s7
	s_sub_i32 s10, s7, s6
	s_cmp_ge_u32 s7, s6
	s_cselect_b32 s7, s10, s7
	s_sub_i32 s10, s7, s6
	s_cmp_ge_u32 s7, s6
	s_cselect_b32 s46, s10, s7
	s_mul_hi_u32 s7, s9, 3
	s_mul_i32 s7, s7, s6
	s_sub_i32 s7, 3, s7
	s_sub_i32 s9, s7, s6
	s_cmp_ge_u32 s7, s6
	s_cselect_b32 s7, s9, s7
	s_sub_i32 s9, s7, s6
	s_cmp_ge_u32 s7, s6
	v_lshl_add_u32 v85, v7, 9, v0
	v_lshl_add_u32 v72, v7, 8, v73
	v_cndmask_b32_e64 v0, 0, 1, s[2:3]
	v_mul_hi_u32 v8, v1, v8
	s_cselect_b32 s47, s9, s7
	s_add_u32 s30, s24, 2
	v_mad_u64_u32 v[74:75], s[6:7], s22, 3, v[72:73]
	v_cmp_ne_u32_e64 s[2:3], 1, v0
	v_cndmask_b32_e64 v0, 0, 1, s[4:5]
	s_mov_b64 s[26:27], 0
	v_add_u32_e32 v84, v1, v8
	v_mov_b32_e32 v1, 0
	s_mul_i32 s45, s45, s12
	s_mul_i32 s46, s46, s12
	;; [unrolled: 1-line block ×3, first 2 shown]
	s_addc_u32 s31, s25, 0
	s_mul_i32 s48, s40, 6
	s_lshl_b32 s49, s8, 9
	s_lshl_b32 s50, s40, 2
	;; [unrolled: 1-line block ×3, first 2 shown]
	v_lshl_add_u32 v86, s22, 1, v72
	v_add_u32_e32 v75, s22, v72
	v_cmp_ne_u32_e64 s[4:5], 1, v0
	s_branch .LBB112_12
.LBB112_9:                              ;   in Loop: Header=BB112_12 Depth=1
	s_or_b64 exec, exec, s[10:11]
	v_mov_b32_e32 v70, s13
.LBB112_10:                             ;   in Loop: Header=BB112_12 Depth=1
	s_or_b64 exec, exec, s[8:9]
.LBB112_11:                             ;   in Loop: Header=BB112_12 Depth=1
	s_or_b64 exec, exec, s[34:35]
	v_cmp_le_u32_e32 vcc, s33, v70
	s_or_b64 s[26:27], vcc, s[26:27]
	s_andn2_b64 exec, exec, s[26:27]
	s_cbranch_execz .LBB112_72
.LBB112_12:                             ; =>This Loop Header: Depth=1
                                        ;     Child Loop BB112_17 Depth 2
                                        ;       Child Loop BB112_22 Depth 3
                                        ;     Child Loop BB112_55 Depth 2
	s_mov_b32 s36, 0
	s_and_b64 vcc, exec, s[2:3]
	v_mov_b32_e32 v101, v1
	v_mov_b32_e32 v100, v1
	;; [unrolled: 1-line block ×16, first 2 shown]
	s_cbranch_vccnz .LBB112_29
; %bb.13:                               ;   in Loop: Header=BB112_12 Depth=1
	v_add_u32_e32 v6, 1, v70
	v_add_u32_e32 v8, 2, v70
	;; [unrolled: 1-line block ×3, first 2 shown]
	v_min_u32_e32 v0, s43, v70
	v_min_u32_e32 v6, s43, v6
	v_min_u32_e32 v8, s43, v8
	v_min_u32_e32 v10, s43, v10
	v_mul_lo_u32 v0, v0, s21
	v_mul_lo_u32 v6, v6, s21
	v_mov_b32_e32 v7, v1
	v_mul_lo_u32 v8, v8, s21
	v_mov_b32_e32 v9, v1
	;; [unrolled: 2-line block ×3, first 2 shown]
	v_cmp_gt_u32_e64 s[6:7], s23, v70
	v_mov_b32_e32 v93, 0
	v_lshlrev_b64 v[76:77], 1, v[0:1]
	v_lshlrev_b64 v[78:79], 1, v[6:7]
	;; [unrolled: 1-line block ×4, first 2 shown]
	v_mov_b32_e32 v92, 0
	v_mov_b32_e32 v91, 0
	;; [unrolled: 1-line block ×15, first 2 shown]
	s_mov_b32 s37, 0
	s_branch .LBB112_17
.LBB112_14:                             ;   in Loop: Header=BB112_17 Depth=2
	s_or_b64 exec, exec, s[34:35]
.LBB112_15:                             ;   in Loop: Header=BB112_17 Depth=2
	s_or_b64 exec, exec, s[10:11]
	s_waitcnt vmcnt(7) lgkmcnt(3)
	;;#ASMSTART
	v_dot2c_f32_f16 v101, v66, v50
	;;#ASMEND
	s_waitcnt vmcnt(6)
	;;#ASMSTART
	v_dot2c_f32_f16 v100, v66, v46
	;;#ASMEND
	s_waitcnt vmcnt(5)
	;; [unrolled: 4-line block ×3, first 2 shown]
	;;#ASMSTART
	v_dot2c_f32_f16 v98, v66, v38
	;;#ASMEND
	s_waitcnt lgkmcnt(2)
	;;#ASMSTART
	v_dot2c_f32_f16 v97, v62, v50
	;;#ASMEND
	;;#ASMSTART
	v_dot2c_f32_f16 v96, v62, v46
	;;#ASMEND
	;;#ASMSTART
	v_dot2c_f32_f16 v95, v62, v42
	;;#ASMEND
	;;#ASMSTART
	v_dot2c_f32_f16 v94, v62, v38
	;;#ASMEND
	s_waitcnt lgkmcnt(1)
	;;#ASMSTART
	v_dot2c_f32_f16 v93, v58, v50
	;;#ASMEND
	;;#ASMSTART
	v_dot2c_f32_f16 v92, v58, v46
	;;#ASMEND
	;;#ASMSTART
	v_dot2c_f32_f16 v91, v58, v42
	;;#ASMEND
	;; [unrolled: 13-line block ×3, first 2 shown]
	;;#ASMSTART
	v_dot2c_f32_f16 v71, v54, v38
	;;#ASMEND
	;;#ASMSTART
	v_dot2c_f32_f16 v101, v67, v51
	;;#ASMEND
	;;#ASMSTART
	v_dot2c_f32_f16 v100, v67, v47
	;;#ASMEND
	;;#ASMSTART
	v_dot2c_f32_f16 v99, v67, v43
	;;#ASMEND
	;;#ASMSTART
	v_dot2c_f32_f16 v98, v67, v39
	;;#ASMEND
	;;#ASMSTART
	v_dot2c_f32_f16 v97, v63, v51
	;;#ASMEND
	;;#ASMSTART
	v_dot2c_f32_f16 v96, v63, v47
	;;#ASMEND
	;;#ASMSTART
	v_dot2c_f32_f16 v95, v63, v43
	;;#ASMEND
	;;#ASMSTART
	v_dot2c_f32_f16 v94, v63, v39
	;;#ASMEND
	;;#ASMSTART
	v_dot2c_f32_f16 v93, v59, v51
	;;#ASMEND
	;;#ASMSTART
	v_dot2c_f32_f16 v92, v59, v47
	;;#ASMEND
	;;#ASMSTART
	v_dot2c_f32_f16 v91, v59, v43
	;;#ASMEND
	;;#ASMSTART
	v_dot2c_f32_f16 v90, v59, v39
	;;#ASMEND
	s_nop 0
	;;#ASMSTART
	v_dot2c_f32_f16 v89, v55, v51
	;;#ASMEND
	;;#ASMSTART
	v_dot2c_f32_f16 v88, v55, v47
	;;#ASMEND
	;;#ASMSTART
	v_dot2c_f32_f16 v87, v55, v43
	;;#ASMEND
	;;#ASMSTART
	v_dot2c_f32_f16 v71, v55, v39
	;;#ASMEND
	;;#ASMSTART
	v_dot2c_f32_f16 v101, v68, v52
	;;#ASMEND
	;;#ASMSTART
	v_dot2c_f32_f16 v100, v68, v48
	;;#ASMEND
	;;#ASMSTART
	v_dot2c_f32_f16 v99, v68, v44
	;;#ASMEND
	;;#ASMSTART
	v_dot2c_f32_f16 v98, v68, v40
	;;#ASMEND
	;;#ASMSTART
	v_dot2c_f32_f16 v97, v64, v52
	;;#ASMEND
	;;#ASMSTART
	v_dot2c_f32_f16 v96, v64, v48
	;;#ASMEND
	;;#ASMSTART
	v_dot2c_f32_f16 v95, v64, v44
	;;#ASMEND
	;;#ASMSTART
	v_dot2c_f32_f16 v94, v64, v40
	;;#ASMEND
	;;#ASMSTART
	v_dot2c_f32_f16 v93, v60, v52
	;;#ASMEND
	;;#ASMSTART
	v_dot2c_f32_f16 v92, v60, v48
	;;#ASMEND
	;;#ASMSTART
	v_dot2c_f32_f16 v91, v60, v44
	;;#ASMEND
	;;#ASMSTART
	v_dot2c_f32_f16 v90, v60, v40
	;;#ASMEND
	s_nop 0
	;;#ASMSTART
	v_dot2c_f32_f16 v89, v56, v52
	;;#ASMEND
	;;#ASMSTART
	v_dot2c_f32_f16 v88, v56, v48
	;;#ASMEND
	;;#ASMSTART
	v_dot2c_f32_f16 v87, v56, v44
	;;#ASMEND
	;; [unrolled: 49-line block ×3, first 2 shown]
	;;#ASMSTART
	v_dot2c_f32_f16 v71, v57, v41
	;;#ASMEND
	s_waitcnt vmcnt(3)
	;;#ASMSTART
	v_dot2c_f32_f16 v101, v34, v18
	;;#ASMEND
	s_waitcnt vmcnt(2)
	;; [unrolled: 4-line block ×4, first 2 shown]
	;;#ASMSTART
	v_dot2c_f32_f16 v98, v34, v6
	;;#ASMEND
	;;#ASMSTART
	v_dot2c_f32_f16 v97, v30, v18
	;;#ASMEND
	;;#ASMSTART
	v_dot2c_f32_f16 v96, v30, v14
	;;#ASMEND
	;;#ASMSTART
	v_dot2c_f32_f16 v95, v30, v10
	;;#ASMEND
	;;#ASMSTART
	v_dot2c_f32_f16 v94, v30, v6
	;;#ASMEND
	;;#ASMSTART
	v_dot2c_f32_f16 v93, v26, v18
	;;#ASMEND
	;;#ASMSTART
	v_dot2c_f32_f16 v92, v26, v14
	;;#ASMEND
	;;#ASMSTART
	v_dot2c_f32_f16 v91, v26, v10
	;;#ASMEND
	;;#ASMSTART
	v_dot2c_f32_f16 v90, v26, v6
	;;#ASMEND
	;;#ASMSTART
	v_dot2c_f32_f16 v89, v22, v18
	;;#ASMEND
	;;#ASMSTART
	v_dot2c_f32_f16 v88, v22, v14
	;;#ASMEND
	;;#ASMSTART
	v_dot2c_f32_f16 v87, v22, v10
	;;#ASMEND
	;;#ASMSTART
	v_dot2c_f32_f16 v71, v22, v6
	;;#ASMEND
	;;#ASMSTART
	v_dot2c_f32_f16 v101, v35, v19
	;;#ASMEND
	;;#ASMSTART
	v_dot2c_f32_f16 v100, v35, v15
	;;#ASMEND
	;;#ASMSTART
	v_dot2c_f32_f16 v99, v35, v11
	;;#ASMEND
	s_nop 0
	;;#ASMSTART
	v_dot2c_f32_f16 v98, v35, v7
	;;#ASMEND
	;;#ASMSTART
	v_dot2c_f32_f16 v97, v31, v19
	;;#ASMEND
	;;#ASMSTART
	v_dot2c_f32_f16 v96, v31, v15
	;;#ASMEND
	;;#ASMSTART
	v_dot2c_f32_f16 v95, v31, v11
	;;#ASMEND
	;;#ASMSTART
	v_dot2c_f32_f16 v94, v31, v7
	;;#ASMEND
	;;#ASMSTART
	v_dot2c_f32_f16 v93, v27, v19
	;;#ASMEND
	;;#ASMSTART
	v_dot2c_f32_f16 v92, v27, v15
	;;#ASMEND
	;;#ASMSTART
	v_dot2c_f32_f16 v91, v27, v11
	;;#ASMEND
	;;#ASMSTART
	v_dot2c_f32_f16 v90, v27, v7
	;;#ASMEND
	;;#ASMSTART
	v_dot2c_f32_f16 v89, v23, v19
	;;#ASMEND
	;;#ASMSTART
	v_dot2c_f32_f16 v88, v23, v15
	;;#ASMEND
	;;#ASMSTART
	v_dot2c_f32_f16 v87, v23, v11
	;;#ASMEND
	;;#ASMSTART
	v_dot2c_f32_f16 v71, v23, v7
	;;#ASMEND
	;;#ASMSTART
	v_dot2c_f32_f16 v101, v36, v20
	;;#ASMEND
	;;#ASMSTART
	v_dot2c_f32_f16 v100, v36, v16
	;;#ASMEND
	;;#ASMSTART
	v_dot2c_f32_f16 v99, v36, v12
	;;#ASMEND
	s_nop 0
	;; [unrolled: 49-line block ×3, first 2 shown]
	;;#ASMSTART
	v_dot2c_f32_f16 v98, v37, v9
	;;#ASMEND
	;;#ASMSTART
	v_dot2c_f32_f16 v97, v33, v21
	;;#ASMEND
	;; [unrolled: 3-line block ×13, first 2 shown]
.LBB112_16:                             ;   in Loop: Header=BB112_17 Depth=2
	s_or_b64 exec, exec, s[8:9]
	s_addk_i32 s37, 0x200
	s_cmp_ge_u32 s37, s20
	s_cbranch_scc1 .LBB112_29
.LBB112_17:                             ;   Parent Loop BB112_12 Depth=1
                                        ; =>  This Loop Header: Depth=2
                                        ;       Child Loop BB112_22 Depth 3
	s_cmp_eq_u32 s37, 0
	s_cselect_b64 s[8:9], -1, 0
	s_add_i32 s10, s36, s40
	s_cmp_eq_u32 s37, s10
	s_cselect_b64 s[34:35], -1, 0
	s_or_b64 s[34:35], s[8:9], s[34:35]
	s_andn2_b64 vcc, exec, s[34:35]
	s_cbranch_vccz .LBB112_19
; %bb.18:                               ;   in Loop: Header=BB112_17 Depth=2
	s_and_saveexec_b64 s[8:9], s[6:7]
	s_cbranch_execz .LBB112_16
	s_branch .LBB112_26
.LBB112_19:                             ;   in Loop: Header=BB112_17 Depth=2
	s_and_b64 s[8:9], s[8:9], exec
	s_cselect_b32 s36, s36, s10
	s_and_b64 vcc, exec, s[4:5]
	s_barrier
	s_cbranch_vccnz .LBB112_25
; %bb.20:                               ;   in Loop: Header=BB112_17 Depth=2
	v_add_u32_e32 v6, s36, v86
	v_add_u32_e32 v7, s36, v74
	;; [unrolled: 1-line block ×4, first 2 shown]
	s_mov_b32 s38, 0
	s_mov_b64 s[10:11], 0
	v_mov_b32_e32 v10, v85
                                        ; implicit-def: $sgpr34_sgpr35
	s_branch .LBB112_22
.LBB112_21:                             ;   in Loop: Header=BB112_22 Depth=3
	s_or_b64 exec, exec, s[8:9]
	s_and_b64 s[8:9], exec, s[34:35]
	s_or_b64 s[10:11], s[8:9], s[10:11]
	s_andn2_b64 exec, exec, s[10:11]
	s_cbranch_execz .LBB112_24
.LBB112_22:                             ;   Parent Loop BB112_12 Depth=1
                                        ;     Parent Loop BB112_17 Depth=2
                                        ; =>    This Inner Loop Header: Depth=3
	v_add_u32_e32 v11, s38, v72
	v_add_u32_e32 v0, s38, v9
	v_cmp_gt_u32_e32 vcc, s22, v0
	v_cmp_gt_u32_e64 s[8:9], s40, v11
	s_and_b64 s[52:53], s[8:9], vcc
	s_or_b64 s[34:35], s[34:35], exec
	s_and_saveexec_b64 s[8:9], s[52:53]
	s_cbranch_execz .LBB112_21
; %bb.23:                               ;   in Loop: Header=BB112_22 Depth=3
	v_lshl_add_u64 v[12:13], v[0:1], 1, s[16:17]
	v_add_u32_e32 v0, s38, v8
	v_lshl_add_u64 v[16:17], v[0:1], 1, s[16:17]
	v_add_u32_e32 v0, s38, v6
	global_load_dwordx4 v[12:15], v[12:13], off
	s_nop 0
	global_load_dwordx4 v[16:19], v[16:17], off
	v_lshl_add_u64 v[20:21], v[0:1], 1, s[16:17]
	v_add_u32_e32 v0, s38, v7
	global_load_dwordx4 v[20:23], v[20:21], off
	v_lshl_add_u64 v[24:25], v[0:1], 1, s[16:17]
	global_load_dwordx4 v[24:27], v[24:25], off
	s_add_i32 s38, s38, s41
	s_cmp_ge_u32 s38, s40
	s_cselect_b64 s[52:53], -1, 0
	s_andn2_b64 s[34:35], s[34:35], exec
	s_and_b64 s[52:53], s[52:53], exec
	v_add_u32_e32 v0, s51, v10
	v_add_u32_e32 v11, s50, v10
	;; [unrolled: 1-line block ×3, first 2 shown]
	s_or_b64 s[34:35], s[34:35], s[52:53]
	s_waitcnt vmcnt(3)
	ds_write_b128 v10, v[12:15]
	v_add_u32_e32 v10, s49, v10
	s_waitcnt vmcnt(2)
	ds_write2_b64 v0, v[16:17], v[18:19] offset1:1
	s_waitcnt vmcnt(1)
	ds_write2_b32 v11, v20, v21 offset1:1
	ds_write2_b32 v11, v22, v23 offset0:2 offset1:3
	s_waitcnt vmcnt(0)
	ds_write2_b64 v28, v[24:25], v[26:27] offset1:1
	s_branch .LBB112_21
.LBB112_24:                             ;   in Loop: Header=BB112_17 Depth=2
	s_or_b64 exec, exec, s[10:11]
.LBB112_25:                             ;   in Loop: Header=BB112_17 Depth=2
	s_waitcnt lgkmcnt(0)
	s_barrier
	s_and_saveexec_b64 s[8:9], s[6:7]
	s_cbranch_execz .LBB112_16
.LBB112_26:                             ;   in Loop: Header=BB112_17 Depth=2
	v_add_u32_e32 v102, s37, v73
	v_min_u32_e32 v0, s42, v102
	v_lshl_add_u64 v[6:7], v[0:1], 1, s[14:15]
	v_lshl_add_u64 v[8:9], v[6:7], 0, v[76:77]
	v_add_u32_e32 v103, 0x100, v102
	v_lshl_add_u64 v[10:11], v[6:7], 0, v[78:79]
	global_load_dwordx4 v[50:53], v[8:9], off nt
	global_load_dwordx4 v[46:49], v[10:11], off nt
	v_lshl_add_u64 v[8:9], v[6:7], 0, v[80:81]
	v_lshl_add_u64 v[6:7], v[6:7], 0, v[82:83]
	v_min_u32_e32 v0, s42, v103
	global_load_dwordx4 v[42:45], v[8:9], off nt
	global_load_dwordx4 v[38:41], v[6:7], off nt
	v_lshl_add_u64 v[6:7], v[0:1], 1, s[14:15]
	v_lshl_add_u64 v[8:9], v[6:7], 0, v[76:77]
	;; [unrolled: 1-line block ×4, first 2 shown]
	global_load_dwordx4 v[18:21], v[8:9], off nt
	global_load_dwordx4 v[14:17], v[10:11], off nt
	v_lshl_add_u64 v[24:25], v[6:7], 0, v[82:83]
	global_load_dwordx4 v[10:13], v[22:23], off nt
	global_load_dwordx4 v[6:9], v[24:25], off nt
	v_cmp_gt_u32_e32 vcc, s20, v102
	v_mov_b32_e32 v66, 0
	v_mov_b32_e32 v67, 0
	;; [unrolled: 1-line block ×12, first 2 shown]
	s_waitcnt vmcnt(22)
	v_mov_b32_e32 v54, 0
	v_mov_b32_e32 v55, 0
	;; [unrolled: 1-line block ×20, first 2 shown]
	s_and_saveexec_b64 s[10:11], vcc
	s_cbranch_execz .LBB112_15
; %bb.27:                               ;   in Loop: Header=BB112_17 Depth=2
	v_subrev_u32_e32 v0, s36, v102
	v_lshlrev_b32_e32 v105, 1, v0
	v_add_u32_e32 v104, s51, v105
	v_add_u32_e32 v102, s51, v104
	ds_read_b128 v[66:69], v105
	ds_read_b128 v[62:65], v104
	v_add_u32_e32 v0, s51, v102
	ds_read_b128 v[58:61], v102
	ds_read_b128 v[54:57], v0
	v_cmp_gt_u32_e32 vcc, s20, v103
	v_mov_b32_e32 v25, 0
	v_mov_b32_e32 v24, 0
	;; [unrolled: 1-line block ×16, first 2 shown]
	s_and_saveexec_b64 s[34:35], vcc
	s_cbranch_execz .LBB112_14
; %bb.28:                               ;   in Loop: Header=BB112_17 Depth=2
	ds_read_b128 v[34:37], v105 offset:512
	ds_read_b128 v[30:33], v104 offset:512
	;; [unrolled: 1-line block ×4, first 2 shown]
	s_branch .LBB112_14
.LBB112_29:                             ;   in Loop: Header=BB112_12 Depth=1
	v_cmp_le_u32_e32 vcc, s23, v70
	s_and_saveexec_b64 s[6:7], vcc
	s_xor_b64 s[6:7], exec, s[6:7]
; %bb.30:                               ;   in Loop: Header=BB112_12 Depth=1
	v_add_u32_e32 v70, s44, v70
                                        ; implicit-def: $vgpr101
                                        ; implicit-def: $vgpr100
                                        ; implicit-def: $vgpr99
                                        ; implicit-def: $vgpr98
                                        ; implicit-def: $vgpr97
                                        ; implicit-def: $vgpr96
                                        ; implicit-def: $vgpr95
                                        ; implicit-def: $vgpr94
                                        ; implicit-def: $vgpr71
                                        ; implicit-def: $vgpr87
                                        ; implicit-def: $vgpr88
                                        ; implicit-def: $vgpr89
                                        ; implicit-def: $vgpr90
                                        ; implicit-def: $vgpr91
                                        ; implicit-def: $vgpr92
                                        ; implicit-def: $vgpr93
; %bb.31:                               ;   in Loop: Header=BB112_12 Depth=1
	s_andn2_saveexec_b64 s[34:35], s[6:7]
	s_cbranch_execz .LBB112_11
; %bb.32:                               ;   in Loop: Header=BB112_12 Depth=1
	v_cvt_i32_f32_e32 v0, v101
	v_cvt_i32_f32_e32 v6, v100
	;; [unrolled: 1-line block ×4, first 2 shown]
	v_cvt_f32_i32_dpp v0, v0 row_shr:8 row_mask:0xf bank_mask:0xf bound_ctrl:1
	v_cvt_f32_i32_dpp v6, v6 row_shr:8 row_mask:0xf bank_mask:0xf bound_ctrl:1
	;; [unrolled: 1-line block ×4, first 2 shown]
	v_add_f32_e32 v0, v101, v0
	v_cvt_i32_f32_e32 v9, v0
	v_add_f32_e32 v6, v100, v6
	v_cvt_i32_f32_e32 v10, v6
	v_add_f32_e32 v7, v99, v7
	v_cvt_f32_i32_dpp v9, v9 row_shr:4 row_mask:0xf bank_mask:0xf bound_ctrl:1
	v_cvt_i32_f32_e32 v11, v7
	v_cvt_f32_i32_dpp v10, v10 row_shr:4 row_mask:0xf bank_mask:0xf bound_ctrl:1
	v_add_f32_e32 v8, v98, v8
	v_add_f32_e32 v0, v0, v9
	v_cvt_i32_f32_e32 v9, v0
	v_add_f32_e32 v6, v6, v10
	v_cvt_i32_f32_e32 v10, v6
	v_cvt_f32_i32_dpp v11, v11 row_shr:4 row_mask:0xf bank_mask:0xf bound_ctrl:1
	v_cvt_f32_i32_dpp v9, v9 row_shr:2 row_mask:0xf bank_mask:0xf bound_ctrl:1
	v_cvt_i32_f32_e32 v12, v8
	v_cvt_f32_i32_dpp v10, v10 row_shr:2 row_mask:0xf bank_mask:0xf bound_ctrl:1
	v_add_f32_e32 v7, v7, v11
	v_add_f32_e32 v0, v0, v9
	v_cvt_i32_f32_e32 v9, v0
	v_add_f32_e32 v6, v6, v10
	v_cvt_i32_f32_e32 v10, v6
	v_cvt_i32_f32_e32 v11, v7
	v_cvt_f32_i32_dpp v9, v9 row_shr:1 row_mask:0xf bank_mask:0xf bound_ctrl:1
	v_cvt_f32_i32_dpp v12, v12 row_shr:4 row_mask:0xf bank_mask:0xf bound_ctrl:1
	v_cvt_f32_i32_dpp v10, v10 row_shr:1 row_mask:0xf bank_mask:0xf bound_ctrl:1
	v_cvt_f32_i32_dpp v11, v11 row_shr:2 row_mask:0xf bank_mask:0xf bound_ctrl:1
	v_add_f32_e32 v0, v0, v9
	v_cvt_i32_f32_e32 v9, v0
	v_add_f32_e32 v6, v6, v10
	v_cvt_i32_f32_e32 v10, v6
	v_add_f32_e32 v11, v7, v11
	v_cvt_f32_i32_dpp v9, v9 row_bcast:15 row_mask:0xf bank_mask:0xf bound_ctrl:1
	v_cvt_i32_f32_e32 v7, v11
	v_add_f32_e32 v8, v8, v12
	v_cvt_f32_i32_dpp v12, v10 row_bcast:15 row_mask:0xf bank_mask:0xf bound_ctrl:1
	v_add_f32_e32 v10, v0, v9
	v_cvt_i32_f32_e32 v0, v10
	v_cvt_f32_i32_dpp v9, v7 row_shr:1 row_mask:0xf bank_mask:0xf bound_ctrl:1
	v_add_f32_e32 v7, v6, v12
	v_cvt_i32_f32_e32 v6, v7
	v_mov_b32_dpp v13, v0 row_bcast:31 row_mask:0xf bank_mask:0xf bound_ctrl:1
	v_cvt_i32_f32_e32 v0, v8
	v_add_f32_e32 v9, v11, v9
	v_cvt_i32_f32_e32 v11, v97
	v_mov_b32_dpp v12, v6 row_bcast:31 row_mask:0xf bank_mask:0xf bound_ctrl:1
	v_cvt_f32_i32_dpp v0, v0 row_shr:2 row_mask:0xf bank_mask:0xf bound_ctrl:1
	v_cvt_i32_f32_e32 v14, v9
	v_cvt_f32_i32_dpp v6, v11 row_shr:8 row_mask:0xf bank_mask:0xf bound_ctrl:1
	v_add_f32_e32 v0, v8, v0
	v_cvt_f32_i32_dpp v11, v14 row_bcast:15 row_mask:0xf bank_mask:0xf bound_ctrl:1
	v_add_f32_e32 v6, v97, v6
	v_cvt_i32_f32_e32 v8, v0
	v_cvt_i32_f32_e32 v14, v6
	v_add_f32_e32 v9, v9, v11
	v_cvt_i32_f32_e32 v11, v96
	v_cvt_f32_i32_dpp v8, v8 row_shr:1 row_mask:0xf bank_mask:0xf bound_ctrl:1
	v_cvt_f32_i32_dpp v14, v14 row_shr:4 row_mask:0xf bank_mask:0xf bound_ctrl:1
	v_cvt_i32_f32_e32 v15, v9
	v_add_f32_e32 v0, v0, v8
	v_cvt_f32_i32_dpp v8, v11 row_shr:8 row_mask:0xf bank_mask:0xf bound_ctrl:1
	v_add_f32_e32 v6, v6, v14
	v_cvt_i32_f32_e32 v11, v6
	v_cvt_i32_f32_e32 v14, v0
	v_add_f32_e32 v8, v96, v8
	v_cvt_i32_f32_e32 v16, v8
	v_cvt_f32_i32_dpp v11, v11 row_shr:2 row_mask:0xf bank_mask:0xf bound_ctrl:1
	v_cvt_f32_i32_dpp v14, v14 row_bcast:15 row_mask:0xf bank_mask:0xf bound_ctrl:1
	v_mov_b32_dpp v15, v15 row_bcast:31 row_mask:0xf bank_mask:0xf bound_ctrl:1
	v_cvt_f32_i32_dpp v16, v16 row_shr:4 row_mask:0xf bank_mask:0xf bound_ctrl:1
	v_add_f32_e32 v6, v6, v11
	v_cvt_i32_f32_e32 v17, v6
	v_add_f32_e32 v11, v0, v14
	v_add_f32_e32 v0, v8, v16
	v_cvt_i32_f32_e32 v8, v0
	v_cvt_f32_i32_dpp v14, v17 row_shr:1 row_mask:0xf bank_mask:0xf bound_ctrl:1
	v_cvt_i32_f32_e32 v16, v95
	v_cvt_i32_f32_e32 v17, v11
	v_cvt_f32_i32_dpp v8, v8 row_shr:2 row_mask:0xf bank_mask:0xf bound_ctrl:1
	v_add_f32_e32 v6, v6, v14
	v_cvt_f32_i32_dpp v14, v16 row_shr:8 row_mask:0xf bank_mask:0xf bound_ctrl:1
	v_cvt_i32_f32_e32 v16, v6
	v_add_f32_e32 v0, v0, v8
	v_cvt_i32_f32_e32 v8, v0
	v_add_f32_e32 v18, v95, v14
	v_cvt_i32_f32_e32 v14, v18
	v_cvt_f32_i32_dpp v16, v16 row_bcast:15 row_mask:0xf bank_mask:0xf bound_ctrl:1
	v_cvt_f32_i32_dpp v8, v8 row_shr:1 row_mask:0xf bank_mask:0xf bound_ctrl:1
	v_mov_b32_dpp v17, v17 row_bcast:31 row_mask:0xf bank_mask:0xf bound_ctrl:1
	v_cvt_f32_i32_dpp v19, v14 row_shr:4 row_mask:0xf bank_mask:0xf bound_ctrl:1
	v_add_f32_e32 v14, v6, v16
	v_cvt_i32_f32_e32 v6, v94
	v_add_f32_e32 v0, v0, v8
	v_add_f32_e32 v8, v18, v19
	v_cvt_i32_f32_e32 v16, v8
	v_cvt_f32_i32_dpp v6, v6 row_shr:8 row_mask:0xf bank_mask:0xf bound_ctrl:1
	v_cvt_i32_f32_e32 v18, v0
	v_cvt_i32_f32_e32 v19, v14
	v_cvt_f32_i32_dpp v16, v16 row_shr:2 row_mask:0xf bank_mask:0xf bound_ctrl:1
	v_add_f32_e32 v6, v94, v6
	v_cvt_i32_f32_e32 v21, v6
	v_cvt_f32_i32_dpp v18, v18 row_bcast:15 row_mask:0xf bank_mask:0xf bound_ctrl:1
	v_add_f32_e32 v8, v8, v16
	v_mov_b32_dpp v20, v19 row_bcast:31 row_mask:0xf bank_mask:0xf bound_ctrl:1
	v_cvt_f32_i32_dpp v19, v21 row_shr:4 row_mask:0xf bank_mask:0xf bound_ctrl:1
	v_cvt_i32_f32_e32 v22, v8
	v_add_f32_e32 v16, v0, v18
	v_cvt_i32_f32_e32 v18, v93
	v_add_f32_e32 v6, v6, v19
	v_cvt_f32_i32_dpp v0, v22 row_shr:1 row_mask:0xf bank_mask:0xf bound_ctrl:1
	v_cvt_i32_f32_e32 v19, v6
	v_cvt_f32_i32_dpp v18, v18 row_shr:8 row_mask:0xf bank_mask:0xf bound_ctrl:1
	v_cvt_i32_f32_e32 v21, v16
	v_add_f32_e32 v0, v8, v0
	v_cvt_f32_i32_dpp v8, v19 row_shr:2 row_mask:0xf bank_mask:0xf bound_ctrl:1
	v_add_f32_e32 v22, v93, v18
	v_cvt_i32_f32_e32 v19, v0
	v_cvt_i32_f32_e32 v18, v22
	v_add_f32_e32 v6, v6, v8
	v_cvt_i32_f32_e32 v8, v6
	v_cvt_f32_i32_dpp v19, v19 row_bcast:15 row_mask:0xf bank_mask:0xf bound_ctrl:1
	v_cvt_f32_i32_dpp v23, v18 row_shr:4 row_mask:0xf bank_mask:0xf bound_ctrl:1
	v_mov_b32_dpp v21, v21 row_bcast:31 row_mask:0xf bank_mask:0xf bound_ctrl:1
	v_cvt_f32_i32_dpp v8, v8 row_shr:1 row_mask:0xf bank_mask:0xf bound_ctrl:1
	v_add_f32_e32 v18, v0, v19
	v_add_f32_e32 v0, v22, v23
	v_cvt_i32_f32_e32 v19, v0
	v_add_f32_e32 v6, v6, v8
	v_cvt_i32_f32_e32 v8, v92
	v_cvt_i32_f32_e32 v22, v6
	v_cvt_f32_i32_dpp v19, v19 row_shr:2 row_mask:0xf bank_mask:0xf bound_ctrl:1
	v_cvt_i32_f32_e32 v23, v18
	v_cvt_f32_i32_dpp v8, v8 row_shr:8 row_mask:0xf bank_mask:0xf bound_ctrl:1
	v_cvt_f32_i32_dpp v24, v22 row_bcast:15 row_mask:0xf bank_mask:0xf bound_ctrl:1
	v_add_f32_e32 v0, v0, v19
	v_cvt_i32_f32_e32 v19, v0
	v_add_f32_e32 v8, v92, v8
	v_cvt_i32_f32_e32 v25, v8
	v_mov_b32_dpp v22, v23 row_bcast:31 row_mask:0xf bank_mask:0xf bound_ctrl:1
	v_cvt_f32_i32_dpp v23, v19 row_shr:1 row_mask:0xf bank_mask:0xf bound_ctrl:1
	v_add_f32_e32 v19, v6, v24
	v_cvt_f32_i32_dpp v6, v25 row_shr:4 row_mask:0xf bank_mask:0xf bound_ctrl:1
	v_cvt_i32_f32_e32 v24, v19
	v_add_f32_e32 v0, v0, v23
	v_cvt_i32_f32_e32 v23, v91
	v_add_f32_e32 v6, v8, v6
	v_cvt_i32_f32_e32 v8, v6
	v_cvt_i32_f32_e32 v25, v0
	v_cvt_f32_i32_dpp v23, v23 row_shr:8 row_mask:0xf bank_mask:0xf bound_ctrl:1
	v_mov_b32_dpp v24, v24 row_bcast:31 row_mask:0xf bank_mask:0xf bound_ctrl:1
	v_cvt_f32_i32_dpp v8, v8 row_shr:2 row_mask:0xf bank_mask:0xf bound_ctrl:1
	v_cvt_f32_i32_dpp v25, v25 row_bcast:15 row_mask:0xf bank_mask:0xf bound_ctrl:1
	v_add_f32_e32 v26, v91, v23
	v_cvt_i32_f32_e32 v23, v26
	v_add_f32_e32 v6, v6, v8
	v_cvt_i32_f32_e32 v8, v90
	v_cvt_i32_f32_e32 v27, v6
	v_cvt_f32_i32_dpp v28, v23 row_shr:4 row_mask:0xf bank_mask:0xf bound_ctrl:1
	v_add_f32_e32 v23, v0, v25
	v_cvt_f32_i32_dpp v0, v8 row_shr:8 row_mask:0xf bank_mask:0xf bound_ctrl:1
	v_cvt_f32_i32_dpp v8, v27 row_shr:1 row_mask:0xf bank_mask:0xf bound_ctrl:1
	v_add_f32_e32 v25, v26, v28
	v_cvt_i32_f32_e32 v26, v25
	v_add_f32_e32 v0, v90, v0
	v_cvt_i32_f32_e32 v27, v0
	v_add_f32_e32 v6, v6, v8
	v_cvt_f32_i32_dpp v26, v26 row_shr:2 row_mask:0xf bank_mask:0xf bound_ctrl:1
	v_cvt_i32_f32_e32 v28, v23
	v_cvt_f32_i32_dpp v8, v27 row_shr:4 row_mask:0xf bank_mask:0xf bound_ctrl:1
	v_cvt_i32_f32_e32 v27, v6
	v_add_f32_e32 v26, v25, v26
	v_cvt_i32_f32_e32 v25, v26
	v_add_f32_e32 v0, v0, v8
	v_cvt_i32_f32_e32 v8, v0
	v_cvt_f32_i32_dpp v27, v27 row_bcast:15 row_mask:0xf bank_mask:0xf bound_ctrl:1
	v_cvt_f32_i32_dpp v29, v25 row_shr:1 row_mask:0xf bank_mask:0xf bound_ctrl:1
	v_mov_b32_dpp v30, v28 row_bcast:31 row_mask:0xf bank_mask:0xf bound_ctrl:1
	v_cvt_f32_i32_dpp v8, v8 row_shr:2 row_mask:0xf bank_mask:0xf bound_ctrl:1
	v_add_f32_e32 v25, v6, v27
	v_add_f32_e32 v6, v26, v29
	v_cvt_i32_f32_e32 v26, v89
	v_add_f32_e32 v0, v0, v8
	v_cvt_i32_f32_e32 v8, v0
	v_cvt_i32_f32_e32 v27, v6
	v_cvt_f32_i32_dpp v26, v26 row_shr:8 row_mask:0xf bank_mask:0xf bound_ctrl:1
	v_cvt_i32_f32_e32 v28, v25
	v_cvt_f32_i32_dpp v8, v8 row_shr:1 row_mask:0xf bank_mask:0xf bound_ctrl:1
	v_cvt_f32_i32_dpp v27, v27 row_bcast:15 row_mask:0xf bank_mask:0xf bound_ctrl:1
	v_add_f32_e32 v29, v89, v26
	v_cvt_i32_f32_e32 v26, v29
	v_add_f32_e32 v0, v0, v8
	v_cvt_i32_f32_e32 v8, v0
	v_mov_b32_dpp v32, v28 row_bcast:31 row_mask:0xf bank_mask:0xf bound_ctrl:1
	v_cvt_f32_i32_dpp v28, v26 row_shr:4 row_mask:0xf bank_mask:0xf bound_ctrl:1
	v_add_f32_e32 v26, v6, v27
	v_cvt_f32_i32_dpp v6, v8 row_bcast:15 row_mask:0xf bank_mask:0xf bound_ctrl:1
	v_cvt_i32_f32_e32 v8, v88
	v_add_f32_e32 v28, v29, v28
	v_cvt_i32_f32_e32 v29, v28
	v_add_f32_e32 v27, v0, v6
	v_cvt_f32_i32_dpp v8, v8 row_shr:8 row_mask:0xf bank_mask:0xf bound_ctrl:1
	v_cvt_i32_f32_e32 v31, v26
	v_cvt_f32_i32_dpp v0, v29 row_shr:2 row_mask:0xf bank_mask:0xf bound_ctrl:1
	v_cvt_i32_f32_e32 v6, v27
	v_add_f32_e32 v8, v88, v8
	v_cvt_i32_f32_e32 v29, v8
	v_add_f32_e32 v0, v28, v0
	v_cvt_i32_f32_e32 v28, v0
	v_mov_b32_dpp v34, v31 row_bcast:31 row_mask:0xf bank_mask:0xf bound_ctrl:1
	v_cvt_f32_i32_dpp v31, v29 row_shr:4 row_mask:0xf bank_mask:0xf bound_ctrl:1
	v_mov_b32_dpp v29, v6 row_bcast:31 row_mask:0xf bank_mask:0xf bound_ctrl:1
	v_cvt_f32_i32_dpp v6, v28 row_shr:1 row_mask:0xf bank_mask:0xf bound_ctrl:1
	v_cvt_i32_f32_e32 v28, v87
	v_add_f32_e32 v8, v8, v31
	v_cvt_i32_f32_e32 v31, v71
	v_add_f32_e32 v0, v0, v6
	v_cvt_f32_i32_dpp v28, v28 row_shr:8 row_mask:0xf bank_mask:0xf bound_ctrl:1
	v_cvt_i32_f32_e32 v33, v8
	v_cvt_f32_i32_dpp v6, v31 row_shr:8 row_mask:0xf bank_mask:0xf bound_ctrl:1
	v_cvt_i32_f32_e32 v36, v0
	v_add_f32_e32 v28, v87, v28
	v_cvt_f32_i32_dpp v31, v33 row_shr:2 row_mask:0xf bank_mask:0xf bound_ctrl:1
	v_add_f32_e32 v6, v71, v6
	v_cvt_i32_f32_e32 v33, v28
	v_cvt_i32_f32_e32 v35, v6
	v_add_f32_e32 v8, v8, v31
	v_cvt_f32_i32_dpp v36, v36 row_bcast:15 row_mask:0xf bank_mask:0xf bound_ctrl:1
	v_cvt_f32_i32_dpp v33, v33 row_shr:4 row_mask:0xf bank_mask:0xf bound_ctrl:1
	v_cvt_f32_i32_dpp v31, v35 row_shr:4 row_mask:0xf bank_mask:0xf bound_ctrl:1
	v_cvt_i32_f32_e32 v35, v8
	v_add_f32_e32 v37, v0, v36
	v_add_f32_e32 v28, v28, v33
	;; [unrolled: 1-line block ×3, first 2 shown]
	v_cvt_i32_f32_e32 v33, v28
	v_cvt_i32_f32_e32 v31, v6
	v_cvt_f32_i32_dpp v35, v35 row_shr:1 row_mask:0xf bank_mask:0xf bound_ctrl:1
	v_cvt_f32_i32_dpp v33, v33 row_shr:2 row_mask:0xf bank_mask:0xf bound_ctrl:1
	;; [unrolled: 1-line block ×3, first 2 shown]
	v_add_f32_e32 v8, v8, v35
	v_cvt_i32_f32_e32 v35, v8
	v_add_f32_e32 v28, v28, v33
	v_add_f32_e32 v6, v6, v31
	v_cvt_i32_f32_e32 v33, v28
	v_cvt_i32_f32_e32 v31, v6
	s_nop 0
	v_cvt_f32_i32_dpp v33, v33 row_shr:1 row_mask:0xf bank_mask:0xf bound_ctrl:1
	v_cvt_f32_i32_dpp v0, v31 row_shr:1 row_mask:0xf bank_mask:0xf bound_ctrl:1
	v_cvt_f32_i32_dpp v31, v35 row_bcast:15 row_mask:0xf bank_mask:0xf bound_ctrl:1
	v_cvt_i32_f32_e32 v35, v37
	v_add_f32_e32 v28, v28, v33
	v_add_f32_e32 v0, v6, v0
	v_cvt_i32_f32_e32 v33, v28
	v_cvt_i32_f32_e32 v6, v0
	v_add_f32_e32 v36, v8, v31
	v_cvt_i32_f32_e32 v8, v36
	v_cvt_f32_i32_dpp v33, v33 row_bcast:15 row_mask:0xf bank_mask:0xf bound_ctrl:1
	v_cvt_f32_i32_dpp v6, v6 row_bcast:15 row_mask:0xf bank_mask:0xf bound_ctrl:1
	v_mov_b32_dpp v39, v35 row_bcast:31 row_mask:0xf bank_mask:0xf bound_ctrl:1
	v_mov_b32_dpp v38, v8 row_bcast:31 row_mask:0xf bank_mask:0xf bound_ctrl:1
	v_add_f32_e32 v33, v28, v33
	v_add_f32_e32 v28, v0, v6
	v_cvt_i32_f32_e32 v31, v33
	v_cvt_i32_f32_e32 v0, v28
	s_nop 0
	v_mov_b32_dpp v35, v31 row_bcast:31 row_mask:0xf bank_mask:0xf bound_ctrl:1
	v_mov_b32_dpp v31, v0 row_bcast:31 row_mask:0xf bank_mask:0xf bound_ctrl:1
	s_and_saveexec_b64 s[36:37], s[0:1]
	s_cbranch_execz .LBB112_52
; %bb.33:                               ;   in Loop: Header=BB112_12 Depth=1
	s_andn2_b64 vcc, exec, s[28:29]
	s_waitcnt vmcnt(15)
	v_mov_b32_e32 v55, 0
	v_add_u32_e32 v8, 2, v70
	v_add_u32_e32 v6, 3, v70
	s_waitcnt vmcnt(14)
	v_mov_b32_e32 v54, 0
	s_waitcnt vmcnt(13)
	v_mov_b32_e32 v53, 0
	;; [unrolled: 2-line block ×15, first 2 shown]
	s_cbranch_vccnz .LBB112_35
; %bb.34:                               ;   in Loop: Header=BB112_12 Depth=1
	v_mul_hi_u32 v0, v70, v84
	v_mul_lo_u32 v0, v0, s12
	v_sub_u32_e32 v0, v70, v0
	v_add_u32_e32 v42, 1, v70
	v_subrev_u32_e32 v40, s12, v0
	v_cmp_le_u32_e32 vcc, s12, v0
	v_mul_hi_u32 v43, v42, v84
	v_mul_lo_u32 v43, v43, s12
	v_cndmask_b32_e32 v0, v0, v40, vcc
	v_subrev_u32_e32 v40, s12, v0
	v_cmp_le_u32_e32 vcc, s12, v0
	v_sub_u32_e32 v42, v42, v43
	v_subrev_u32_e32 v43, s12, v42
	v_cndmask_b32_e32 v0, v0, v40, vcc
	v_cmp_le_u32_e32 vcc, s12, v42
	v_mov_b32_e32 v47, v1
	v_lshl_add_u64 v[40:41], v[0:1], 1, s[18:19]
	v_cndmask_b32_e32 v42, v42, v43, vcc
	v_subrev_u32_e32 v43, s12, v42
	v_cmp_le_u32_e32 vcc, s12, v42
	v_mov_b32_e32 v57, v1
	v_mov_b32_e32 v61, v1
	v_cndmask_b32_e32 v42, v42, v43, vcc
	v_mov_b32_e32 v43, v1
	v_lshl_add_u64 v[44:45], v[42:43], 1, s[18:19]
	v_mul_hi_u32 v43, v8, v84
	v_mul_lo_u32 v43, v43, s12
	v_sub_u32_e32 v43, v8, v43
	v_subrev_u32_e32 v46, s12, v43
	v_cmp_le_u32_e32 vcc, s12, v43
	s_nop 1
	v_cndmask_b32_e32 v43, v43, v46, vcc
	v_subrev_u32_e32 v46, s12, v43
	v_cmp_le_u32_e32 vcc, s12, v43
	s_nop 1
	v_cndmask_b32_e32 v56, v43, v46, vcc
	v_mul_hi_u32 v43, v6, v84
	v_mul_lo_u32 v43, v43, s12
	v_sub_u32_e32 v43, v6, v43
	v_subrev_u32_e32 v46, s12, v43
	v_cmp_le_u32_e32 vcc, s12, v43
	v_lshl_add_u64 v[58:59], v[56:57], 1, s[18:19]
	s_nop 0
	v_cndmask_b32_e32 v43, v43, v46, vcc
	v_subrev_u32_e32 v46, s12, v43
	v_cmp_le_u32_e32 vcc, s12, v43
	s_nop 1
	v_cndmask_b32_e32 v60, v43, v46, vcc
	v_add_u32_e32 v46, s45, v0
	v_lshl_add_u64 v[64:65], v[46:47], 1, s[18:19]
	v_add_u32_e32 v46, s45, v42
	v_lshl_add_u64 v[66:67], v[46:47], 1, s[18:19]
	;; [unrolled: 2-line block ×4, first 2 shown]
	v_lshl_add_u64 v[76:77], v[46:47], 1, s[18:19]
	global_load_ushort v55, v[40:41], off
	global_load_ushort v54, v[44:45], off
	;; [unrolled: 1-line block ×8, first 2 shown]
	v_add_u32_e32 v40, s46, v0
	v_mov_b32_e32 v41, v1
	v_add_u32_e32 v0, s47, v0
	v_lshl_add_u64 v[58:59], v[40:41], 1, s[18:19]
	v_add_u32_e32 v40, s46, v42
	v_lshl_add_u64 v[68:69], v[0:1], 1, s[18:19]
	;; [unrolled: 2-line block ×7, first 2 shown]
	v_lshl_add_u64 v[60:61], v[0:1], 1, s[18:19]
	global_load_ushort v49, v[58:59], off
	global_load_ushort v47, v[62:63], off
	;; [unrolled: 1-line block ×8, first 2 shown]
.LBB112_35:                             ;   in Loop: Header=BB112_12 Depth=1
	v_cmp_ne_u32_e32 vcc, 0, v2
	s_and_saveexec_b64 s[6:7], vcc
	s_cbranch_execnz .LBB112_57
; %bb.36:                               ;   in Loop: Header=BB112_12 Depth=1
	s_or_b64 exec, exec, s[6:7]
	v_cmp_ne_u32_e64 s[6:7], 0, v3
	s_and_saveexec_b64 s[8:9], s[6:7]
	s_cbranch_execnz .LBB112_58
.LBB112_37:                             ;   in Loop: Header=BB112_12 Depth=1
	s_or_b64 exec, exec, s[8:9]
	v_cmp_ne_u32_e64 s[8:9], 0, v4
	s_and_saveexec_b64 s[10:11], s[8:9]
	s_cbranch_execnz .LBB112_59
.LBB112_38:                             ;   in Loop: Header=BB112_12 Depth=1
	s_or_b64 exec, exec, s[10:11]
	v_cmp_ne_u32_e64 s[10:11], 0, v5
	s_and_saveexec_b64 s[38:39], s[10:11]
	s_cbranch_execnz .LBB112_60
.LBB112_39:                             ;   in Loop: Header=BB112_12 Depth=1
	s_or_b64 exec, exec, s[38:39]
	v_add_u32_e32 v0, s23, v70
	s_and_saveexec_b64 s[38:39], vcc
	s_cbranch_execnz .LBB112_61
.LBB112_40:                             ;   in Loop: Header=BB112_12 Depth=1
	s_or_b64 exec, exec, s[38:39]
	s_and_saveexec_b64 s[38:39], s[6:7]
	s_cbranch_execnz .LBB112_62
.LBB112_41:                             ;   in Loop: Header=BB112_12 Depth=1
	s_or_b64 exec, exec, s[38:39]
	s_and_saveexec_b64 s[38:39], s[8:9]
	s_cbranch_execnz .LBB112_63
.LBB112_42:                             ;   in Loop: Header=BB112_12 Depth=1
	s_or_b64 exec, exec, s[38:39]
	s_and_saveexec_b64 s[38:39], s[10:11]
	s_cbranch_execnz .LBB112_64
.LBB112_43:                             ;   in Loop: Header=BB112_12 Depth=1
	s_or_b64 exec, exec, s[38:39]
	v_add_u32_e32 v0, s23, v0
	s_and_saveexec_b64 s[38:39], vcc
	s_cbranch_execnz .LBB112_65
.LBB112_44:                             ;   in Loop: Header=BB112_12 Depth=1
	s_or_b64 exec, exec, s[38:39]
	s_and_saveexec_b64 s[38:39], s[6:7]
	s_cbranch_execnz .LBB112_66
.LBB112_45:                             ;   in Loop: Header=BB112_12 Depth=1
	s_or_b64 exec, exec, s[38:39]
	s_and_saveexec_b64 s[38:39], s[8:9]
	s_cbranch_execnz .LBB112_67
.LBB112_46:                             ;   in Loop: Header=BB112_12 Depth=1
	s_or_b64 exec, exec, s[38:39]
	s_and_saveexec_b64 s[38:39], s[10:11]
	s_cbranch_execnz .LBB112_68
.LBB112_47:                             ;   in Loop: Header=BB112_12 Depth=1
	s_or_b64 exec, exec, s[38:39]
	v_add_u32_e32 v0, s23, v0
	s_and_saveexec_b64 s[38:39], vcc
	s_cbranch_execnz .LBB112_69
.LBB112_48:                             ;   in Loop: Header=BB112_12 Depth=1
	s_or_b64 exec, exec, s[38:39]
	s_and_saveexec_b64 s[38:39], s[6:7]
	s_cbranch_execnz .LBB112_70
.LBB112_49:                             ;   in Loop: Header=BB112_12 Depth=1
	s_or_b64 exec, exec, s[38:39]
	s_and_saveexec_b64 s[6:7], s[8:9]
	s_cbranch_execnz .LBB112_71
.LBB112_50:                             ;   in Loop: Header=BB112_12 Depth=1
	s_or_b64 exec, exec, s[6:7]
	s_and_b64 exec, exec, s[10:11]
	s_cbranch_execz .LBB112_52
.LBB112_51:                             ;   in Loop: Header=BB112_12 Depth=1
	v_cvt_f32_i32_e32 v6, v31
	s_waitcnt vmcnt(0)
	v_cvt_f32_f16_e32 v7, v40
	v_add_u32_e32 v0, 3, v0
	v_add_f32_e32 v6, v28, v6
	v_add_f32_e32 v6, v6, v7
	v_cvt_f16_f32_e32 v8, v6
	v_lshl_add_u64 v[6:7], v[0:1], 1, s[24:25]
	global_store_short v[6:7], v8, off
.LBB112_52:                             ;   in Loop: Header=BB112_12 Depth=1
	s_or_b64 exec, exec, s[36:37]
	v_add_u32_e32 v70, s44, v70
	v_add_u32_e32 v0, 4, v70
	v_cmp_gt_u32_e32 vcc, s23, v70
	v_cmp_le_u32_e64 s[6:7], s23, v0
	s_and_b64 s[6:7], vcc, s[6:7]
	s_and_saveexec_b64 s[8:9], s[6:7]
	s_cbranch_execz .LBB112_10
; %bb.53:                               ;   in Loop: Header=BB112_12 Depth=1
	v_cmp_ne_u32_e32 vcc, s13, v70
	s_and_saveexec_b64 s[10:11], vcc
	s_cbranch_execz .LBB112_9
; %bb.54:                               ;   in Loop: Header=BB112_12 Depth=1
	v_subrev_u32_e32 v0, s13, v70
	v_cmp_lt_u32_e32 vcc, 1, v0
	s_mov_b64 s[36:37], 0
	s_mov_b64 s[38:39], 0
	v_cndmask_b32_e32 v0, 1, v0, vcc
.LBB112_55:                             ;   Parent Loop BB112_12 Depth=1
                                        ; =>  This Inner Loop Header: Depth=2
	s_cmp_lg_u32 s38, 3
	s_cselect_b64 vcc, -1, 0
	s_cmp_lg_u32 s38, 2
	v_cndmask_b32_e32 v5, 0, v5, vcc
	s_cselect_b64 vcc, -1, 0
	s_cmp_lg_u32 s38, 1
	v_cndmask_b32_e32 v4, 0, v4, vcc
	;; [unrolled: 3-line block ×3, first 2 shown]
	s_cselect_b64 vcc, -1, 0
	s_add_u32 s38, s38, 1
	s_addc_u32 s39, s39, 0
	v_cmp_eq_u32_e64 s[6:7], s38, v0
	s_or_b64 s[36:37], s[6:7], s[36:37]
	v_cndmask_b32_e32 v2, 0, v2, vcc
	s_andn2_b64 exec, exec, s[36:37]
	s_cbranch_execnz .LBB112_55
; %bb.56:                               ;   in Loop: Header=BB112_12 Depth=1
	s_or_b64 exec, exec, s[36:37]
	s_branch .LBB112_9
.LBB112_57:                             ;   in Loop: Header=BB112_12 Depth=1
	v_cvt_f32_i32_e32 v0, v13
	s_waitcnt vmcnt(15)
	v_cvt_f32_f16_e32 v13, v55
	v_mov_b32_e32 v71, v1
	v_lshl_add_u64 v[56:57], v[70:71], 1, s[24:25]
	v_add_f32_e32 v0, v10, v0
	v_add_f32_e32 v0, v0, v13
	v_cvt_f16_f32_e32 v0, v0
	global_store_short v[56:57], v0, off
	s_or_b64 exec, exec, s[6:7]
	v_cmp_ne_u32_e64 s[6:7], 0, v3
	s_and_saveexec_b64 s[8:9], s[6:7]
	s_cbranch_execz .LBB112_37
.LBB112_58:                             ;   in Loop: Header=BB112_12 Depth=1
	v_cvt_f32_i32_e32 v0, v12
	s_waitcnt vmcnt(14)
	v_cvt_f32_f16_e32 v10, v54
	v_mov_b32_e32 v71, v1
	v_lshl_add_u64 v[12:13], v[70:71], 1, s[30:31]
	v_add_f32_e32 v0, v7, v0
	v_add_f32_e32 v0, v0, v10
	v_cvt_f16_f32_e32 v0, v0
	global_store_short v[12:13], v0, off
	s_or_b64 exec, exec, s[8:9]
	v_cmp_ne_u32_e64 s[8:9], 0, v4
	s_and_saveexec_b64 s[10:11], s[8:9]
	s_cbranch_execz .LBB112_38
.LBB112_59:                             ;   in Loop: Header=BB112_12 Depth=1
	v_cvt_f32_i32_e32 v0, v15
	s_waitcnt vmcnt(13)
	v_cvt_f32_f16_e32 v7, v53
	v_add_f32_e32 v0, v9, v0
	v_add_f32_e32 v0, v0, v7
	v_cvt_f16_f32_e32 v0, v0
	v_mov_b32_e32 v9, v1
	v_lshl_add_u64 v[8:9], v[8:9], 1, s[24:25]
	global_store_short v[8:9], v0, off
	s_or_b64 exec, exec, s[10:11]
	v_cmp_ne_u32_e64 s[10:11], 0, v5
	s_and_saveexec_b64 s[38:39], s[10:11]
	s_cbranch_execz .LBB112_39
.LBB112_60:                             ;   in Loop: Header=BB112_12 Depth=1
	v_cvt_f32_i32_e32 v0, v17
	s_waitcnt vmcnt(12)
	v_cvt_f32_f16_e32 v7, v52
	v_add_f32_e32 v0, v11, v0
	v_add_f32_e32 v0, v0, v7
	v_cvt_f16_f32_e32 v0, v0
	v_mov_b32_e32 v7, v1
	v_lshl_add_u64 v[6:7], v[6:7], 1, s[24:25]
	global_store_short v[6:7], v0, off
	s_or_b64 exec, exec, s[38:39]
	v_add_u32_e32 v0, s23, v70
	s_and_saveexec_b64 s[38:39], vcc
	s_cbranch_execz .LBB112_40
.LBB112_61:                             ;   in Loop: Header=BB112_12 Depth=1
	v_cvt_f32_i32_e32 v6, v20
	s_waitcnt vmcnt(11)
	v_cvt_f32_f16_e32 v7, v51
	v_add_f32_e32 v6, v14, v6
	v_add_f32_e32 v6, v6, v7
	v_cvt_f16_f32_e32 v8, v6
	v_lshl_add_u64 v[6:7], v[0:1], 1, s[24:25]
	global_store_short v[6:7], v8, off
	s_or_b64 exec, exec, s[38:39]
	s_and_saveexec_b64 s[38:39], s[6:7]
	s_cbranch_execz .LBB112_41
.LBB112_62:                             ;   in Loop: Header=BB112_12 Depth=1
	v_cvt_f32_i32_e32 v6, v21
	s_waitcnt vmcnt(10)
	v_cvt_f32_f16_e32 v7, v50
	v_add_f32_e32 v6, v16, v6
	v_add_f32_e32 v6, v6, v7
	v_cvt_f16_f32_e32 v8, v6
	v_add_u32_e32 v6, 1, v0
	v_mov_b32_e32 v7, v1
	v_lshl_add_u64 v[6:7], v[6:7], 1, s[24:25]
	global_store_short v[6:7], v8, off
	s_or_b64 exec, exec, s[38:39]
	s_and_saveexec_b64 s[38:39], s[8:9]
	s_cbranch_execz .LBB112_42
.LBB112_63:                             ;   in Loop: Header=BB112_12 Depth=1
	v_cvt_f32_i32_e32 v6, v22
	s_waitcnt vmcnt(9)
	v_cvt_f32_f16_e32 v7, v48
	v_add_f32_e32 v6, v18, v6
	v_add_f32_e32 v6, v6, v7
	v_cvt_f16_f32_e32 v8, v6
	v_add_u32_e32 v6, 2, v0
	v_mov_b32_e32 v7, v1
	v_lshl_add_u64 v[6:7], v[6:7], 1, s[24:25]
	global_store_short v[6:7], v8, off
	s_or_b64 exec, exec, s[38:39]
	s_and_saveexec_b64 s[38:39], s[10:11]
	s_cbranch_execz .LBB112_43
.LBB112_64:                             ;   in Loop: Header=BB112_12 Depth=1
	v_cvt_f32_i32_e32 v6, v24
	s_waitcnt vmcnt(8)
	v_cvt_f32_f16_e32 v7, v46
	v_add_f32_e32 v6, v19, v6
	v_add_f32_e32 v6, v6, v7
	v_cvt_f16_f32_e32 v8, v6
	v_add_u32_e32 v6, 3, v0
	v_mov_b32_e32 v7, v1
	v_lshl_add_u64 v[6:7], v[6:7], 1, s[24:25]
	global_store_short v[6:7], v8, off
	s_or_b64 exec, exec, s[38:39]
	v_add_u32_e32 v0, s23, v0
	s_and_saveexec_b64 s[38:39], vcc
	s_cbranch_execz .LBB112_44
.LBB112_65:                             ;   in Loop: Header=BB112_12 Depth=1
	v_cvt_f32_i32_e32 v6, v30
	s_waitcnt vmcnt(7)
	v_cvt_f32_f16_e32 v7, v49
	v_add_f32_e32 v6, v23, v6
	v_add_f32_e32 v6, v6, v7
	v_cvt_f16_f32_e32 v8, v6
	v_lshl_add_u64 v[6:7], v[0:1], 1, s[24:25]
	global_store_short v[6:7], v8, off
	s_or_b64 exec, exec, s[38:39]
	s_and_saveexec_b64 s[38:39], s[6:7]
	s_cbranch_execz .LBB112_45
.LBB112_66:                             ;   in Loop: Header=BB112_12 Depth=1
	v_cvt_f32_i32_e32 v6, v32
	s_waitcnt vmcnt(6)
	v_cvt_f32_f16_e32 v7, v47
	v_add_f32_e32 v6, v25, v6
	v_add_f32_e32 v6, v6, v7
	v_cvt_f16_f32_e32 v8, v6
	v_add_u32_e32 v6, 1, v0
	v_mov_b32_e32 v7, v1
	v_lshl_add_u64 v[6:7], v[6:7], 1, s[24:25]
	global_store_short v[6:7], v8, off
	s_or_b64 exec, exec, s[38:39]
	s_and_saveexec_b64 s[38:39], s[8:9]
	s_cbranch_execz .LBB112_46
.LBB112_67:                             ;   in Loop: Header=BB112_12 Depth=1
	v_cvt_f32_i32_e32 v6, v34
	s_waitcnt vmcnt(5)
	v_cvt_f32_f16_e32 v7, v45
	v_add_f32_e32 v6, v26, v6
	v_add_f32_e32 v6, v6, v7
	v_cvt_f16_f32_e32 v8, v6
	v_add_u32_e32 v6, 2, v0
	v_mov_b32_e32 v7, v1
	v_lshl_add_u64 v[6:7], v[6:7], 1, s[24:25]
	global_store_short v[6:7], v8, off
	s_or_b64 exec, exec, s[38:39]
	s_and_saveexec_b64 s[38:39], s[10:11]
	s_cbranch_execz .LBB112_47
.LBB112_68:                             ;   in Loop: Header=BB112_12 Depth=1
	v_cvt_f32_i32_e32 v6, v29
	s_waitcnt vmcnt(4)
	v_cvt_f32_f16_e32 v7, v44
	v_add_f32_e32 v6, v27, v6
	v_add_f32_e32 v6, v6, v7
	v_cvt_f16_f32_e32 v8, v6
	v_add_u32_e32 v6, 3, v0
	v_mov_b32_e32 v7, v1
	v_lshl_add_u64 v[6:7], v[6:7], 1, s[24:25]
	global_store_short v[6:7], v8, off
	s_or_b64 exec, exec, s[38:39]
	v_add_u32_e32 v0, s23, v0
	s_and_saveexec_b64 s[38:39], vcc
	s_cbranch_execz .LBB112_48
.LBB112_69:                             ;   in Loop: Header=BB112_12 Depth=1
	v_cvt_f32_i32_e32 v6, v39
	s_waitcnt vmcnt(3)
	v_cvt_f32_f16_e32 v7, v43
	v_add_f32_e32 v6, v37, v6
	v_add_f32_e32 v6, v6, v7
	v_cvt_f16_f32_e32 v8, v6
	v_lshl_add_u64 v[6:7], v[0:1], 1, s[24:25]
	global_store_short v[6:7], v8, off
	s_or_b64 exec, exec, s[38:39]
	s_and_saveexec_b64 s[38:39], s[6:7]
	s_cbranch_execz .LBB112_49
.LBB112_70:                             ;   in Loop: Header=BB112_12 Depth=1
	v_cvt_f32_i32_e32 v6, v38
	s_waitcnt vmcnt(2)
	v_cvt_f32_f16_e32 v7, v42
	v_add_f32_e32 v6, v36, v6
	v_add_f32_e32 v6, v6, v7
	v_cvt_f16_f32_e32 v8, v6
	v_add_u32_e32 v6, 1, v0
	v_mov_b32_e32 v7, v1
	v_lshl_add_u64 v[6:7], v[6:7], 1, s[24:25]
	global_store_short v[6:7], v8, off
	s_or_b64 exec, exec, s[38:39]
	s_and_saveexec_b64 s[6:7], s[8:9]
	s_cbranch_execz .LBB112_50
.LBB112_71:                             ;   in Loop: Header=BB112_12 Depth=1
	v_cvt_f32_i32_e32 v6, v35
	s_waitcnt vmcnt(1)
	v_cvt_f32_f16_e32 v7, v41
	v_add_f32_e32 v6, v33, v6
	v_add_f32_e32 v6, v6, v7
	v_cvt_f16_f32_e32 v8, v6
	v_add_u32_e32 v6, 2, v0
	v_mov_b32_e32 v7, v1
	v_lshl_add_u64 v[6:7], v[6:7], 1, s[24:25]
	global_store_short v[6:7], v8, off
	s_or_b64 exec, exec, s[6:7]
	s_and_b64 exec, exec, s[10:11]
	s_cbranch_execnz .LBB112_51
	s_branch .LBB112_52
.LBB112_72:
	s_endpgm
	.section	.rodata,"a",@progbits
	.p2align	6, 0x0
	.amdhsa_kernel _Z16wvSplitK_hf_big_I6__halfLi32ELi4ELi16ELi8ELi2ELi4EEviiiiiiPKT_S3_S3_PS1_ii
		.amdhsa_group_segment_fixed_size 65536
		.amdhsa_private_segment_fixed_size 0
		.amdhsa_kernarg_size 64
		.amdhsa_user_sgpr_count 2
		.amdhsa_user_sgpr_dispatch_ptr 0
		.amdhsa_user_sgpr_queue_ptr 0
		.amdhsa_user_sgpr_kernarg_segment_ptr 1
		.amdhsa_user_sgpr_dispatch_id 0
		.amdhsa_user_sgpr_kernarg_preload_length 0
		.amdhsa_user_sgpr_kernarg_preload_offset 0
		.amdhsa_user_sgpr_private_segment_size 0
		.amdhsa_uses_dynamic_stack 0
		.amdhsa_enable_private_segment 0
		.amdhsa_system_sgpr_workgroup_id_x 1
		.amdhsa_system_sgpr_workgroup_id_y 0
		.amdhsa_system_sgpr_workgroup_id_z 0
		.amdhsa_system_sgpr_workgroup_info 0
		.amdhsa_system_vgpr_workitem_id 1
		.amdhsa_next_free_vgpr 106
		.amdhsa_next_free_sgpr 54
		.amdhsa_accum_offset 108
		.amdhsa_reserve_vcc 1
		.amdhsa_float_round_mode_32 0
		.amdhsa_float_round_mode_16_64 0
		.amdhsa_float_denorm_mode_32 3
		.amdhsa_float_denorm_mode_16_64 3
		.amdhsa_dx10_clamp 1
		.amdhsa_ieee_mode 1
		.amdhsa_fp16_overflow 0
		.amdhsa_tg_split 0
		.amdhsa_exception_fp_ieee_invalid_op 0
		.amdhsa_exception_fp_denorm_src 0
		.amdhsa_exception_fp_ieee_div_zero 0
		.amdhsa_exception_fp_ieee_overflow 0
		.amdhsa_exception_fp_ieee_underflow 0
		.amdhsa_exception_fp_ieee_inexact 0
		.amdhsa_exception_int_div_zero 0
	.end_amdhsa_kernel
	.section	.text._Z16wvSplitK_hf_big_I6__halfLi32ELi4ELi16ELi8ELi2ELi4EEviiiiiiPKT_S3_S3_PS1_ii,"axG",@progbits,_Z16wvSplitK_hf_big_I6__halfLi32ELi4ELi16ELi8ELi2ELi4EEviiiiiiPKT_S3_S3_PS1_ii,comdat
.Lfunc_end112:
	.size	_Z16wvSplitK_hf_big_I6__halfLi32ELi4ELi16ELi8ELi2ELi4EEviiiiiiPKT_S3_S3_PS1_ii, .Lfunc_end112-_Z16wvSplitK_hf_big_I6__halfLi32ELi4ELi16ELi8ELi2ELi4EEviiiiiiPKT_S3_S3_PS1_ii
                                        ; -- End function
	.section	.AMDGPU.csdata,"",@progbits
; Kernel info:
; codeLenInByte = 6516
; NumSgprs: 60
; NumVgprs: 106
; NumAgprs: 0
; TotalNumVgprs: 106
; ScratchSize: 0
; MemoryBound: 0
; FloatMode: 240
; IeeeMode: 1
; LDSByteSize: 65536 bytes/workgroup (compile time only)
; SGPRBlocks: 7
; VGPRBlocks: 13
; NumSGPRsForWavesPerEU: 60
; NumVGPRsForWavesPerEU: 106
; AccumOffset: 108
; Occupancy: 2
; WaveLimiterHint : 0
; COMPUTE_PGM_RSRC2:SCRATCH_EN: 0
; COMPUTE_PGM_RSRC2:USER_SGPR: 2
; COMPUTE_PGM_RSRC2:TRAP_HANDLER: 0
; COMPUTE_PGM_RSRC2:TGID_X_EN: 1
; COMPUTE_PGM_RSRC2:TGID_Y_EN: 0
; COMPUTE_PGM_RSRC2:TGID_Z_EN: 0
; COMPUTE_PGM_RSRC2:TIDIG_COMP_CNT: 1
; COMPUTE_PGM_RSRC3_GFX90A:ACCUM_OFFSET: 26
; COMPUTE_PGM_RSRC3_GFX90A:TG_SPLIT: 0
	.section	.text._Z16wvSplitK_hf_sml_I6__halfLi64ELi1ELi16ELi8ELi4ELi4EEviiiiiiPKT_S3_S3_PS1_ii,"axG",@progbits,_Z16wvSplitK_hf_sml_I6__halfLi64ELi1ELi16ELi8ELi4ELi4EEviiiiiiPKT_S3_S3_PS1_ii,comdat
	.protected	_Z16wvSplitK_hf_sml_I6__halfLi64ELi1ELi16ELi8ELi4ELi4EEviiiiiiPKT_S3_S3_PS1_ii ; -- Begin function _Z16wvSplitK_hf_sml_I6__halfLi64ELi1ELi16ELi8ELi4ELi4EEviiiiiiPKT_S3_S3_PS1_ii
	.globl	_Z16wvSplitK_hf_sml_I6__halfLi64ELi1ELi16ELi8ELi4ELi4EEviiiiiiPKT_S3_S3_PS1_ii
	.p2align	8
	.type	_Z16wvSplitK_hf_sml_I6__halfLi64ELi1ELi16ELi8ELi4ELi4EEviiiiiiPKT_S3_S3_PS1_ii,@function
_Z16wvSplitK_hf_sml_I6__halfLi64ELi1ELi16ELi8ELi4ELi4EEviiiiiiPKT_S3_S3_PS1_ii: ; @_Z16wvSplitK_hf_sml_I6__halfLi64ELi1ELi16ELi8ELi4ELi4EEviiiiiiPKT_S3_S3_PS1_ii
; %bb.0:
	s_load_dwordx4 s[4:7], s[0:1], 0x0
	s_load_dwordx2 s[8:9], s[0:1], 0x10
	s_load_dwordx2 s[10:11], s[0:1], 0x28
	v_and_b32_e32 v2, 0x3ff, v0
	v_bfe_u32 v3, v0, 10, 10
	v_lshlrev_b32_e32 v86, 3, v2
	s_waitcnt lgkmcnt(0)
	s_lshl_b32 s28, s6, 2
	v_lshl_add_u32 v4, v3, 9, v86
	s_min_u32 s3, s28, 0x8000
	v_cmp_gt_u32_e32 vcc, s3, v4
	s_and_saveexec_b64 s[12:13], vcc
	s_cbranch_execz .LBB113_3
; %bb.1:
	s_load_dwordx2 s[14:15], s[0:1], 0x20
	v_mov_b32_e32 v7, 0
	v_lshlrev_b32_e32 v6, 10, v3
	v_lshlrev_b32_e32 v8, 4, v2
	v_mov_b32_e32 v9, v7
	v_lshl_add_u64 v[0:1], v[6:7], 0, v[8:9]
	s_waitcnt lgkmcnt(0)
	v_lshl_add_u64 v[0:1], s[14:15], 0, v[0:1]
	v_add_u32_e32 v5, v6, v8
	s_mov_b64 s[14:15], 0
	s_mov_b64 s[16:17], 0x4000
.LBB113_2:                              ; =>This Inner Loop Header: Depth=1
	global_load_dwordx4 v[6:9], v[0:1], off
	v_add_u32_e32 v4, 0x2000, v4
	v_cmp_le_u32_e32 vcc, s3, v4
	v_lshl_add_u64 v[0:1], v[0:1], 0, s[16:17]
	s_or_b64 s[14:15], vcc, s[14:15]
	s_waitcnt vmcnt(0)
	ds_write_b128 v5, v[6:9]
	v_add_u32_e32 v5, 0x4000, v5
	s_andn2_b64 exec, exec, s[14:15]
	s_cbranch_execnz .LBB113_2
.LBB113_3:
	s_or_b64 exec, exec, s[12:13]
	s_load_dwordx2 s[20:21], s[0:1], 0x38
	s_waitcnt lgkmcnt(0)
	s_barrier
	v_cmp_gt_u32_e32 vcc, s20, v3
	s_and_saveexec_b64 s[12:13], vcc
	s_cbranch_execz .LBB113_24
; %bb.4:
	s_mul_i32 s2, s2, s20
	v_add_u32_e32 v64, s2, v3
	v_cmp_gt_u32_e32 vcc, s7, v64
	s_and_b64 exec, exec, vcc
	s_cbranch_execz .LBB113_24
; %bb.5:
	s_cmp_lg_u32 s4, 0
	s_cselect_b64 s[2:3], -1, 0
	s_add_i32 s29, s4, -8
	s_add_i32 s30, s7, -1
	s_cmp_lg_u64 s[10:11], 0
	s_cselect_b64 s[18:19], -1, 0
	s_abs_i32 s22, s9
	v_cvt_f32_u32_e32 v0, s8
	v_cvt_f32_u32_e32 v1, s22
	s_mul_i32 s9, s21, s20
	s_sub_i32 s20, 0, s8
	v_rcp_iflag_f32_e32 v0, v0
	v_rcp_iflag_f32_e32 v1, v1
	s_load_dwordx2 s[12:13], s[0:1], 0x18
	s_load_dwordx2 s[14:15], s[0:1], 0x30
	v_cmp_eq_u32_e64 s[0:1], 63, v2
	v_mul_f32_e32 v0, 0x4f7ffffe, v0
	v_mul_f32_e32 v1, 0x4f7ffffe, v1
	v_cvt_u32_f32_e32 v0, v0
	v_cvt_u32_f32_e32 v1, v1
	s_mov_b64 s[16:17], 0
	v_mov_b32_e32 v67, 0
	v_mul_lo_u32 v3, s20, v0
	s_sub_i32 s20, 0, s22
	v_readfirstlane_b32 s21, v1
	s_mul_i32 s20, s20, s21
	s_mul_hi_u32 s20, s21, s20
	s_add_i32 s21, s21, s20
	s_sub_i32 s20, 1, s22
	s_cmp_lt_u32 s22, 2
	s_cselect_b32 s20, s20, 1
	s_sub_i32 s23, s20, s22
	s_cmp_ge_u32 s20, s22
	s_cselect_b32 s31, s23, s20
	s_lshr_b32 s20, s21, 31
	s_mul_i32 s20, s20, s22
	s_sub_i32 s20, 2, s20
	s_sub_i32 s23, s20, s22
	s_cmp_ge_u32 s20, s22
	s_cselect_b32 s20, s23, s20
	s_sub_i32 s23, s20, s22
	s_cmp_ge_u32 s20, s22
	s_cselect_b32 s33, s23, s20
	s_mul_hi_u32 s20, s21, 3
	s_mul_i32 s20, s20, s22
	s_sub_i32 s20, 3, s20
	s_sub_i32 s21, s20, s22
	s_cmp_ge_u32 s20, s22
	s_cselect_b32 s20, s21, s20
	s_sub_i32 s21, s20, s22
	v_mul_hi_u32 v3, v0, v3
	s_cmp_ge_u32 s20, s22
	v_add_u32_e32 v87, v0, v3
	s_cselect_b32 s34, s21, s20
	v_cndmask_b32_e64 v0, 0, 1, s[2:3]
	s_mul_i32 s31, s31, s8
	s_mul_i32 s33, s33, s8
	s_mul_i32 s34, s34, s8
	s_mul_i32 s35, s6, 6
	v_lshlrev_b32_e32 v88, 4, v2
	s_lshl_b32 s6, s6, 1
	v_cmp_ne_u32_e64 s[2:3], 1, v0
	s_branch .LBB113_8
.LBB113_6:                              ;   in Loop: Header=BB113_8 Depth=1
	v_cvt_f32_i32_e32 v7, v7
	s_waitcnt vmcnt(3)
	v_cvt_f32_f16_e32 v11, v11
	v_cvt_f32_i32_e32 v6, v6
	v_cvt_f32_i32_e32 v5, v5
	v_add_f32_e32 v0, v0, v7
	v_cvt_f32_i32_e32 v4, v4
	v_add_f32_e32 v0, v0, v11
	v_add_f32_e32 v2, v2, v6
	;; [unrolled: 1-line block ×3, first 2 shown]
	v_cvt_f16_f32_e32 v5, v0
	s_waitcnt vmcnt(2)
	v_cvt_f32_f16_e32 v6, v10
	v_add_f32_e32 v4, v1, v4
	s_waitcnt lgkmcnt(0)
	v_lshl_add_u64 v[0:1], v[64:65], 1, s[14:15]
	global_store_short v[0:1], v5, off
	v_add_f32_e32 v0, v2, v6
	v_cvt_f16_f32_e32 v2, v0
	v_add_u32_e32 v66, s7, v64
	s_waitcnt vmcnt(2)
	v_cvt_f32_f16_e32 v5, v9
	v_lshl_add_u64 v[0:1], v[66:67], 1, s[14:15]
	global_store_short v[0:1], v2, off
	s_waitcnt vmcnt(2)
	v_cvt_f32_f16_e32 v2, v8
	v_add_f32_e32 v0, v3, v5
	v_cvt_f16_f32_e32 v3, v0
	v_add_u32_e32 v66, s7, v66
	v_add_f32_e32 v2, v4, v2
	v_cvt_f16_f32_e32 v2, v2
	v_lshl_add_u64 v[0:1], v[66:67], 1, s[14:15]
	v_add_u32_e32 v66, s7, v66
	global_store_short v[0:1], v3, off
	v_lshl_add_u64 v[0:1], v[66:67], 1, s[14:15]
	global_store_short v[0:1], v2, off
.LBB113_7:                              ;   in Loop: Header=BB113_8 Depth=1
	s_or_b64 exec, exec, s[20:21]
	v_add_u32_e32 v64, s9, v64
	v_cmp_le_u32_e32 vcc, s7, v64
	s_or_b64 s[16:17], vcc, s[16:17]
	s_andn2_b64 exec, exec, s[16:17]
	s_cbranch_execz .LBB113_24
.LBB113_8:                              ; =>This Loop Header: Depth=1
                                        ;     Child Loop BB113_14 Depth 2
	s_mov_b32 s36, 0
	s_and_b64 vcc, exec, s[2:3]
	v_mov_b32_e32 v91, v67
	v_mov_b32_e32 v90, v67
	;; [unrolled: 1-line block ×4, first 2 shown]
	s_cbranch_vccnz .LBB113_19
; %bb.9:                                ;   in Loop: Header=BB113_8 Depth=1
	v_min_u32_e32 v0, s30, v64
	v_mul_lo_u32 v66, v0, s5
	s_waitcnt lgkmcnt(0)
	v_lshl_add_u64 v[68:69], v[66:67], 1, s[12:13]
	v_mov_b32_e32 v65, 0
	v_mov_b32_e32 v92, v88
	;; [unrolled: 1-line block ×5, first 2 shown]
	s_branch .LBB113_14
.LBB113_10:                             ;   in Loop: Header=BB113_14 Depth=2
	s_or_b64 exec, exec, s[26:27]
.LBB113_11:                             ;   in Loop: Header=BB113_14 Depth=2
	s_or_b64 exec, exec, s[24:25]
.LBB113_12:                             ;   in Loop: Header=BB113_14 Depth=2
	s_or_b64 exec, exec, s[22:23]
.LBB113_13:                             ;   in Loop: Header=BB113_14 Depth=2
	s_or_b64 exec, exec, s[20:21]
	s_waitcnt vmcnt(3) lgkmcnt(4)
	;;#ASMSTART
	v_dot2c_f32_f16 v91, v32, v12
	;;#ASMEND
	s_waitcnt lgkmcnt(3)
	;;#ASMSTART
	v_dot2c_f32_f16 v90, v28, v12
	;;#ASMEND
	s_waitcnt lgkmcnt(2)
	;; [unrolled: 4-line block ×3, first 2 shown]
	;;#ASMSTART
	v_dot2c_f32_f16 v65, v20, v12
	;;#ASMEND
	s_addk_i32 s36, 0x800
	;;#ASMSTART
	v_dot2c_f32_f16 v91, v33, v13
	;;#ASMEND
	;;#ASMSTART
	v_dot2c_f32_f16 v90, v29, v13
	;;#ASMEND
	;; [unrolled: 3-line block ×4, first 2 shown]
	s_cmp_ge_u32 s36, s4
	;;#ASMSTART
	v_dot2c_f32_f16 v91, v34, v14
	;;#ASMEND
	;;#ASMSTART
	v_dot2c_f32_f16 v90, v30, v14
	;;#ASMEND
	;; [unrolled: 3-line block ×4, first 2 shown]
	v_add_u32_e32 v92, 0x1000, v92
	;;#ASMSTART
	v_dot2c_f32_f16 v91, v35, v15
	;;#ASMEND
	;;#ASMSTART
	v_dot2c_f32_f16 v90, v31, v15
	;;#ASMEND
	;;#ASMSTART
	v_dot2c_f32_f16 v89, v77, v15
	;;#ASMEND
	;;#ASMSTART
	v_dot2c_f32_f16 v65, v23, v15
	;;#ASMEND
	s_waitcnt vmcnt(2)
	;;#ASMSTART
	v_dot2c_f32_f16 v91, v56, v8
	;;#ASMEND
	;;#ASMSTART
	v_dot2c_f32_f16 v90, v52, v8
	;;#ASMEND
	;;#ASMSTART
	v_dot2c_f32_f16 v89, v84, v8
	;;#ASMEND
	;;#ASMSTART
	v_dot2c_f32_f16 v65, v44, v8
	;;#ASMEND
	s_nop 0
	;;#ASMSTART
	v_dot2c_f32_f16 v91, v57, v9
	;;#ASMEND
	;;#ASMSTART
	v_dot2c_f32_f16 v90, v53, v9
	;;#ASMEND
	;;#ASMSTART
	v_dot2c_f32_f16 v89, v85, v9
	;;#ASMEND
	;;#ASMSTART
	v_dot2c_f32_f16 v65, v45, v9
	;;#ASMEND
	s_nop 0
	;;#ASMSTART
	v_dot2c_f32_f16 v91, v58, v10
	;;#ASMEND
	;;#ASMSTART
	v_dot2c_f32_f16 v90, v54, v10
	;;#ASMEND
	;;#ASMSTART
	v_dot2c_f32_f16 v89, v82, v10
	;;#ASMEND
	;;#ASMSTART
	v_dot2c_f32_f16 v65, v46, v10
	;;#ASMEND
	s_nop 0
	;;#ASMSTART
	v_dot2c_f32_f16 v91, v59, v11
	;;#ASMEND
	;;#ASMSTART
	v_dot2c_f32_f16 v90, v55, v11
	;;#ASMEND
	;;#ASMSTART
	v_dot2c_f32_f16 v89, v83, v11
	;;#ASMEND
	;;#ASMSTART
	v_dot2c_f32_f16 v65, v47, v11
	;;#ASMEND
	s_waitcnt vmcnt(1)
	;;#ASMSTART
	v_dot2c_f32_f16 v91, v60, v4
	;;#ASMEND
	;;#ASMSTART
	v_dot2c_f32_f16 v90, v48, v4
	;;#ASMEND
	;;#ASMSTART
	v_dot2c_f32_f16 v89, v80, v4
	;;#ASMEND
	;;#ASMSTART
	v_dot2c_f32_f16 v65, v36, v4
	;;#ASMEND
	s_nop 0
	;;#ASMSTART
	v_dot2c_f32_f16 v91, v61, v5
	;;#ASMEND
	;;#ASMSTART
	v_dot2c_f32_f16 v90, v49, v5
	;;#ASMEND
	;;#ASMSTART
	v_dot2c_f32_f16 v89, v81, v5
	;;#ASMEND
	;;#ASMSTART
	v_dot2c_f32_f16 v65, v37, v5
	;;#ASMEND
	s_nop 0
	;;#ASMSTART
	v_dot2c_f32_f16 v91, v62, v6
	;;#ASMEND
	;;#ASMSTART
	v_dot2c_f32_f16 v90, v50, v6
	;;#ASMEND
	;;#ASMSTART
	v_dot2c_f32_f16 v89, v78, v6
	;;#ASMEND
	;;#ASMSTART
	v_dot2c_f32_f16 v65, v38, v6
	;;#ASMEND
	s_nop 0
	;; [unrolled: 52-line block ×3, first 2 shown]
	;;#ASMSTART
	v_dot2c_f32_f16 v91, v43, v3
	;;#ASMEND
	;;#ASMSTART
	v_dot2c_f32_f16 v90, v27, v3
	;;#ASMEND
	;; [unrolled: 3-line block ×4, first 2 shown]
	s_cbranch_scc1 .LBB113_19
.LBB113_14:                             ;   Parent Loop BB113_8 Depth=1
                                        ; =>  This Inner Loop Header: Depth=2
	v_add_u32_e32 v20, s36, v86
	v_min_u32_e32 v66, s29, v20
	v_add_u32_e32 v97, 0x200, v20
	v_lshl_add_u64 v[0:1], v[66:67], 1, v[68:69]
	v_min_u32_e32 v66, s29, v97
	v_add_u32_e32 v94, 0x400, v20
	v_lshl_add_u64 v[2:3], v[66:67], 1, v[68:69]
	;; [unrolled: 3-line block ×3, first 2 shown]
	v_min_u32_e32 v66, s29, v93
	global_load_dwordx4 v[12:15], v[0:1], off nt
	global_load_dwordx4 v[8:11], v[2:3], off nt
	v_lshl_add_u64 v[18:19], v[66:67], 1, v[68:69]
	global_load_dwordx4 v[4:7], v[16:17], off nt
	global_load_dwordx4 v[0:3], v[18:19], off nt
	v_cmp_gt_u32_e32 vcc, s4, v20
	v_mov_b32_e32 v32, 0
	v_mov_b32_e32 v33, 0
	;; [unrolled: 1-line block ×64, first 2 shown]
	s_and_saveexec_b64 s[20:21], vcc
	s_cbranch_execz .LBB113_13
; %bb.15:                               ;   in Loop: Header=BB113_14 Depth=2
	v_add_u32_e32 v66, s6, v92
	v_add_u32_e32 v95, s28, v92
	ds_read_b128 v[32:35], v92
	ds_read_b128 v[28:31], v66
	ds_read2_b32 v[74:75], v95 offset1:1
	v_add_u32_e32 v96, s35, v92
	ds_read2_b32 v[76:77], v95 offset0:2 offset1:3
	ds_read_b128 v[20:23], v96
	v_cmp_gt_u32_e32 vcc, s4, v97
	v_mov_b32_e32 v19, 0
	v_mov_b32_e32 v18, 0
	;; [unrolled: 1-line block ×48, first 2 shown]
	s_and_saveexec_b64 s[22:23], vcc
	s_cbranch_execz .LBB113_12
; %bb.16:                               ;   in Loop: Header=BB113_14 Depth=2
	v_add_u32_e32 v16, 0x400, v95
	ds_read_b128 v[56:59], v92 offset:1024
	v_add_u32_e32 v17, 0x408, v95
	ds_read2_b32 v[84:85], v16 offset1:1
	ds_read2_b32 v[82:83], v17 offset1:1
	ds_read_b128 v[52:55], v66 offset:1024
	ds_read_b128 v[44:47], v96 offset:1024
	v_cmp_gt_u32_e32 vcc, s4, v94
	v_mov_b32_e32 v19, 0
	v_mov_b32_e32 v18, 0
	;; [unrolled: 1-line block ×32, first 2 shown]
	s_and_saveexec_b64 s[24:25], vcc
	s_cbranch_execz .LBB113_11
; %bb.17:                               ;   in Loop: Header=BB113_14 Depth=2
	v_add_u32_e32 v16, 0x800, v95
	ds_read_b128 v[60:63], v92 offset:2048
	v_add_u32_e32 v17, 0x808, v95
	ds_read2_b32 v[80:81], v16 offset1:1
	ds_read2_b32 v[78:79], v17 offset1:1
	ds_read_b128 v[48:51], v66 offset:2048
	ds_read_b128 v[36:39], v96 offset:2048
	v_cmp_gt_u32_e32 vcc, s4, v93
	v_mov_b32_e32 v19, 0
	v_mov_b32_e32 v18, 0
	;; [unrolled: 1-line block ×16, first 2 shown]
	s_and_saveexec_b64 s[26:27], vcc
	s_cbranch_execz .LBB113_10
; %bb.18:                               ;   in Loop: Header=BB113_14 Depth=2
	v_add_u32_e32 v16, 0xc00, v95
	v_add_u32_e32 v17, 0xc08, v95
	ds_read_b128 v[40:43], v92 offset:3072
	ds_read2_b32 v[72:73], v16 offset1:1
	ds_read2_b32 v[70:71], v17 offset1:1
	ds_read_b128 v[24:27], v66 offset:3072
	ds_read_b128 v[16:19], v96 offset:3072
	s_branch .LBB113_10
.LBB113_19:                             ;   in Loop: Header=BB113_8 Depth=1
	; sched_barrier mask(0x00000000)
	v_cvt_i32_f32_e32 v0, v91
	v_cvt_i32_f32_e32 v1, v90
	;; [unrolled: 1-line block ×4, first 2 shown]
	v_cvt_f32_i32_dpp v0, v0 row_shr:8 row_mask:0xf bank_mask:0xf bound_ctrl:1
	v_cvt_f32_i32_dpp v1, v1 row_shr:8 row_mask:0xf bank_mask:0xf bound_ctrl:1
	;; [unrolled: 1-line block ×4, first 2 shown]
	v_add_f32_e32 v0, v91, v0
	v_cvt_i32_f32_e32 v4, v0
	v_add_f32_e32 v1, v90, v1
	v_cvt_i32_f32_e32 v5, v1
	v_add_f32_e32 v2, v89, v2
	v_cvt_f32_i32_dpp v4, v4 row_shr:4 row_mask:0xf bank_mask:0xf bound_ctrl:1
	v_add_f32_e32 v3, v65, v3
	v_cvt_f32_i32_dpp v5, v5 row_shr:4 row_mask:0xf bank_mask:0xf bound_ctrl:1
	v_cvt_i32_f32_e32 v6, v2
	v_add_f32_e32 v0, v0, v4
	v_cvt_i32_f32_e32 v4, v0
	v_cvt_i32_f32_e32 v7, v3
	v_add_f32_e32 v1, v1, v5
	v_cvt_i32_f32_e32 v5, v1
	v_cvt_f32_i32_dpp v4, v4 row_shr:2 row_mask:0xf bank_mask:0xf bound_ctrl:1
	v_cvt_f32_i32_dpp v6, v6 row_shr:4 row_mask:0xf bank_mask:0xf bound_ctrl:1
	;; [unrolled: 1-line block ×4, first 2 shown]
	v_add_f32_e32 v0, v0, v4
	v_cvt_i32_f32_e32 v4, v0
	v_add_f32_e32 v2, v2, v6
	v_add_f32_e32 v3, v3, v7
	v_cvt_i32_f32_e32 v6, v2
	v_cvt_f32_i32_dpp v4, v4 row_shr:1 row_mask:0xf bank_mask:0xf bound_ctrl:1
	v_add_f32_e32 v1, v1, v5
	v_cvt_i32_f32_e32 v7, v3
	v_cvt_i32_f32_e32 v5, v1
	v_add_f32_e32 v0, v0, v4
	v_cvt_f32_i32_dpp v6, v6 row_shr:2 row_mask:0xf bank_mask:0xf bound_ctrl:1
	v_cvt_f32_i32_dpp v7, v7 row_shr:2 row_mask:0xf bank_mask:0xf bound_ctrl:1
	v_cvt_i32_f32_e32 v4, v0
	v_cvt_f32_i32_dpp v5, v5 row_shr:1 row_mask:0xf bank_mask:0xf bound_ctrl:1
	v_add_f32_e32 v2, v2, v6
	v_add_f32_e32 v3, v3, v7
	v_cvt_f32_i32_dpp v4, v4 row_bcast:15 row_mask:0xf bank_mask:0xf bound_ctrl:1
	v_add_f32_e32 v1, v1, v5
	v_cvt_i32_f32_e32 v5, v2
	v_cvt_i32_f32_e32 v6, v3
	v_add_f32_e32 v0, v0, v4
	v_cvt_i32_f32_e32 v7, v1
	v_cvt_f32_i32_dpp v5, v5 row_shr:1 row_mask:0xf bank_mask:0xf bound_ctrl:1
	v_cvt_f32_i32_dpp v4, v6 row_shr:1 row_mask:0xf bank_mask:0xf bound_ctrl:1
	v_cvt_f32_i32_dpp v6, v7 row_bcast:15 row_mask:0xf bank_mask:0xf bound_ctrl:1
	v_add_f32_e32 v5, v2, v5
	v_add_f32_e32 v4, v3, v4
	v_cvt_i32_f32_e32 v2, v5
	v_cvt_i32_f32_e32 v3, v4
	;; [unrolled: 1-line block ×3, first 2 shown]
	v_cvt_f32_i32_dpp v8, v2 row_bcast:15 row_mask:0xf bank_mask:0xf bound_ctrl:1
	v_add_f32_e32 v2, v1, v6
	v_cvt_f32_i32_dpp v1, v3 row_bcast:15 row_mask:0xf bank_mask:0xf bound_ctrl:1
	v_cvt_i32_f32_e32 v6, v2
	v_add_f32_e32 v3, v5, v8
	v_cvt_i32_f32_e32 v5, v3
	v_add_f32_e32 v1, v4, v1
	v_cvt_i32_f32_e32 v4, v1
	v_mov_b32_dpp v7, v7 row_bcast:31 row_mask:0xf bank_mask:0xf bound_ctrl:1
	v_mov_b32_dpp v6, v6 row_bcast:31 row_mask:0xf bank_mask:0xf bound_ctrl:1
	;; [unrolled: 1-line block ×4, first 2 shown]
	s_and_saveexec_b64 s[20:21], s[0:1]
	s_cbranch_execz .LBB113_7
; %bb.20:                               ;   in Loop: Header=BB113_8 Depth=1
	s_and_b64 vcc, exec, s[18:19]
	s_cbranch_vccz .LBB113_22
; %bb.21:                               ;   in Loop: Header=BB113_8 Depth=1
	v_mul_hi_u32 v8, v64, v87
	v_mul_lo_u32 v8, v8, s8
	v_sub_u32_e32 v8, v64, v8
	v_subrev_u32_e32 v9, s8, v8
	v_cmp_le_u32_e32 vcc, s8, v8
	v_mov_b32_e32 v65, v67
	s_nop 0
	v_cndmask_b32_e32 v8, v8, v9, vcc
	v_subrev_u32_e32 v9, s8, v8
	v_cmp_le_u32_e32 vcc, s8, v8
	s_nop 1
	v_cndmask_b32_e32 v66, v8, v9, vcc
	v_add_u32_e32 v8, s31, v66
	v_mov_b32_e32 v9, v67
	v_lshl_add_u64 v[12:13], v[66:67], 1, s[10:11]
	v_lshl_add_u64 v[14:15], v[8:9], 1, s[10:11]
	v_add_u32_e32 v8, s33, v66
	v_add_u32_e32 v66, s34, v66
	v_lshl_add_u64 v[16:17], v[8:9], 1, s[10:11]
	v_lshl_add_u64 v[18:19], v[66:67], 1, s[10:11]
	global_load_ushort v11, v[12:13], off
	global_load_ushort v10, v[14:15], off
	;; [unrolled: 1-line block ×4, first 2 shown]
	s_cbranch_execnz .LBB113_6
	s_branch .LBB113_23
.LBB113_22:                             ;   in Loop: Header=BB113_8 Depth=1
                                        ; implicit-def: $vgpr11
                                        ; implicit-def: $vgpr10
                                        ; implicit-def: $vgpr9
                                        ; implicit-def: $vgpr8
.LBB113_23:                             ;   in Loop: Header=BB113_8 Depth=1
	v_mov_b32_e32 v65, v67
	s_waitcnt vmcnt(0)
	v_mov_b32_e32 v8, 0
	v_mov_b32_e32 v9, 0
	;; [unrolled: 1-line block ×4, first 2 shown]
	s_branch .LBB113_6
.LBB113_24:
	s_endpgm
	.section	.rodata,"a",@progbits
	.p2align	6, 0x0
	.amdhsa_kernel _Z16wvSplitK_hf_sml_I6__halfLi64ELi1ELi16ELi8ELi4ELi4EEviiiiiiPKT_S3_S3_PS1_ii
		.amdhsa_group_segment_fixed_size 65536
		.amdhsa_private_segment_fixed_size 0
		.amdhsa_kernarg_size 64
		.amdhsa_user_sgpr_count 2
		.amdhsa_user_sgpr_dispatch_ptr 0
		.amdhsa_user_sgpr_queue_ptr 0
		.amdhsa_user_sgpr_kernarg_segment_ptr 1
		.amdhsa_user_sgpr_dispatch_id 0
		.amdhsa_user_sgpr_kernarg_preload_length 0
		.amdhsa_user_sgpr_kernarg_preload_offset 0
		.amdhsa_user_sgpr_private_segment_size 0
		.amdhsa_uses_dynamic_stack 0
		.amdhsa_enable_private_segment 0
		.amdhsa_system_sgpr_workgroup_id_x 1
		.amdhsa_system_sgpr_workgroup_id_y 0
		.amdhsa_system_sgpr_workgroup_id_z 0
		.amdhsa_system_sgpr_workgroup_info 0
		.amdhsa_system_vgpr_workitem_id 1
		.amdhsa_next_free_vgpr 98
		.amdhsa_next_free_sgpr 37
		.amdhsa_accum_offset 100
		.amdhsa_reserve_vcc 1
		.amdhsa_float_round_mode_32 0
		.amdhsa_float_round_mode_16_64 0
		.amdhsa_float_denorm_mode_32 3
		.amdhsa_float_denorm_mode_16_64 3
		.amdhsa_dx10_clamp 1
		.amdhsa_ieee_mode 1
		.amdhsa_fp16_overflow 0
		.amdhsa_tg_split 0
		.amdhsa_exception_fp_ieee_invalid_op 0
		.amdhsa_exception_fp_denorm_src 0
		.amdhsa_exception_fp_ieee_div_zero 0
		.amdhsa_exception_fp_ieee_overflow 0
		.amdhsa_exception_fp_ieee_underflow 0
		.amdhsa_exception_fp_ieee_inexact 0
		.amdhsa_exception_int_div_zero 0
	.end_amdhsa_kernel
	.section	.text._Z16wvSplitK_hf_sml_I6__halfLi64ELi1ELi16ELi8ELi4ELi4EEviiiiiiPKT_S3_S3_PS1_ii,"axG",@progbits,_Z16wvSplitK_hf_sml_I6__halfLi64ELi1ELi16ELi8ELi4ELi4EEviiiiiiPKT_S3_S3_PS1_ii,comdat
.Lfunc_end113:
	.size	_Z16wvSplitK_hf_sml_I6__halfLi64ELi1ELi16ELi8ELi4ELi4EEviiiiiiPKT_S3_S3_PS1_ii, .Lfunc_end113-_Z16wvSplitK_hf_sml_I6__halfLi64ELi1ELi16ELi8ELi4ELi4EEviiiiiiPKT_S3_S3_PS1_ii
                                        ; -- End function
	.section	.AMDGPU.csdata,"",@progbits
; Kernel info:
; codeLenInByte = 3008
; NumSgprs: 43
; NumVgprs: 98
; NumAgprs: 0
; TotalNumVgprs: 98
; ScratchSize: 0
; MemoryBound: 0
; FloatMode: 240
; IeeeMode: 1
; LDSByteSize: 65536 bytes/workgroup (compile time only)
; SGPRBlocks: 5
; VGPRBlocks: 12
; NumSGPRsForWavesPerEU: 43
; NumVGPRsForWavesPerEU: 98
; AccumOffset: 100
; Occupancy: 4
; WaveLimiterHint : 0
; COMPUTE_PGM_RSRC2:SCRATCH_EN: 0
; COMPUTE_PGM_RSRC2:USER_SGPR: 2
; COMPUTE_PGM_RSRC2:TRAP_HANDLER: 0
; COMPUTE_PGM_RSRC2:TGID_X_EN: 1
; COMPUTE_PGM_RSRC2:TGID_Y_EN: 0
; COMPUTE_PGM_RSRC2:TGID_Z_EN: 0
; COMPUTE_PGM_RSRC2:TIDIG_COMP_CNT: 1
; COMPUTE_PGM_RSRC3_GFX90A:ACCUM_OFFSET: 24
; COMPUTE_PGM_RSRC3_GFX90A:TG_SPLIT: 0
	.section	.text._Z12wvSplitK_hf_I6__halfLi64ELi1ELi16ELi8ELi4ELi4EEviiiiiiPKT_S3_S3_PS1_ii,"axG",@progbits,_Z12wvSplitK_hf_I6__halfLi64ELi1ELi16ELi8ELi4ELi4EEviiiiiiPKT_S3_S3_PS1_ii,comdat
	.protected	_Z12wvSplitK_hf_I6__halfLi64ELi1ELi16ELi8ELi4ELi4EEviiiiiiPKT_S3_S3_PS1_ii ; -- Begin function _Z12wvSplitK_hf_I6__halfLi64ELi1ELi16ELi8ELi4ELi4EEviiiiiiPKT_S3_S3_PS1_ii
	.globl	_Z12wvSplitK_hf_I6__halfLi64ELi1ELi16ELi8ELi4ELi4EEviiiiiiPKT_S3_S3_PS1_ii
	.p2align	8
	.type	_Z12wvSplitK_hf_I6__halfLi64ELi1ELi16ELi8ELi4ELi4EEviiiiiiPKT_S3_S3_PS1_ii,@function
_Z12wvSplitK_hf_I6__halfLi64ELi1ELi16ELi8ELi4ELi4EEviiiiiiPKT_S3_S3_PS1_ii: ; @_Z12wvSplitK_hf_I6__halfLi64ELi1ELi16ELi8ELi4ELi4EEviiiiiiPKT_S3_S3_PS1_ii
; %bb.0:
	s_load_dwordx2 s[4:5], s[0:1], 0x38
	s_load_dwordx4 s[8:11], s[0:1], 0x0
	s_load_dwordx2 s[16:17], s[0:1], 0x10
	v_bfe_u32 v3, v0, 10, 10
	v_mov_b32_e32 v83, 1
	s_waitcnt lgkmcnt(0)
	s_mul_i32 s2, s2, s4
	v_add_u32_e32 v80, s2, v3
	v_add_u32_e32 v1, 1, v80
	v_cmp_gt_u32_e32 vcc, s11, v80
	v_cmp_le_u32_e64 s[2:3], s11, v1
	s_and_b64 s[6:7], vcc, s[2:3]
	s_and_saveexec_b64 s[2:3], s[6:7]
; %bb.1:
	v_subrev_u32_e32 v1, s11, v80
	v_cmp_eq_u32_e32 vcc, -1, v1
	s_add_i32 s6, s11, -1
	v_mov_b32_e32 v80, s6
	v_cndmask_b32_e64 v83, 0, 1, vcc
; %bb.2:
	s_or_b64 exec, exec, s[2:3]
	s_load_dwordx4 s[12:15], s[0:1], 0x20
	v_and_b32_e32 v2, 0x3ff, v0
	v_lshlrev_b32_e32 v82, 3, v2
	s_lshl_b32 s33, s10, 2
	v_lshl_add_u32 v4, v3, 9, v82
	s_min_u32 s20, s33, 0x8000
	v_cmp_gt_u32_e32 vcc, s20, v4
	s_and_saveexec_b64 s[2:3], vcc
	s_cbranch_execz .LBB114_5
; %bb.3:
	v_mov_b32_e32 v7, 0
	v_lshlrev_b32_e32 v6, 10, v3
	v_lshlrev_b32_e32 v8, 4, v2
	v_mov_b32_e32 v9, v7
	v_lshl_add_u64 v[0:1], v[6:7], 0, v[8:9]
	s_waitcnt lgkmcnt(0)
	v_lshl_add_u64 v[0:1], s[12:13], 0, v[0:1]
	v_add_u32_e32 v5, v6, v8
	s_mov_b64 s[6:7], 0
	s_mov_b64 s[18:19], 0x4000
.LBB114_4:                              ; =>This Inner Loop Header: Depth=1
	global_load_dwordx4 v[6:9], v[0:1], off
	v_add_u32_e32 v4, 0x2000, v4
	v_cmp_le_u32_e32 vcc, s20, v4
	v_lshl_add_u64 v[0:1], v[0:1], 0, s[18:19]
	s_or_b64 s[6:7], vcc, s[6:7]
	s_waitcnt vmcnt(0)
	ds_write_b128 v5, v[6:9]
	v_add_u32_e32 v5, 0x4000, v5
	s_andn2_b64 exec, exec, s[6:7]
	s_cbranch_execnz .LBB114_4
.LBB114_5:
	s_or_b64 exec, exec, s[2:3]
	v_cmp_gt_u32_e32 vcc, s4, v3
	v_cmp_gt_u32_e64 s[2:3], s11, v80
	s_and_b64 s[2:3], vcc, s[2:3]
	s_waitcnt lgkmcnt(0)
	s_barrier
	s_and_saveexec_b64 s[6:7], s[2:3]
	s_cbranch_execz .LBB114_88
; %bb.6:
	s_cmp_lg_u32 s8, 0
	s_cselect_b64 s[2:3], -1, 0
	s_add_i32 s36, s8, -8
	s_add_i32 s37, s11, -1
	s_cmp_lg_u64 s[14:15], 0
	s_cselect_b64 s[24:25], -1, 0
	s_mul_i32 s38, s5, s4
	s_abs_i32 s4, s17
	v_cvt_f32_u32_e32 v0, s16
	v_cvt_f32_u32_e32 v1, s4
	s_sub_i32 s5, 0, s16
	s_sub_i32 s39, s38, s11
	v_rcp_iflag_f32_e32 v0, v0
	v_rcp_iflag_f32_e32 v1, v1
	s_add_i32 s39, s39, 2
	s_lshl_b32 s17, s10, 1
	v_mul_f32_e32 v0, 0x4f7ffffe, v0
	v_mul_f32_e32 v1, 0x4f7ffffe, v1
	v_cvt_u32_f32_e32 v0, v0
	v_cvt_u32_f32_e32 v1, v1
	s_load_dwordx2 s[18:19], s[0:1], 0x18
	s_load_dwordx2 s[20:21], s[0:1], 0x30
	v_cmp_eq_u32_e64 s[0:1], 63, v2
	v_mul_lo_u32 v3, s5, v0
	s_sub_i32 s5, 0, s4
	v_readfirstlane_b32 s6, v1
	s_mul_i32 s5, s5, s6
	s_mul_hi_u32 s5, s6, s5
	s_add_i32 s6, s6, s5
	s_sub_i32 s5, 1, s4
	s_cmp_lt_u32 s4, 2
	s_cselect_b32 s5, s5, 1
	s_sub_i32 s7, s5, s4
	s_cmp_ge_u32 s5, s4
	s_cselect_b32 s40, s7, s5
	s_lshr_b32 s5, s6, 31
	s_mul_i32 s5, s5, s4
	s_sub_i32 s5, 2, s5
	s_sub_i32 s7, s5, s4
	s_cmp_ge_u32 s5, s4
	s_cselect_b32 s5, s7, s5
	s_sub_i32 s7, s5, s4
	s_cmp_ge_u32 s5, s4
	s_cselect_b32 s41, s7, s5
	s_mul_hi_u32 s5, s6, 3
	s_mul_i32 s5, s5, s4
	s_sub_i32 s5, 3, s5
	s_sub_i32 s6, s5, s4
	s_cmp_ge_u32 s5, s4
	s_cselect_b32 s5, s6, s5
	s_sub_i32 s6, s5, s4
	v_mul_hi_u32 v3, v0, v3
	s_cmp_ge_u32 s5, s4
	v_add_u32_e32 v100, v0, v3
	s_cselect_b32 s42, s6, s5
	v_mad_u64_u32 v[86:87], s[4:5], s10, 3, v[82:83]
	v_cndmask_b32_e64 v0, 0, 1, s[2:3]
	s_mov_b64 s[22:23], 0
	v_mov_b32_e32 v85, 0
	s_mul_i32 s40, s40, s16
	s_mul_i32 s41, s41, s16
	;; [unrolled: 1-line block ×3, first 2 shown]
	v_lshlrev_b32_e32 v101, 4, v2
	s_mul_i32 s43, s10, 6
	v_add_u32_e32 v102, s17, v82
	v_add_u32_e32 v87, s10, v82
	v_cmp_ne_u32_e64 s[2:3], 1, v0
	s_movk_i32 s10, 0x7fff
	s_mov_b32 s26, 0
	s_branch .LBB114_8
.LBB114_7:                              ;   in Loop: Header=BB114_8 Depth=1
	s_or_b64 exec, exec, s[4:5]
	v_add_u32_e32 v0, s38, v80
	v_add_u32_e32 v1, 1, v0
	v_cmp_le_u32_e32 vcc, s11, v0
	v_cmp_gt_u32_e64 s[4:5], s11, v1
	v_add_u32_e32 v1, s39, v80
	v_cmp_eq_u32_e64 s[6:7], 1, v1
	v_mov_b32_e32 v1, s37
	s_or_b64 vcc, vcc, s[4:5]
	v_cndmask_b32_e32 v80, v1, v0, vcc
	v_cmp_le_u32_e64 s[4:5], s11, v80
	s_or_b64 vcc, vcc, s[6:7]
	s_or_b64 s[22:23], s[4:5], s[22:23]
	v_cndmask_b32_e32 v83, 0, v83, vcc
	s_andn2_b64 exec, exec, s[22:23]
	s_cbranch_execz .LBB114_88
.LBB114_8:                              ; =>This Loop Header: Depth=1
                                        ;     Child Loop BB114_15 Depth 2
	s_and_b64 vcc, exec, s[2:3]
	v_mov_b32_e32 v105, v85
	v_mov_b32_e32 v104, v85
	v_mov_b32_e32 v103, v85
	v_mov_b32_e32 v81, v85
	s_cbranch_vccnz .LBB114_83
; %bb.9:                                ;   in Loop: Header=BB114_8 Depth=1
	v_min_u32_e32 v0, s37, v80
	v_mul_lo_u32 v84, v0, s9
	s_waitcnt lgkmcnt(0)
	v_lshl_add_u64 v[88:89], v[84:85], 1, s[18:19]
	v_mov_b32_e32 v81, 0
	v_mov_b32_e32 v106, v101
	;; [unrolled: 1-line block ×5, first 2 shown]
	s_mov_b32 s44, s26
	s_branch .LBB114_15
.LBB114_10:                             ;   in Loop: Header=BB114_15 Depth=2
	s_or_b64 exec, exec, s[34:35]
.LBB114_11:                             ;   in Loop: Header=BB114_15 Depth=2
	s_or_b64 exec, exec, s[30:31]
.LBB114_12:                             ;   in Loop: Header=BB114_15 Depth=2
	s_or_b64 exec, exec, s[28:29]
.LBB114_13:                             ;   in Loop: Header=BB114_15 Depth=2
	s_or_b64 exec, exec, s[6:7]
.LBB114_14:                             ;   in Loop: Header=BB114_15 Depth=2
	s_or_b64 exec, exec, s[4:5]
	s_waitcnt vmcnt(0) lgkmcnt(0)
	;;#ASMSTART
	v_dot2c_f32_f16 v105, v28, v12
	;;#ASMEND
	;;#ASMSTART
	v_dot2c_f32_f16 v104, v24, v12
	;;#ASMEND
	;; [unrolled: 3-line block ×4, first 2 shown]
	s_addk_i32 s44, 0x800
	;;#ASMSTART
	v_dot2c_f32_f16 v105, v29, v13
	;;#ASMEND
	;;#ASMSTART
	v_dot2c_f32_f16 v104, v25, v13
	;;#ASMEND
	;; [unrolled: 3-line block ×4, first 2 shown]
	s_cmp_ge_u32 s44, s8
	;;#ASMSTART
	v_dot2c_f32_f16 v105, v30, v14
	;;#ASMEND
	;;#ASMSTART
	v_dot2c_f32_f16 v104, v26, v14
	;;#ASMEND
	;; [unrolled: 3-line block ×4, first 2 shown]
	v_add_u32_e32 v106, 0x1000, v106
	;;#ASMSTART
	v_dot2c_f32_f16 v105, v31, v15
	;;#ASMEND
	;;#ASMSTART
	v_dot2c_f32_f16 v104, v27, v15
	;;#ASMEND
	;;#ASMSTART
	v_dot2c_f32_f16 v103, v23, v15
	;;#ASMEND
	;;#ASMSTART
	v_dot2c_f32_f16 v81, v19, v15
	;;#ASMEND
	s_nop 0
	;;#ASMSTART
	v_dot2c_f32_f16 v105, v44, v4
	;;#ASMEND
	;;#ASMSTART
	v_dot2c_f32_f16 v104, v40, v4
	;;#ASMEND
	;;#ASMSTART
	v_dot2c_f32_f16 v103, v36, v4
	;;#ASMEND
	;;#ASMSTART
	v_dot2c_f32_f16 v81, v32, v4
	;;#ASMEND
	s_nop 0
	;;#ASMSTART
	v_dot2c_f32_f16 v105, v45, v5
	;;#ASMEND
	;;#ASMSTART
	v_dot2c_f32_f16 v104, v41, v5
	;;#ASMEND
	;;#ASMSTART
	v_dot2c_f32_f16 v103, v37, v5
	;;#ASMEND
	;;#ASMSTART
	v_dot2c_f32_f16 v81, v33, v5
	;;#ASMEND
	s_nop 0
	;;#ASMSTART
	v_dot2c_f32_f16 v105, v46, v6
	;;#ASMEND
	;;#ASMSTART
	v_dot2c_f32_f16 v104, v42, v6
	;;#ASMEND
	;;#ASMSTART
	v_dot2c_f32_f16 v103, v38, v6
	;;#ASMEND
	;;#ASMSTART
	v_dot2c_f32_f16 v81, v34, v6
	;;#ASMEND
	s_nop 0
	;;#ASMSTART
	v_dot2c_f32_f16 v105, v47, v7
	;;#ASMEND
	;;#ASMSTART
	v_dot2c_f32_f16 v104, v43, v7
	;;#ASMEND
	;;#ASMSTART
	v_dot2c_f32_f16 v103, v39, v7
	;;#ASMEND
	;;#ASMSTART
	v_dot2c_f32_f16 v81, v35, v7
	;;#ASMEND
	s_nop 0
	;;#ASMSTART
	v_dot2c_f32_f16 v105, v60, v8
	;;#ASMEND
	;;#ASMSTART
	v_dot2c_f32_f16 v104, v52, v8
	;;#ASMEND
	;;#ASMSTART
	v_dot2c_f32_f16 v103, v56, v8
	;;#ASMEND
	;;#ASMSTART
	v_dot2c_f32_f16 v81, v48, v8
	;;#ASMEND
	s_nop 0
	;;#ASMSTART
	v_dot2c_f32_f16 v105, v61, v9
	;;#ASMEND
	;;#ASMSTART
	v_dot2c_f32_f16 v104, v53, v9
	;;#ASMEND
	;;#ASMSTART
	v_dot2c_f32_f16 v103, v57, v9
	;;#ASMEND
	;;#ASMSTART
	v_dot2c_f32_f16 v81, v49, v9
	;;#ASMEND
	s_nop 0
	;;#ASMSTART
	v_dot2c_f32_f16 v105, v62, v10
	;;#ASMEND
	;;#ASMSTART
	v_dot2c_f32_f16 v104, v54, v10
	;;#ASMEND
	;;#ASMSTART
	v_dot2c_f32_f16 v103, v58, v10
	;;#ASMEND
	;;#ASMSTART
	v_dot2c_f32_f16 v81, v50, v10
	;;#ASMEND
	s_nop 0
	;;#ASMSTART
	v_dot2c_f32_f16 v105, v63, v11
	;;#ASMEND
	;;#ASMSTART
	v_dot2c_f32_f16 v104, v55, v11
	;;#ASMEND
	;;#ASMSTART
	v_dot2c_f32_f16 v103, v59, v11
	;;#ASMEND
	;;#ASMSTART
	v_dot2c_f32_f16 v81, v51, v11
	;;#ASMEND
	s_nop 0
	;;#ASMSTART
	v_dot2c_f32_f16 v105, v76, v0
	;;#ASMEND
	;;#ASMSTART
	v_dot2c_f32_f16 v104, v72, v0
	;;#ASMEND
	;;#ASMSTART
	v_dot2c_f32_f16 v103, v64, v0
	;;#ASMEND
	;;#ASMSTART
	v_dot2c_f32_f16 v81, v68, v0
	;;#ASMEND
	s_nop 0
	;;#ASMSTART
	v_dot2c_f32_f16 v105, v77, v1
	;;#ASMEND
	;;#ASMSTART
	v_dot2c_f32_f16 v104, v73, v1
	;;#ASMEND
	;;#ASMSTART
	v_dot2c_f32_f16 v103, v65, v1
	;;#ASMEND
	;;#ASMSTART
	v_dot2c_f32_f16 v81, v69, v1
	;;#ASMEND
	s_nop 0
	;;#ASMSTART
	v_dot2c_f32_f16 v105, v78, v2
	;;#ASMEND
	;;#ASMSTART
	v_dot2c_f32_f16 v104, v74, v2
	;;#ASMEND
	;;#ASMSTART
	v_dot2c_f32_f16 v103, v66, v2
	;;#ASMEND
	;;#ASMSTART
	v_dot2c_f32_f16 v81, v70, v2
	;;#ASMEND
	s_nop 0
	;;#ASMSTART
	v_dot2c_f32_f16 v105, v79, v3
	;;#ASMEND
	;;#ASMSTART
	v_dot2c_f32_f16 v104, v75, v3
	;;#ASMEND
	;;#ASMSTART
	v_dot2c_f32_f16 v103, v67, v3
	;;#ASMEND
	;;#ASMSTART
	v_dot2c_f32_f16 v81, v71, v3
	;;#ASMEND
	s_cbranch_scc1 .LBB114_83
.LBB114_15:                             ;   Parent Loop BB114_8 Depth=1
                                        ; =>  This Inner Loop Header: Depth=2
	v_add_u32_e32 v92, s44, v82
	v_min_u32_e32 v84, s36, v92
	v_add_u32_e32 v98, 0x200, v92
	v_lshl_add_u64 v[0:1], v[84:85], 1, v[88:89]
	v_min_u32_e32 v84, s36, v98
	v_add_u32_e32 v96, 0x400, v92
	v_lshl_add_u64 v[2:3], v[84:85], 1, v[88:89]
	;; [unrolled: 3-line block ×3, first 2 shown]
	v_min_u32_e32 v84, s36, v90
	global_load_dwordx4 v[12:15], v[0:1], off nt
	global_load_dwordx4 v[4:7], v[2:3], off nt
	v_lshl_add_u64 v[18:19], v[84:85], 1, v[88:89]
	global_load_dwordx4 v[8:11], v[16:17], off nt
	global_load_dwordx4 v[0:3], v[18:19], off nt
	s_mov_b32 s27, s26
	v_cmp_gt_u32_e32 vcc, s8, v92
	v_mov_b64_e32 v[66:67], s[26:27]
	v_mov_b32_e32 v71, 0
	v_mov_b32_e32 v70, 0
	;; [unrolled: 1-line block ×4, first 2 shown]
	v_mov_b64_e32 v[64:65], s[26:27]
	v_mov_b64_e32 v[74:75], s[26:27]
	;; [unrolled: 1-line block ×29, first 2 shown]
	s_and_saveexec_b64 s[4:5], vcc
	s_cbranch_execz .LBB114_14
; %bb.16:                               ;   in Loop: Header=BB114_15 Depth=2
	v_cmp_lt_u32_e32 vcc, s10, v92
                                        ; implicit-def: $vgpr30_vgpr31
	s_and_saveexec_b64 s[6:7], vcc
	s_xor_b64 s[6:7], exec, s[6:7]
	s_cbranch_execz .LBB114_18
; %bb.17:                               ;   in Loop: Header=BB114_15 Depth=2
	v_mov_b32_e32 v93, v85
	v_lshl_add_u64 v[16:17], v[92:93], 1, s[12:13]
	global_load_dwordx4 v[28:31], v[16:17], off
.LBB114_18:                             ;   in Loop: Header=BB114_15 Depth=2
	s_andn2_saveexec_b64 s[6:7], s[6:7]
	s_cbranch_execz .LBB114_20
; %bb.19:                               ;   in Loop: Header=BB114_15 Depth=2
	s_waitcnt vmcnt(0)
	ds_read_b128 v[28:31], v106
.LBB114_20:                             ;   in Loop: Header=BB114_15 Depth=2
	s_or_b64 exec, exec, s[6:7]
	v_add_u32_e32 v84, s44, v87
	v_cmp_lt_u32_e32 vcc, s10, v84
                                        ; implicit-def: $vgpr26_vgpr27
	s_and_saveexec_b64 s[6:7], vcc
	s_xor_b64 s[6:7], exec, s[6:7]
	s_cbranch_execz .LBB114_22
; %bb.21:                               ;   in Loop: Header=BB114_15 Depth=2
	v_lshl_add_u64 v[16:17], v[84:85], 1, s[12:13]
	global_load_dwordx4 v[24:27], v[16:17], off
.LBB114_22:                             ;   in Loop: Header=BB114_15 Depth=2
	s_andn2_saveexec_b64 s[6:7], s[6:7]
	s_cbranch_execz .LBB114_24
; %bb.23:                               ;   in Loop: Header=BB114_15 Depth=2
	v_add_u32_e32 v16, s17, v106
	s_waitcnt vmcnt(0)
	ds_read_b128 v[24:27], v16
.LBB114_24:                             ;   in Loop: Header=BB114_15 Depth=2
	s_or_b64 exec, exec, s[6:7]
	v_add_u32_e32 v94, s44, v102
	v_cmp_lt_u32_e32 vcc, s10, v94
                                        ; implicit-def: $vgpr22_vgpr23
	s_and_saveexec_b64 s[6:7], vcc
	s_xor_b64 s[6:7], exec, s[6:7]
	s_cbranch_execz .LBB114_26
; %bb.25:                               ;   in Loop: Header=BB114_15 Depth=2
	v_mov_b32_e32 v95, v85
	v_lshl_add_u64 v[16:17], v[94:95], 1, s[12:13]
	global_load_dwordx4 v[20:23], v[16:17], off
.LBB114_26:                             ;   in Loop: Header=BB114_15 Depth=2
	s_andn2_saveexec_b64 s[6:7], s[6:7]
	s_cbranch_execz .LBB114_28
; %bb.27:                               ;   in Loop: Header=BB114_15 Depth=2
	v_add_u32_e32 v16, s33, v106
	s_waitcnt vmcnt(0)
	ds_read2_b32 v[20:21], v16 offset1:1
	ds_read2_b32 v[22:23], v16 offset0:2 offset1:3
.LBB114_28:                             ;   in Loop: Header=BB114_15 Depth=2
	s_or_b64 exec, exec, s[6:7]
	v_add_u32_e32 v92, s44, v86
	v_cmp_lt_u32_e32 vcc, s10, v92
                                        ; implicit-def: $vgpr18_vgpr19
	s_and_saveexec_b64 s[6:7], vcc
	s_xor_b64 s[6:7], exec, s[6:7]
	s_cbranch_execz .LBB114_30
; %bb.29:                               ;   in Loop: Header=BB114_15 Depth=2
	v_mov_b32_e32 v93, v85
	v_lshl_add_u64 v[16:17], v[92:93], 1, s[12:13]
	global_load_dwordx4 v[16:19], v[16:17], off
.LBB114_30:                             ;   in Loop: Header=BB114_15 Depth=2
	s_andn2_saveexec_b64 s[6:7], s[6:7]
	s_cbranch_execz .LBB114_32
; %bb.31:                               ;   in Loop: Header=BB114_15 Depth=2
	s_waitcnt vmcnt(0)
	v_add_u32_e32 v16, s43, v106
	ds_read_b128 v[16:19], v16
.LBB114_32:                             ;   in Loop: Header=BB114_15 Depth=2
	s_or_b64 exec, exec, s[6:7]
	s_mov_b32 s27, s26
	v_cmp_gt_u32_e32 vcc, s8, v98
	v_mov_b32_e32 v71, 0
	v_mov_b64_e32 v[66:67], s[26:27]
	v_mov_b32_e32 v70, 0
	v_mov_b32_e32 v69, 0
	;; [unrolled: 1-line block ×3, first 2 shown]
	v_mov_b64_e32 v[64:65], s[26:27]
	v_mov_b64_e32 v[74:75], s[26:27]
	v_mov_b64_e32 v[72:73], s[26:27]
	v_mov_b64_e32 v[78:79], s[26:27]
	v_mov_b64_e32 v[76:77], s[26:27]
	v_mov_b64_e32 v[50:51], s[26:27]
	v_mov_b64_e32 v[48:49], s[26:27]
	v_mov_b64_e32 v[58:59], s[26:27]
	v_mov_b64_e32 v[56:57], s[26:27]
	v_mov_b64_e32 v[54:55], s[26:27]
	v_mov_b64_e32 v[52:53], s[26:27]
	v_mov_b64_e32 v[62:63], s[26:27]
	v_mov_b64_e32 v[60:61], s[26:27]
	v_mov_b64_e32 v[34:35], s[26:27]
	v_mov_b64_e32 v[32:33], s[26:27]
	v_mov_b64_e32 v[38:39], s[26:27]
	v_mov_b64_e32 v[36:37], s[26:27]
	v_mov_b64_e32 v[42:43], s[26:27]
	v_mov_b64_e32 v[40:41], s[26:27]
	v_mov_b64_e32 v[46:47], s[26:27]
	v_mov_b64_e32 v[44:45], s[26:27]
	s_and_saveexec_b64 s[6:7], vcc
	s_cbranch_execz .LBB114_13
; %bb.33:                               ;   in Loop: Header=BB114_15 Depth=2
	v_cmp_lt_u32_e32 vcc, s10, v98
                                        ; implicit-def: $vgpr46_vgpr47
	s_and_saveexec_b64 s[28:29], vcc
	s_xor_b64 s[28:29], exec, s[28:29]
	s_cbranch_execz .LBB114_35
; %bb.34:                               ;   in Loop: Header=BB114_15 Depth=2
	v_mov_b32_e32 v99, v85
	v_lshl_add_u64 v[32:33], v[98:99], 1, s[12:13]
	global_load_dwordx4 v[44:47], v[32:33], off
.LBB114_35:                             ;   in Loop: Header=BB114_15 Depth=2
	s_andn2_saveexec_b64 s[28:29], s[28:29]
	s_cbranch_execz .LBB114_37
; %bb.36:                               ;   in Loop: Header=BB114_15 Depth=2
	s_waitcnt vmcnt(0)
	ds_read_b128 v[44:47], v106 offset:1024
.LBB114_37:                             ;   in Loop: Header=BB114_15 Depth=2
	s_or_b64 exec, exec, s[28:29]
	v_add_u32_e32 v32, 0x200, v84
	v_cmp_lt_u32_e32 vcc, s10, v32
                                        ; implicit-def: $vgpr42_vgpr43
	s_and_saveexec_b64 s[28:29], vcc
	s_xor_b64 s[28:29], exec, s[28:29]
	s_cbranch_execz .LBB114_39
; %bb.38:                               ;   in Loop: Header=BB114_15 Depth=2
	v_mov_b32_e32 v33, v85
	v_lshl_add_u64 v[32:33], v[32:33], 1, s[12:13]
	global_load_dwordx4 v[40:43], v[32:33], off
.LBB114_39:                             ;   in Loop: Header=BB114_15 Depth=2
	s_andn2_saveexec_b64 s[28:29], s[28:29]
	s_cbranch_execz .LBB114_41
; %bb.40:                               ;   in Loop: Header=BB114_15 Depth=2
	v_add_u32_e32 v32, s17, v106
	s_waitcnt vmcnt(0)
	ds_read_b128 v[40:43], v32 offset:1024
.LBB114_41:                             ;   in Loop: Header=BB114_15 Depth=2
	s_or_b64 exec, exec, s[28:29]
	v_add_u32_e32 v32, 0x200, v94
	v_cmp_lt_u32_e32 vcc, s10, v32
                                        ; implicit-def: $vgpr38_vgpr39
	s_and_saveexec_b64 s[28:29], vcc
	s_xor_b64 s[28:29], exec, s[28:29]
	s_cbranch_execz .LBB114_43
; %bb.42:                               ;   in Loop: Header=BB114_15 Depth=2
	v_mov_b32_e32 v33, v85
	v_lshl_add_u64 v[32:33], v[32:33], 1, s[12:13]
	global_load_dwordx4 v[36:39], v[32:33], off
.LBB114_43:                             ;   in Loop: Header=BB114_15 Depth=2
	s_andn2_saveexec_b64 s[28:29], s[28:29]
	s_cbranch_execz .LBB114_45
; %bb.44:                               ;   in Loop: Header=BB114_15 Depth=2
	v_add_u32_e32 v32, s33, v106
	v_add_u32_e32 v33, 0x400, v32
	;; [unrolled: 1-line block ×3, first 2 shown]
	s_waitcnt vmcnt(0)
	ds_read2_b32 v[36:37], v33 offset1:1
	ds_read2_b32 v[38:39], v32 offset1:1
.LBB114_45:                             ;   in Loop: Header=BB114_15 Depth=2
	s_or_b64 exec, exec, s[28:29]
	v_add_u32_e32 v32, 0x200, v92
	v_cmp_lt_u32_e32 vcc, s10, v32
                                        ; implicit-def: $vgpr34_vgpr35
	s_and_saveexec_b64 s[28:29], vcc
	s_xor_b64 s[28:29], exec, s[28:29]
	s_cbranch_execz .LBB114_47
; %bb.46:                               ;   in Loop: Header=BB114_15 Depth=2
	v_mov_b32_e32 v33, v85
	v_lshl_add_u64 v[32:33], v[32:33], 1, s[12:13]
	global_load_dwordx4 v[32:35], v[32:33], off
.LBB114_47:                             ;   in Loop: Header=BB114_15 Depth=2
	s_andn2_saveexec_b64 s[28:29], s[28:29]
	s_cbranch_execz .LBB114_49
; %bb.48:                               ;   in Loop: Header=BB114_15 Depth=2
	s_waitcnt vmcnt(0)
	v_add_u32_e32 v32, s43, v106
	ds_read_b128 v[32:35], v32 offset:1024
.LBB114_49:                             ;   in Loop: Header=BB114_15 Depth=2
	s_or_b64 exec, exec, s[28:29]
	s_mov_b32 s27, s26
	v_cmp_gt_u32_e32 vcc, s8, v96
	v_mov_b32_e32 v71, 0
	v_mov_b64_e32 v[66:67], s[26:27]
	v_mov_b32_e32 v70, 0
	v_mov_b32_e32 v69, 0
	;; [unrolled: 1-line block ×3, first 2 shown]
	v_mov_b64_e32 v[64:65], s[26:27]
	v_mov_b64_e32 v[74:75], s[26:27]
	;; [unrolled: 1-line block ×13, first 2 shown]
	s_and_saveexec_b64 s[28:29], vcc
	s_cbranch_execz .LBB114_12
; %bb.50:                               ;   in Loop: Header=BB114_15 Depth=2
	v_cmp_lt_u32_e32 vcc, s10, v96
                                        ; implicit-def: $vgpr62_vgpr63
	s_and_saveexec_b64 s[30:31], vcc
	s_xor_b64 s[30:31], exec, s[30:31]
	s_cbranch_execz .LBB114_52
; %bb.51:                               ;   in Loop: Header=BB114_15 Depth=2
	v_mov_b32_e32 v97, v85
	v_lshl_add_u64 v[48:49], v[96:97], 1, s[12:13]
	global_load_dwordx4 v[60:63], v[48:49], off
.LBB114_52:                             ;   in Loop: Header=BB114_15 Depth=2
	s_andn2_saveexec_b64 s[30:31], s[30:31]
	s_cbranch_execz .LBB114_54
; %bb.53:                               ;   in Loop: Header=BB114_15 Depth=2
	s_waitcnt vmcnt(0)
	ds_read_b128 v[60:63], v106 offset:2048
.LBB114_54:                             ;   in Loop: Header=BB114_15 Depth=2
	s_or_b64 exec, exec, s[30:31]
	v_add_u32_e32 v48, 0x400, v84
	v_cmp_lt_u32_e32 vcc, s10, v48
                                        ; implicit-def: $vgpr54_vgpr55
	s_and_saveexec_b64 s[30:31], vcc
	s_xor_b64 s[30:31], exec, s[30:31]
	s_cbranch_execz .LBB114_56
; %bb.55:                               ;   in Loop: Header=BB114_15 Depth=2
	v_mov_b32_e32 v49, v85
	v_lshl_add_u64 v[48:49], v[48:49], 1, s[12:13]
	global_load_dwordx4 v[52:55], v[48:49], off
.LBB114_56:                             ;   in Loop: Header=BB114_15 Depth=2
	s_andn2_saveexec_b64 s[30:31], s[30:31]
	s_cbranch_execz .LBB114_58
; %bb.57:                               ;   in Loop: Header=BB114_15 Depth=2
	v_add_u32_e32 v48, s17, v106
	s_waitcnt vmcnt(0)
	ds_read_b128 v[52:55], v48 offset:2048
.LBB114_58:                             ;   in Loop: Header=BB114_15 Depth=2
	s_or_b64 exec, exec, s[30:31]
	v_add_u32_e32 v48, 0x400, v94
	v_cmp_lt_u32_e32 vcc, s10, v48
                                        ; implicit-def: $vgpr58_vgpr59
	s_and_saveexec_b64 s[30:31], vcc
	s_xor_b64 s[30:31], exec, s[30:31]
	s_cbranch_execz .LBB114_60
; %bb.59:                               ;   in Loop: Header=BB114_15 Depth=2
	v_mov_b32_e32 v49, v85
	v_lshl_add_u64 v[48:49], v[48:49], 1, s[12:13]
	global_load_dwordx4 v[56:59], v[48:49], off
.LBB114_60:                             ;   in Loop: Header=BB114_15 Depth=2
	s_andn2_saveexec_b64 s[30:31], s[30:31]
	s_cbranch_execz .LBB114_62
; %bb.61:                               ;   in Loop: Header=BB114_15 Depth=2
	v_add_u32_e32 v48, s33, v106
	v_add_u32_e32 v49, 0x800, v48
	;; [unrolled: 1-line block ×3, first 2 shown]
	s_waitcnt vmcnt(0)
	ds_read2_b32 v[56:57], v49 offset1:1
	ds_read2_b32 v[58:59], v48 offset1:1
.LBB114_62:                             ;   in Loop: Header=BB114_15 Depth=2
	s_or_b64 exec, exec, s[30:31]
	v_add_u32_e32 v48, 0x400, v92
	v_cmp_lt_u32_e32 vcc, s10, v48
                                        ; implicit-def: $vgpr50_vgpr51
	s_and_saveexec_b64 s[30:31], vcc
	s_xor_b64 s[30:31], exec, s[30:31]
	s_cbranch_execz .LBB114_64
; %bb.63:                               ;   in Loop: Header=BB114_15 Depth=2
	v_mov_b32_e32 v49, v85
	v_lshl_add_u64 v[48:49], v[48:49], 1, s[12:13]
	global_load_dwordx4 v[48:51], v[48:49], off
.LBB114_64:                             ;   in Loop: Header=BB114_15 Depth=2
	s_andn2_saveexec_b64 s[30:31], s[30:31]
	s_cbranch_execz .LBB114_66
; %bb.65:                               ;   in Loop: Header=BB114_15 Depth=2
	s_waitcnt vmcnt(0)
	v_add_u32_e32 v48, s43, v106
	ds_read_b128 v[48:51], v48 offset:2048
.LBB114_66:                             ;   in Loop: Header=BB114_15 Depth=2
	s_or_b64 exec, exec, s[30:31]
	s_mov_b32 s27, s26
	v_cmp_gt_u32_e32 vcc, s8, v90
	v_mov_b32_e32 v71, 0
	v_mov_b64_e32 v[66:67], s[26:27]
	v_mov_b32_e32 v70, 0
	v_mov_b32_e32 v69, 0
	;; [unrolled: 1-line block ×3, first 2 shown]
	v_mov_b64_e32 v[64:65], s[26:27]
	v_mov_b64_e32 v[74:75], s[26:27]
	;; [unrolled: 1-line block ×5, first 2 shown]
	s_and_saveexec_b64 s[30:31], vcc
	s_cbranch_execz .LBB114_11
; %bb.67:                               ;   in Loop: Header=BB114_15 Depth=2
	v_cmp_lt_u32_e32 vcc, s10, v90
                                        ; implicit-def: $vgpr78_vgpr79
	s_and_saveexec_b64 s[34:35], vcc
	s_xor_b64 s[34:35], exec, s[34:35]
	s_cbranch_execz .LBB114_69
; %bb.68:                               ;   in Loop: Header=BB114_15 Depth=2
	v_mov_b32_e32 v91, v85
	v_lshl_add_u64 v[64:65], v[90:91], 1, s[12:13]
	global_load_dwordx4 v[76:79], v[64:65], off
.LBB114_69:                             ;   in Loop: Header=BB114_15 Depth=2
	s_andn2_saveexec_b64 s[34:35], s[34:35]
	s_cbranch_execz .LBB114_71
; %bb.70:                               ;   in Loop: Header=BB114_15 Depth=2
	s_waitcnt vmcnt(0)
	ds_read_b128 v[76:79], v106 offset:3072
.LBB114_71:                             ;   in Loop: Header=BB114_15 Depth=2
	s_or_b64 exec, exec, s[34:35]
	v_add_u32_e32 v84, 0x600, v84
	v_cmp_lt_u32_e32 vcc, s10, v84
                                        ; implicit-def: $vgpr74_vgpr75
	s_and_saveexec_b64 s[34:35], vcc
	s_xor_b64 s[34:35], exec, s[34:35]
	s_cbranch_execz .LBB114_73
; %bb.72:                               ;   in Loop: Header=BB114_15 Depth=2
	v_lshl_add_u64 v[64:65], v[84:85], 1, s[12:13]
	global_load_dwordx4 v[72:75], v[64:65], off
.LBB114_73:                             ;   in Loop: Header=BB114_15 Depth=2
	s_andn2_saveexec_b64 s[34:35], s[34:35]
	s_cbranch_execz .LBB114_75
; %bb.74:                               ;   in Loop: Header=BB114_15 Depth=2
	v_add_u32_e32 v64, s17, v106
	s_waitcnt vmcnt(0)
	ds_read_b128 v[72:75], v64 offset:3072
.LBB114_75:                             ;   in Loop: Header=BB114_15 Depth=2
	s_or_b64 exec, exec, s[34:35]
	v_add_u32_e32 v84, 0x600, v94
	v_cmp_lt_u32_e32 vcc, s10, v84
                                        ; implicit-def: $vgpr66_vgpr67
	s_and_saveexec_b64 s[34:35], vcc
	s_xor_b64 s[34:35], exec, s[34:35]
	s_cbranch_execz .LBB114_77
; %bb.76:                               ;   in Loop: Header=BB114_15 Depth=2
	v_lshl_add_u64 v[64:65], v[84:85], 1, s[12:13]
	global_load_dwordx4 v[64:67], v[64:65], off
.LBB114_77:                             ;   in Loop: Header=BB114_15 Depth=2
	s_andn2_saveexec_b64 s[34:35], s[34:35]
	s_cbranch_execz .LBB114_79
; %bb.78:                               ;   in Loop: Header=BB114_15 Depth=2
	s_waitcnt vmcnt(0)
	v_add_u32_e32 v64, s33, v106
	v_add_u32_e32 v65, 0xc00, v64
	;; [unrolled: 1-line block ×3, first 2 shown]
	ds_read2_b32 v[64:65], v65 offset1:1
	ds_read2_b32 v[66:67], v66 offset1:1
.LBB114_79:                             ;   in Loop: Header=BB114_15 Depth=2
	s_or_b64 exec, exec, s[34:35]
	v_add_u32_e32 v84, 0x600, v92
	v_cmp_lt_u32_e32 vcc, s10, v84
                                        ; implicit-def: $vgpr71
	s_and_saveexec_b64 s[34:35], vcc
	s_xor_b64 s[34:35], exec, s[34:35]
	s_cbranch_execz .LBB114_81
; %bb.80:                               ;   in Loop: Header=BB114_15 Depth=2
	v_lshl_add_u64 v[68:69], v[84:85], 1, s[12:13]
	global_load_dwordx4 v[68:71], v[68:69], off
.LBB114_81:                             ;   in Loop: Header=BB114_15 Depth=2
	s_andn2_saveexec_b64 s[34:35], s[34:35]
	s_cbranch_execz .LBB114_10
; %bb.82:                               ;   in Loop: Header=BB114_15 Depth=2
	s_waitcnt vmcnt(0)
	v_add_u32_e32 v68, s43, v106
	ds_read_b128 v[68:71], v68 offset:3072
	s_branch .LBB114_10
.LBB114_83:                             ;   in Loop: Header=BB114_8 Depth=1
	v_cvt_i32_f32_e32 v0, v105
	v_cvt_i32_f32_e32 v1, v104
	v_cvt_i32_f32_e32 v2, v103
	v_cvt_i32_f32_e32 v3, v81
	v_cvt_f32_i32_dpp v0, v0 row_shr:8 row_mask:0xf bank_mask:0xf bound_ctrl:1
	v_cvt_f32_i32_dpp v1, v1 row_shr:8 row_mask:0xf bank_mask:0xf bound_ctrl:1
	;; [unrolled: 1-line block ×4, first 2 shown]
	v_add_f32_e32 v0, v105, v0
	v_cvt_i32_f32_e32 v4, v0
	v_add_f32_e32 v1, v104, v1
	v_cvt_i32_f32_e32 v5, v1
	v_add_f32_e32 v2, v103, v2
	v_cvt_f32_i32_dpp v4, v4 row_shr:4 row_mask:0xf bank_mask:0xf bound_ctrl:1
	v_add_f32_e32 v3, v81, v3
	v_cvt_f32_i32_dpp v5, v5 row_shr:4 row_mask:0xf bank_mask:0xf bound_ctrl:1
	v_cvt_i32_f32_e32 v6, v2
	v_add_f32_e32 v0, v0, v4
	v_cvt_i32_f32_e32 v4, v0
	v_cvt_i32_f32_e32 v7, v3
	v_add_f32_e32 v1, v1, v5
	v_cvt_i32_f32_e32 v5, v1
	v_cvt_f32_i32_dpp v4, v4 row_shr:2 row_mask:0xf bank_mask:0xf bound_ctrl:1
	v_cvt_f32_i32_dpp v6, v6 row_shr:4 row_mask:0xf bank_mask:0xf bound_ctrl:1
	;; [unrolled: 1-line block ×4, first 2 shown]
	v_add_f32_e32 v0, v0, v4
	v_cvt_i32_f32_e32 v4, v0
	v_add_f32_e32 v2, v2, v6
	v_add_f32_e32 v3, v3, v7
	v_cvt_i32_f32_e32 v6, v2
	v_cvt_f32_i32_dpp v4, v4 row_shr:1 row_mask:0xf bank_mask:0xf bound_ctrl:1
	v_add_f32_e32 v1, v1, v5
	v_cvt_i32_f32_e32 v7, v3
	v_cvt_i32_f32_e32 v5, v1
	v_add_f32_e32 v0, v0, v4
	v_cvt_f32_i32_dpp v6, v6 row_shr:2 row_mask:0xf bank_mask:0xf bound_ctrl:1
	v_cvt_f32_i32_dpp v7, v7 row_shr:2 row_mask:0xf bank_mask:0xf bound_ctrl:1
	v_cvt_i32_f32_e32 v4, v0
	v_cvt_f32_i32_dpp v5, v5 row_shr:1 row_mask:0xf bank_mask:0xf bound_ctrl:1
	v_add_f32_e32 v2, v2, v6
	v_add_f32_e32 v3, v3, v7
	v_cvt_f32_i32_dpp v4, v4 row_bcast:15 row_mask:0xf bank_mask:0xf bound_ctrl:1
	v_add_f32_e32 v1, v1, v5
	v_cvt_i32_f32_e32 v5, v2
	v_cvt_i32_f32_e32 v6, v3
	v_add_f32_e32 v0, v0, v4
	v_cvt_i32_f32_e32 v7, v1
	v_cvt_f32_i32_dpp v5, v5 row_shr:1 row_mask:0xf bank_mask:0xf bound_ctrl:1
	v_cvt_f32_i32_dpp v4, v6 row_shr:1 row_mask:0xf bank_mask:0xf bound_ctrl:1
	v_cvt_f32_i32_dpp v6, v7 row_bcast:15 row_mask:0xf bank_mask:0xf bound_ctrl:1
	v_add_f32_e32 v2, v2, v5
	v_add_f32_e32 v3, v3, v4
	v_cvt_i32_f32_e32 v5, v2
	v_cvt_i32_f32_e32 v4, v3
	v_add_f32_e32 v1, v1, v6
	v_cvt_i32_f32_e32 v7, v0
	v_cvt_f32_i32_dpp v5, v5 row_bcast:15 row_mask:0xf bank_mask:0xf bound_ctrl:1
	v_cvt_f32_i32_dpp v4, v4 row_bcast:15 row_mask:0xf bank_mask:0xf bound_ctrl:1
	v_cvt_i32_f32_e32 v6, v1
	v_mov_b32_dpp v7, v7 row_bcast:31 row_mask:0xf bank_mask:0xf bound_ctrl:1
	v_add_f32_e32 v2, v2, v5
	v_add_f32_e32 v3, v3, v4
	v_cvt_i32_f32_e32 v5, v2
	v_cvt_i32_f32_e32 v4, v3
	v_mov_b32_dpp v6, v6 row_bcast:31 row_mask:0xf bank_mask:0xf bound_ctrl:1
	v_mov_b32_dpp v5, v5 row_bcast:31 row_mask:0xf bank_mask:0xf bound_ctrl:1
	;; [unrolled: 1-line block ×3, first 2 shown]
	s_and_saveexec_b64 s[4:5], s[0:1]
	s_cbranch_execz .LBB114_7
; %bb.84:                               ;   in Loop: Header=BB114_8 Depth=1
	s_andn2_b64 vcc, exec, s[24:25]
	s_waitcnt vmcnt(0)
	v_mov_b32_e32 v8, 0
	v_mov_b32_e32 v9, 0
	;; [unrolled: 1-line block ×4, first 2 shown]
	s_cbranch_vccnz .LBB114_86
; %bb.85:                               ;   in Loop: Header=BB114_8 Depth=1
	v_mul_hi_u32 v8, v80, v100
	v_mul_lo_u32 v8, v8, s16
	v_sub_u32_e32 v8, v80, v8
	v_subrev_u32_e32 v9, s16, v8
	v_cmp_le_u32_e32 vcc, s16, v8
	s_nop 1
	v_cndmask_b32_e32 v8, v8, v9, vcc
	v_subrev_u32_e32 v9, s16, v8
	v_cmp_le_u32_e32 vcc, s16, v8
	s_nop 1
	v_cndmask_b32_e32 v84, v8, v9, vcc
	v_add_u32_e32 v8, s40, v84
	v_mov_b32_e32 v9, v85
	v_lshl_add_u64 v[12:13], v[84:85], 1, s[14:15]
	v_lshl_add_u64 v[14:15], v[8:9], 1, s[14:15]
	v_add_u32_e32 v8, s41, v84
	v_add_u32_e32 v84, s42, v84
	v_lshl_add_u64 v[16:17], v[8:9], 1, s[14:15]
	v_lshl_add_u64 v[18:19], v[84:85], 1, s[14:15]
	global_load_ushort v11, v[12:13], off
	global_load_ushort v10, v[14:15], off
	;; [unrolled: 1-line block ×4, first 2 shown]
.LBB114_86:                             ;   in Loop: Header=BB114_8 Depth=1
	v_cmp_ne_u32_e32 vcc, 0, v83
	s_and_b64 exec, exec, vcc
	s_cbranch_execz .LBB114_7
; %bb.87:                               ;   in Loop: Header=BB114_8 Depth=1
	v_cvt_f32_i32_e32 v7, v7
	v_cvt_f32_i32_e32 v5, v5
	;; [unrolled: 1-line block ×4, first 2 shown]
	v_add_f32_e32 v0, v0, v7
	s_waitcnt vmcnt(3)
	v_cvt_f32_f16_e32 v7, v11
	v_add_f32_e32 v2, v2, v5
	v_add_f32_e32 v3, v3, v4
	s_waitcnt vmcnt(2)
	v_cvt_f32_f16_e32 v5, v10
	v_add_f32_e32 v0, v0, v7
	v_cvt_f16_f32_e32 v4, v0
	v_mov_b32_e32 v81, v85
	v_add_f32_e32 v6, v1, v6
	s_waitcnt lgkmcnt(0)
	v_lshl_add_u64 v[0:1], v[80:81], 1, s[20:21]
	global_store_short v[0:1], v4, off
	v_add_f32_e32 v0, v6, v5
	v_cvt_f16_f32_e32 v4, v0
	s_waitcnt vmcnt(2)
	v_cvt_f32_f16_e32 v5, v9
	v_add_u32_e32 v84, s11, v80
	v_lshl_add_u64 v[0:1], v[84:85], 1, s[20:21]
	global_store_short v[0:1], v4, off
	v_add_f32_e32 v0, v2, v5
	s_waitcnt vmcnt(2)
	v_cvt_f32_f16_e32 v2, v8
	v_cvt_f16_f32_e32 v4, v0
	v_add_u32_e32 v84, s11, v84
	v_lshl_add_u64 v[0:1], v[84:85], 1, s[20:21]
	v_add_f32_e32 v2, v3, v2
	v_cvt_f16_f32_e32 v2, v2
	v_add_u32_e32 v84, s11, v84
	global_store_short v[0:1], v4, off
	v_lshl_add_u64 v[0:1], v[84:85], 1, s[20:21]
	global_store_short v[0:1], v2, off
	s_branch .LBB114_7
.LBB114_88:
	s_endpgm
	.section	.rodata,"a",@progbits
	.p2align	6, 0x0
	.amdhsa_kernel _Z12wvSplitK_hf_I6__halfLi64ELi1ELi16ELi8ELi4ELi4EEviiiiiiPKT_S3_S3_PS1_ii
		.amdhsa_group_segment_fixed_size 65536
		.amdhsa_private_segment_fixed_size 0
		.amdhsa_kernarg_size 64
		.amdhsa_user_sgpr_count 2
		.amdhsa_user_sgpr_dispatch_ptr 0
		.amdhsa_user_sgpr_queue_ptr 0
		.amdhsa_user_sgpr_kernarg_segment_ptr 1
		.amdhsa_user_sgpr_dispatch_id 0
		.amdhsa_user_sgpr_kernarg_preload_length 0
		.amdhsa_user_sgpr_kernarg_preload_offset 0
		.amdhsa_user_sgpr_private_segment_size 0
		.amdhsa_uses_dynamic_stack 0
		.amdhsa_enable_private_segment 0
		.amdhsa_system_sgpr_workgroup_id_x 1
		.amdhsa_system_sgpr_workgroup_id_y 0
		.amdhsa_system_sgpr_workgroup_id_z 0
		.amdhsa_system_sgpr_workgroup_info 0
		.amdhsa_system_vgpr_workitem_id 1
		.amdhsa_next_free_vgpr 107
		.amdhsa_next_free_sgpr 45
		.amdhsa_accum_offset 108
		.amdhsa_reserve_vcc 1
		.amdhsa_float_round_mode_32 0
		.amdhsa_float_round_mode_16_64 0
		.amdhsa_float_denorm_mode_32 3
		.amdhsa_float_denorm_mode_16_64 3
		.amdhsa_dx10_clamp 1
		.amdhsa_ieee_mode 1
		.amdhsa_fp16_overflow 0
		.amdhsa_tg_split 0
		.amdhsa_exception_fp_ieee_invalid_op 0
		.amdhsa_exception_fp_denorm_src 0
		.amdhsa_exception_fp_ieee_div_zero 0
		.amdhsa_exception_fp_ieee_overflow 0
		.amdhsa_exception_fp_ieee_underflow 0
		.amdhsa_exception_fp_ieee_inexact 0
		.amdhsa_exception_int_div_zero 0
	.end_amdhsa_kernel
	.section	.text._Z12wvSplitK_hf_I6__halfLi64ELi1ELi16ELi8ELi4ELi4EEviiiiiiPKT_S3_S3_PS1_ii,"axG",@progbits,_Z12wvSplitK_hf_I6__halfLi64ELi1ELi16ELi8ELi4ELi4EEviiiiiiPKT_S3_S3_PS1_ii,comdat
.Lfunc_end114:
	.size	_Z12wvSplitK_hf_I6__halfLi64ELi1ELi16ELi8ELi4ELi4EEviiiiiiPKT_S3_S3_PS1_ii, .Lfunc_end114-_Z12wvSplitK_hf_I6__halfLi64ELi1ELi16ELi8ELi4ELi4EEviiiiiiPKT_S3_S3_PS1_ii
                                        ; -- End function
	.section	.AMDGPU.csdata,"",@progbits
; Kernel info:
; codeLenInByte = 3792
; NumSgprs: 51
; NumVgprs: 107
; NumAgprs: 0
; TotalNumVgprs: 107
; ScratchSize: 0
; MemoryBound: 1
; FloatMode: 240
; IeeeMode: 1
; LDSByteSize: 65536 bytes/workgroup (compile time only)
; SGPRBlocks: 6
; VGPRBlocks: 13
; NumSGPRsForWavesPerEU: 51
; NumVGPRsForWavesPerEU: 107
; AccumOffset: 108
; Occupancy: 4
; WaveLimiterHint : 0
; COMPUTE_PGM_RSRC2:SCRATCH_EN: 0
; COMPUTE_PGM_RSRC2:USER_SGPR: 2
; COMPUTE_PGM_RSRC2:TRAP_HANDLER: 0
; COMPUTE_PGM_RSRC2:TGID_X_EN: 1
; COMPUTE_PGM_RSRC2:TGID_Y_EN: 0
; COMPUTE_PGM_RSRC2:TGID_Z_EN: 0
; COMPUTE_PGM_RSRC2:TIDIG_COMP_CNT: 1
; COMPUTE_PGM_RSRC3_GFX90A:ACCUM_OFFSET: 26
; COMPUTE_PGM_RSRC3_GFX90A:TG_SPLIT: 0
	.section	.text._Z16wvSplitK_hf_big_I6__halfLi64ELi1ELi16ELi8ELi4ELi4EEviiiiiiPKT_S3_S3_PS1_ii,"axG",@progbits,_Z16wvSplitK_hf_big_I6__halfLi64ELi1ELi16ELi8ELi4ELi4EEviiiiiiPKT_S3_S3_PS1_ii,comdat
	.protected	_Z16wvSplitK_hf_big_I6__halfLi64ELi1ELi16ELi8ELi4ELi4EEviiiiiiPKT_S3_S3_PS1_ii ; -- Begin function _Z16wvSplitK_hf_big_I6__halfLi64ELi1ELi16ELi8ELi4ELi4EEviiiiiiPKT_S3_S3_PS1_ii
	.globl	_Z16wvSplitK_hf_big_I6__halfLi64ELi1ELi16ELi8ELi4ELi4EEviiiiiiPKT_S3_S3_PS1_ii
	.p2align	8
	.type	_Z16wvSplitK_hf_big_I6__halfLi64ELi1ELi16ELi8ELi4ELi4EEviiiiiiPKT_S3_S3_PS1_ii,@function
_Z16wvSplitK_hf_big_I6__halfLi64ELi1ELi16ELi8ELi4ELi4EEviiiiiiPKT_S3_S3_PS1_ii: ; @_Z16wvSplitK_hf_big_I6__halfLi64ELi1ELi16ELi8ELi4ELi4EEviiiiiiPKT_S3_S3_PS1_ii
; %bb.0:
	s_load_dwordx2 s[4:5], s[0:1], 0x38
	v_bfe_u32 v1, v0, 10, 10
	s_waitcnt lgkmcnt(0)
	v_cmp_gt_u32_e32 vcc, s4, v1
	s_and_saveexec_b64 s[6:7], vcc
	s_cbranch_execz .LBB115_38
; %bb.1:
	s_load_dwordx4 s[20:23], s[0:1], 0x0
	s_mul_i32 s2, s2, s4
	v_add_u32_e32 v80, s2, v1
	v_add_u32_e32 v2, 1, v80
	v_mov_b32_e32 v85, 1
	s_waitcnt lgkmcnt(0)
	v_cmp_gt_u32_e32 vcc, s23, v80
	v_cmp_le_u32_e64 s[2:3], s23, v2
	s_and_b64 s[6:7], vcc, s[2:3]
	s_and_saveexec_b64 s[2:3], s[6:7]
; %bb.2:
	v_subrev_u32_e32 v2, s23, v80
	v_cmp_eq_u32_e32 vcc, -1, v2
	s_add_i32 s6, s23, -1
	v_mov_b32_e32 v80, s6
	v_cndmask_b32_e64 v85, 0, 1, vcc
; %bb.3:
	s_or_b64 exec, exec, s[2:3]
	s_abs_i32 s2, s4
	v_cvt_f32_u32_e32 v2, s2
	s_sub_i32 s7, 0, s2
	s_abs_i32 s6, s23
	s_ashr_i32 s3, s23, 31
	v_rcp_iflag_f32_e32 v2, v2
	s_nop 0
	v_mul_f32_e32 v2, 0x4f7ffffe, v2
	v_cvt_u32_f32_e32 v2, v2
	s_nop 0
	v_readfirstlane_b32 s8, v2
	s_mul_i32 s7, s7, s8
	s_mul_hi_u32 s7, s8, s7
	s_add_i32 s8, s8, s7
	s_mul_hi_u32 s7, s6, s8
	s_mul_i32 s7, s7, s2
	s_sub_i32 s6, s6, s7
	s_sub_i32 s7, s6, s2
	s_cmp_ge_u32 s6, s2
	s_cselect_b32 s6, s7, s6
	s_sub_i32 s7, s6, s2
	s_cmp_ge_u32 s6, s2
	s_cselect_b32 s2, s7, s6
	s_xor_b32 s2, s2, s3
	s_sub_i32 s2, s2, s3
	s_add_i32 s3, s4, s23
	s_sub_i32 s3, s3, s2
	s_cmp_eq_u32 s2, 0
	s_cselect_b32 s33, s23, s3
	v_cmp_gt_u32_e32 vcc, s33, v80
	s_and_b64 exec, exec, vcc
	s_cbranch_execz .LBB115_38
; %bb.4:
	s_load_dwordx8 s[12:19], s[0:1], 0x10
	s_min_u32 s38, s22, 0x2000
	s_cmp_lg_u32 s20, 0
	s_cselect_b64 s[2:3], -1, 0
	s_cmp_lg_u32 s22, 0
	s_cselect_b64 s[6:7], -1, 0
	s_lshl_b32 s39, s4, 9
	s_add_i32 s40, s20, -8
	s_add_i32 s41, s23, -1
	s_waitcnt lgkmcnt(0)
	s_cmp_lg_u64 s[18:19], 0
	s_cselect_b64 s[26:27], -1, 0
	s_abs_i32 s8, s13
	v_cvt_f32_u32_e32 v2, s12
	v_cvt_f32_u32_e32 v3, s8
	s_mul_i32 s42, s5, s4
	s_sub_i32 s5, s42, s23
	v_rcp_iflag_f32_e32 v2, v2
	v_rcp_iflag_f32_e32 v3, v3
	s_add_i32 s13, s5, 2
	s_sub_i32 s5, 0, s12
	v_mul_f32_e32 v2, 0x4f7ffffe, v2
	v_mul_f32_e32 v3, 0x4f7ffffe, v3
	v_cvt_u32_f32_e32 v2, v2
	v_cvt_u32_f32_e32 v3, v3
	s_load_dwordx2 s[10:11], s[0:1], 0x30
	v_and_b32_e32 v0, 0x3ff, v0
	v_mul_lo_u32 v4, s5, v2
	s_sub_i32 s5, 0, s8
	v_readfirstlane_b32 s9, v3
	s_mul_i32 s5, s5, s9
	s_mul_hi_u32 s5, s9, s5
	s_add_i32 s9, s9, s5
	s_sub_i32 s5, 1, s8
	s_cmp_lt_u32 s8, 2
	s_cselect_b32 s5, s5, 1
	s_sub_i32 s28, s5, s8
	s_cmp_ge_u32 s5, s8
	s_cselect_b32 s43, s28, s5
	s_lshr_b32 s5, s9, 31
	s_mul_i32 s5, s5, s8
	s_sub_i32 s5, 2, s5
	s_sub_i32 s28, s5, s8
	s_cmp_ge_u32 s5, s8
	s_cselect_b32 s5, s28, s5
	s_sub_i32 s28, s5, s8
	s_cmp_ge_u32 s5, s8
	s_cselect_b32 s44, s28, s5
	s_mul_hi_u32 s5, s9, 3
	s_mul_i32 s5, s5, s8
	s_sub_i32 s5, 3, s5
	s_sub_i32 s9, s5, s8
	s_cmp_ge_u32 s5, s8
	s_cselect_b32 s5, s9, s5
	v_lshlrev_b32_e32 v90, 3, v0
	v_cmp_eq_u32_e64 s[0:1], 63, v0
	s_sub_i32 s9, s5, s8
	v_lshlrev_b32_e32 v0, 4, v0
	s_cmp_ge_u32 s5, s8
	v_lshl_add_u32 v92, v1, 10, v0
	v_lshl_add_u32 v84, v1, 9, v90
	v_cndmask_b32_e64 v0, 0, 1, s[2:3]
	v_mul_hi_u32 v4, v2, v4
	s_cselect_b32 s45, s9, s5
	s_lshl_b32 s47, s4, 10
	v_mad_u64_u32 v[86:87], s[4:5], s22, 3, v[84:85]
	v_cmp_ne_u32_e64 s[2:3], 1, v0
	v_cndmask_b32_e64 v0, 0, 1, s[6:7]
	s_mov_b64 s[24:25], 0
	v_add_u32_e32 v91, v2, v4
	v_mov_b32_e32 v83, 0
	s_mul_i32 s43, s43, s12
	s_mul_i32 s44, s44, s12
	;; [unrolled: 1-line block ×4, first 2 shown]
	s_lshl_b32 s48, s38, 2
	s_lshl_b32 s49, s38, 1
	v_lshl_add_u32 v93, s22, 1, v84
	v_add_u32_e32 v87, s22, v84
	v_cmp_ne_u32_e64 s[4:5], 1, v0
	s_branch .LBB115_7
.LBB115_5:                              ;   in Loop: Header=BB115_7 Depth=1
	s_or_b64 exec, exec, s[6:7]
.LBB115_6:                              ;   in Loop: Header=BB115_7 Depth=1
	s_or_b64 exec, exec, s[8:9]
	v_cmp_le_u32_e32 vcc, s33, v0
	s_or_b64 s[24:25], vcc, s[24:25]
	v_mov_b32_e32 v80, v0
	s_andn2_b64 exec, exec, s[24:25]
	s_cbranch_execz .LBB115_38
.LBB115_7:                              ; =>This Loop Header: Depth=1
                                        ;     Child Loop BB115_14 Depth 2
                                        ;       Child Loop BB115_19 Depth 3
	s_mov_b32 s50, 0
	s_and_b64 vcc, exec, s[2:3]
	v_mov_b32_e32 v96, v83
	v_mov_b32_e32 v95, v83
	;; [unrolled: 1-line block ×4, first 2 shown]
	s_cbranch_vccnz .LBB115_28
; %bb.8:                                ;   in Loop: Header=BB115_7 Depth=1
	v_min_u32_e32 v0, s41, v80
	v_mul_lo_u32 v82, v0, s21
	v_cmp_gt_u32_e64 s[6:7], s23, v80
	v_lshl_add_u64 v[88:89], v[82:83], 1, s[14:15]
	v_mov_b32_e32 v81, 0
	v_mov_b32_e32 v94, 0
	v_mov_b32_e32 v95, 0
	v_mov_b32_e32 v96, 0
	s_mov_b32 s51, 0
	s_branch .LBB115_14
.LBB115_9:                              ;   in Loop: Header=BB115_14 Depth=2
	s_or_b64 exec, exec, s[36:37]
.LBB115_10:                             ;   in Loop: Header=BB115_14 Depth=2
	s_or_b64 exec, exec, s[34:35]
.LBB115_11:                             ;   in Loop: Header=BB115_14 Depth=2
	s_or_b64 exec, exec, s[30:31]
.LBB115_12:                             ;   in Loop: Header=BB115_14 Depth=2
	s_or_b64 exec, exec, s[28:29]
	s_waitcnt vmcnt(3) lgkmcnt(0)
	;;#ASMSTART
	v_dot2c_f32_f16 v96, v76, v36
	;;#ASMEND
	;;#ASMSTART
	v_dot2c_f32_f16 v95, v68, v36
	;;#ASMEND
	;;#ASMSTART
	v_dot2c_f32_f16 v94, v60, v36
	;;#ASMEND
	;;#ASMSTART
	v_dot2c_f32_f16 v81, v56, v36
	;;#ASMEND
	s_nop 0
	;;#ASMSTART
	v_dot2c_f32_f16 v96, v77, v37
	;;#ASMEND
	;;#ASMSTART
	v_dot2c_f32_f16 v95, v69, v37
	;;#ASMEND
	;;#ASMSTART
	v_dot2c_f32_f16 v94, v61, v37
	;;#ASMEND
	;;#ASMSTART
	v_dot2c_f32_f16 v81, v57, v37
	;;#ASMEND
	s_nop 0
	;;#ASMSTART
	v_dot2c_f32_f16 v96, v78, v38
	;;#ASMEND
	;;#ASMSTART
	v_dot2c_f32_f16 v95, v70, v38
	;;#ASMEND
	;;#ASMSTART
	v_dot2c_f32_f16 v94, v62, v38
	;;#ASMEND
	;;#ASMSTART
	v_dot2c_f32_f16 v81, v58, v38
	;;#ASMEND
	s_nop 0
	;;#ASMSTART
	v_dot2c_f32_f16 v96, v79, v39
	;;#ASMEND
	;;#ASMSTART
	v_dot2c_f32_f16 v95, v71, v39
	;;#ASMEND
	;;#ASMSTART
	v_dot2c_f32_f16 v94, v63, v39
	;;#ASMEND
	;;#ASMSTART
	v_dot2c_f32_f16 v81, v59, v39
	;;#ASMEND
	s_waitcnt vmcnt(2)
	;;#ASMSTART
	v_dot2c_f32_f16 v96, v72, v16
	;;#ASMEND
	;;#ASMSTART
	v_dot2c_f32_f16 v95, v64, v16
	;;#ASMEND
	;;#ASMSTART
	v_dot2c_f32_f16 v94, v52, v16
	;;#ASMEND
	;;#ASMSTART
	v_dot2c_f32_f16 v81, v44, v16
	;;#ASMEND
	s_nop 0
	;;#ASMSTART
	v_dot2c_f32_f16 v96, v73, v17
	;;#ASMEND
	;;#ASMSTART
	v_dot2c_f32_f16 v95, v65, v17
	;;#ASMEND
	;;#ASMSTART
	v_dot2c_f32_f16 v94, v53, v17
	;;#ASMEND
	;;#ASMSTART
	v_dot2c_f32_f16 v81, v45, v17
	;;#ASMEND
	s_nop 0
	;;#ASMSTART
	v_dot2c_f32_f16 v96, v74, v18
	;;#ASMEND
	;;#ASMSTART
	v_dot2c_f32_f16 v95, v66, v18
	;;#ASMEND
	;;#ASMSTART
	v_dot2c_f32_f16 v94, v54, v18
	;;#ASMEND
	;;#ASMSTART
	v_dot2c_f32_f16 v81, v46, v18
	;;#ASMEND
	s_nop 0
	;;#ASMSTART
	v_dot2c_f32_f16 v96, v75, v19
	;;#ASMEND
	;;#ASMSTART
	v_dot2c_f32_f16 v95, v67, v19
	;;#ASMEND
	;;#ASMSTART
	v_dot2c_f32_f16 v94, v55, v19
	;;#ASMEND
	;;#ASMSTART
	v_dot2c_f32_f16 v81, v47, v19
	;;#ASMEND
	s_waitcnt vmcnt(1)
	;;#ASMSTART
	v_dot2c_f32_f16 v96, v48, v4
	;;#ASMEND
	;;#ASMSTART
	v_dot2c_f32_f16 v95, v40, v4
	;;#ASMEND
	;;#ASMSTART
	v_dot2c_f32_f16 v94, v32, v4
	;;#ASMEND
	;;#ASMSTART
	v_dot2c_f32_f16 v81, v28, v4
	;;#ASMEND
	s_nop 0
	;;#ASMSTART
	v_dot2c_f32_f16 v96, v49, v5
	;;#ASMEND
	;;#ASMSTART
	v_dot2c_f32_f16 v95, v41, v5
	;;#ASMEND
	;;#ASMSTART
	v_dot2c_f32_f16 v94, v33, v5
	;;#ASMEND
	;;#ASMSTART
	v_dot2c_f32_f16 v81, v29, v5
	;;#ASMEND
	s_nop 0
	;;#ASMSTART
	v_dot2c_f32_f16 v96, v50, v6
	;;#ASMEND
	;;#ASMSTART
	v_dot2c_f32_f16 v95, v42, v6
	;;#ASMEND
	;;#ASMSTART
	v_dot2c_f32_f16 v94, v34, v6
	;;#ASMEND
	;;#ASMSTART
	v_dot2c_f32_f16 v81, v30, v6
	;;#ASMEND
	s_nop 0
	;;#ASMSTART
	v_dot2c_f32_f16 v96, v51, v7
	;;#ASMEND
	;;#ASMSTART
	v_dot2c_f32_f16 v95, v43, v7
	;;#ASMEND
	;;#ASMSTART
	v_dot2c_f32_f16 v94, v35, v7
	;;#ASMEND
	;;#ASMSTART
	v_dot2c_f32_f16 v81, v31, v7
	;;#ASMEND
	s_waitcnt vmcnt(0)
	;;#ASMSTART
	v_dot2c_f32_f16 v96, v24, v0
	;;#ASMEND
	;;#ASMSTART
	v_dot2c_f32_f16 v95, v20, v0
	;;#ASMEND
	;;#ASMSTART
	v_dot2c_f32_f16 v94, v12, v0
	;;#ASMEND
	;;#ASMSTART
	v_dot2c_f32_f16 v81, v8, v0
	;;#ASMEND
	s_nop 0
	;;#ASMSTART
	v_dot2c_f32_f16 v96, v25, v1
	;;#ASMEND
	;;#ASMSTART
	v_dot2c_f32_f16 v95, v21, v1
	;;#ASMEND
	;;#ASMSTART
	v_dot2c_f32_f16 v94, v13, v1
	;;#ASMEND
	;;#ASMSTART
	v_dot2c_f32_f16 v81, v9, v1
	;;#ASMEND
	s_nop 0
	;; [unrolled: 13-line block ×3, first 2 shown]
	;;#ASMSTART
	v_dot2c_f32_f16 v96, v27, v3
	;;#ASMEND
	;;#ASMSTART
	v_dot2c_f32_f16 v95, v23, v3
	;;#ASMEND
	;; [unrolled: 3-line block ×4, first 2 shown]
.LBB115_13:                             ;   in Loop: Header=BB115_14 Depth=2
	s_or_b64 exec, exec, s[8:9]
	s_addk_i32 s51, 0x800
	s_cmp_ge_u32 s51, s20
	s_cbranch_scc1 .LBB115_28
.LBB115_14:                             ;   Parent Loop BB115_7 Depth=1
                                        ; =>  This Loop Header: Depth=2
                                        ;       Child Loop BB115_19 Depth 3
	s_cmp_eq_u32 s51, 0
	s_cselect_b64 s[8:9], -1, 0
	s_add_i32 s28, s50, s38
	s_cmp_eq_u32 s51, s28
	s_cselect_b64 s[30:31], -1, 0
	s_or_b64 s[30:31], s[8:9], s[30:31]
	s_andn2_b64 vcc, exec, s[30:31]
	s_cbranch_vccz .LBB115_16
; %bb.15:                               ;   in Loop: Header=BB115_14 Depth=2
	s_and_saveexec_b64 s[8:9], s[6:7]
	s_cbranch_execz .LBB115_13
	s_branch .LBB115_23
.LBB115_16:                             ;   in Loop: Header=BB115_14 Depth=2
	s_and_b64 s[8:9], s[8:9], exec
	s_cselect_b32 s50, s50, s28
	s_and_b64 vcc, exec, s[4:5]
	s_waitcnt lgkmcnt(0)
	s_barrier
	s_cbranch_vccnz .LBB115_22
; %bb.17:                               ;   in Loop: Header=BB115_14 Depth=2
	v_add_u32_e32 v0, s50, v93
	v_add_u32_e32 v1, s50, v86
	;; [unrolled: 1-line block ×4, first 2 shown]
	s_mov_b32 s34, 0
	s_mov_b64 s[28:29], 0
	v_mov_b32_e32 v4, v92
                                        ; implicit-def: $sgpr30_sgpr31
	s_branch .LBB115_19
.LBB115_18:                             ;   in Loop: Header=BB115_19 Depth=3
	s_or_b64 exec, exec, s[8:9]
	s_and_b64 s[8:9], exec, s[30:31]
	s_or_b64 s[28:29], s[8:9], s[28:29]
	s_andn2_b64 exec, exec, s[28:29]
	s_cbranch_execz .LBB115_21
.LBB115_19:                             ;   Parent Loop BB115_7 Depth=1
                                        ;     Parent Loop BB115_14 Depth=2
                                        ; =>    This Inner Loop Header: Depth=3
	v_add_u32_e32 v5, s34, v84
	v_add_u32_e32 v82, s34, v3
	v_cmp_gt_u32_e32 vcc, s22, v82
	v_cmp_gt_u32_e64 s[8:9], s38, v5
	s_and_b64 s[36:37], s[8:9], vcc
	s_or_b64 s[30:31], s[30:31], exec
	s_and_saveexec_b64 s[8:9], s[36:37]
	s_cbranch_execz .LBB115_18
; %bb.20:                               ;   in Loop: Header=BB115_19 Depth=3
	v_lshl_add_u64 v[14:15], v[82:83], 1, s[16:17]
	v_add_u32_e32 v82, s34, v2
	v_lshl_add_u64 v[16:17], v[82:83], 1, s[16:17]
	v_add_u32_e32 v82, s34, v0
	global_load_dwordx4 v[6:9], v[14:15], off
	global_load_dwordx4 v[10:13], v[16:17], off
	v_lshl_add_u64 v[14:15], v[82:83], 1, s[16:17]
	v_add_u32_e32 v82, s34, v1
	global_load_dwordx4 v[14:17], v[14:15], off
	v_lshl_add_u64 v[18:19], v[82:83], 1, s[16:17]
	global_load_dwordx4 v[18:21], v[18:19], off
	s_add_i32 s34, s34, s39
	s_cmp_ge_u32 s34, s38
	s_cselect_b64 s[36:37], -1, 0
	s_andn2_b64 s[30:31], s[30:31], exec
	s_and_b64 s[36:37], s[36:37], exec
	v_add_u32_e32 v5, s49, v4
	v_add_u32_e32 v22, s48, v4
	;; [unrolled: 1-line block ×3, first 2 shown]
	s_or_b64 s[30:31], s[30:31], s[36:37]
	s_waitcnt vmcnt(3)
	ds_write_b128 v4, v[6:9]
	v_add_u32_e32 v4, s47, v4
	s_waitcnt vmcnt(2)
	ds_write2_b64 v5, v[10:11], v[12:13] offset1:1
	s_waitcnt vmcnt(1)
	ds_write2_b32 v22, v14, v15 offset1:1
	ds_write2_b32 v22, v16, v17 offset0:2 offset1:3
	s_waitcnt vmcnt(0)
	ds_write2_b64 v23, v[18:19], v[20:21] offset1:1
	s_branch .LBB115_18
.LBB115_21:                             ;   in Loop: Header=BB115_14 Depth=2
	s_or_b64 exec, exec, s[28:29]
.LBB115_22:                             ;   in Loop: Header=BB115_14 Depth=2
	s_waitcnt lgkmcnt(0)
	s_barrier
	s_and_saveexec_b64 s[8:9], s[6:7]
	s_cbranch_execz .LBB115_13
.LBB115_23:                             ;   in Loop: Header=BB115_14 Depth=2
	v_add_u32_e32 v99, s51, v90
	v_min_u32_e32 v82, s40, v99
	v_add_u32_e32 v102, 0x200, v99
	v_lshl_add_u64 v[0:1], v[82:83], 1, v[88:89]
	v_min_u32_e32 v82, s40, v102
	v_add_u32_e32 v98, 0x400, v99
	v_lshl_add_u64 v[2:3], v[82:83], 1, v[88:89]
	v_min_u32_e32 v82, s40, v98
	v_add_u32_e32 v97, 0x600, v99
	s_waitcnt vmcnt(0)
	v_lshl_add_u64 v[8:9], v[82:83], 1, v[88:89]
	v_min_u32_e32 v82, s40, v97
	global_load_dwordx4 v[36:39], v[0:1], off nt
	global_load_dwordx4 v[16:19], v[2:3], off nt
	v_lshl_add_u64 v[10:11], v[82:83], 1, v[88:89]
	global_load_dwordx4 v[4:7], v[8:9], off nt
	global_load_dwordx4 v[0:3], v[10:11], off nt
	v_cmp_gt_u32_e32 vcc, s20, v99
	v_mov_b32_e32 v76, 0
	v_mov_b32_e32 v77, 0
	;; [unrolled: 1-line block ×64, first 2 shown]
	s_and_saveexec_b64 s[28:29], vcc
	s_cbranch_execz .LBB115_12
; %bb.24:                               ;   in Loop: Header=BB115_14 Depth=2
	v_subrev_u32_e32 v8, s50, v99
	v_lshlrev_b32_e32 v101, 1, v8
	v_add_u32_e32 v100, s49, v101
	v_add_u32_e32 v99, s49, v100
	ds_read_b128 v[76:79], v101
	ds_read_b128 v[68:71], v100
	v_add_u32_e32 v82, s49, v99
	ds_read_b128 v[60:63], v99
	ds_read_b128 v[56:59], v82
	v_cmp_gt_u32_e32 vcc, s20, v102
	v_mov_b32_e32 v11, 0
	v_mov_b32_e32 v10, 0
	;; [unrolled: 1-line block ×48, first 2 shown]
	s_and_saveexec_b64 s[30:31], vcc
	s_cbranch_execz .LBB115_11
; %bb.25:                               ;   in Loop: Header=BB115_14 Depth=2
	ds_read_b128 v[72:75], v101 offset:1024
	ds_read_b128 v[64:67], v100 offset:1024
	;; [unrolled: 1-line block ×4, first 2 shown]
	v_cmp_gt_u32_e32 vcc, s20, v98
	v_mov_b32_e32 v11, 0
	v_mov_b32_e32 v10, 0
	;; [unrolled: 1-line block ×32, first 2 shown]
	s_and_saveexec_b64 s[34:35], vcc
	s_cbranch_execz .LBB115_10
; %bb.26:                               ;   in Loop: Header=BB115_14 Depth=2
	ds_read_b128 v[48:51], v101 offset:2048
	ds_read_b128 v[40:43], v100 offset:2048
	;; [unrolled: 1-line block ×4, first 2 shown]
	v_cmp_gt_u32_e32 vcc, s20, v97
	v_mov_b32_e32 v11, 0
	v_mov_b32_e32 v10, 0
	;; [unrolled: 1-line block ×16, first 2 shown]
	s_and_saveexec_b64 s[36:37], vcc
	s_cbranch_execz .LBB115_9
; %bb.27:                               ;   in Loop: Header=BB115_14 Depth=2
	ds_read_b128 v[24:27], v101 offset:3072
	ds_read_b128 v[20:23], v100 offset:3072
	;; [unrolled: 1-line block ×4, first 2 shown]
	s_branch .LBB115_9
.LBB115_28:                             ;   in Loop: Header=BB115_7 Depth=1
	v_cmp_le_u32_e32 vcc, s23, v80
                                        ; implicit-def: $vgpr0
	s_and_saveexec_b64 s[6:7], vcc
	s_xor_b64 s[6:7], exec, s[6:7]
; %bb.29:                               ;   in Loop: Header=BB115_7 Depth=1
	v_add_u32_e32 v0, s42, v80
                                        ; implicit-def: $vgpr80
                                        ; implicit-def: $vgpr96
                                        ; implicit-def: $vgpr95
                                        ; implicit-def: $vgpr94
                                        ; implicit-def: $vgpr81
; %bb.30:                               ;   in Loop: Header=BB115_7 Depth=1
	s_andn2_saveexec_b64 s[8:9], s[6:7]
	s_cbranch_execz .LBB115_6
; %bb.31:                               ;   in Loop: Header=BB115_7 Depth=1
	v_cvt_i32_f32_e32 v0, v96
	v_cvt_i32_f32_e32 v1, v95
	;; [unrolled: 1-line block ×4, first 2 shown]
	v_cvt_f32_i32_dpp v0, v0 row_shr:8 row_mask:0xf bank_mask:0xf bound_ctrl:1
	v_cvt_f32_i32_dpp v1, v1 row_shr:8 row_mask:0xf bank_mask:0xf bound_ctrl:1
	;; [unrolled: 1-line block ×4, first 2 shown]
	v_add_f32_e32 v0, v96, v0
	v_cvt_i32_f32_e32 v4, v0
	v_add_f32_e32 v1, v95, v1
	v_cvt_i32_f32_e32 v5, v1
	v_add_f32_e32 v2, v94, v2
	v_cvt_f32_i32_dpp v4, v4 row_shr:4 row_mask:0xf bank_mask:0xf bound_ctrl:1
	v_add_f32_e32 v3, v81, v3
	v_cvt_f32_i32_dpp v5, v5 row_shr:4 row_mask:0xf bank_mask:0xf bound_ctrl:1
	v_cvt_i32_f32_e32 v6, v2
	v_add_f32_e32 v0, v0, v4
	v_cvt_i32_f32_e32 v4, v0
	v_cvt_i32_f32_e32 v7, v3
	v_add_f32_e32 v1, v1, v5
	v_cvt_i32_f32_e32 v5, v1
	v_cvt_f32_i32_dpp v4, v4 row_shr:2 row_mask:0xf bank_mask:0xf bound_ctrl:1
	v_cvt_f32_i32_dpp v6, v6 row_shr:4 row_mask:0xf bank_mask:0xf bound_ctrl:1
	;; [unrolled: 1-line block ×4, first 2 shown]
	v_add_f32_e32 v0, v0, v4
	v_cvt_i32_f32_e32 v4, v0
	v_add_f32_e32 v2, v2, v6
	v_add_f32_e32 v3, v3, v7
	v_cvt_i32_f32_e32 v6, v2
	v_cvt_f32_i32_dpp v4, v4 row_shr:1 row_mask:0xf bank_mask:0xf bound_ctrl:1
	v_add_f32_e32 v1, v1, v5
	v_cvt_i32_f32_e32 v7, v3
	v_cvt_i32_f32_e32 v5, v1
	v_add_f32_e32 v0, v0, v4
	v_cvt_f32_i32_dpp v6, v6 row_shr:2 row_mask:0xf bank_mask:0xf bound_ctrl:1
	v_cvt_f32_i32_dpp v7, v7 row_shr:2 row_mask:0xf bank_mask:0xf bound_ctrl:1
	v_cvt_i32_f32_e32 v4, v0
	v_cvt_f32_i32_dpp v5, v5 row_shr:1 row_mask:0xf bank_mask:0xf bound_ctrl:1
	v_add_f32_e32 v2, v2, v6
	v_add_f32_e32 v3, v3, v7
	v_cvt_f32_i32_dpp v4, v4 row_bcast:15 row_mask:0xf bank_mask:0xf bound_ctrl:1
	v_add_f32_e32 v1, v1, v5
	v_cvt_i32_f32_e32 v5, v2
	v_cvt_i32_f32_e32 v6, v3
	v_add_f32_e32 v0, v0, v4
	v_cvt_i32_f32_e32 v7, v1
	v_cvt_f32_i32_dpp v5, v5 row_shr:1 row_mask:0xf bank_mask:0xf bound_ctrl:1
	v_cvt_f32_i32_dpp v4, v6 row_shr:1 row_mask:0xf bank_mask:0xf bound_ctrl:1
	v_cvt_f32_i32_dpp v6, v7 row_bcast:15 row_mask:0xf bank_mask:0xf bound_ctrl:1
	v_add_f32_e32 v2, v2, v5
	v_add_f32_e32 v3, v3, v4
	v_cvt_i32_f32_e32 v5, v2
	v_cvt_i32_f32_e32 v4, v3
	v_add_f32_e32 v1, v1, v6
	v_cvt_i32_f32_e32 v7, v0
	v_cvt_f32_i32_dpp v5, v5 row_bcast:15 row_mask:0xf bank_mask:0xf bound_ctrl:1
	v_cvt_f32_i32_dpp v4, v4 row_bcast:15 row_mask:0xf bank_mask:0xf bound_ctrl:1
	v_cvt_i32_f32_e32 v6, v1
	v_mov_b32_dpp v7, v7 row_bcast:31 row_mask:0xf bank_mask:0xf bound_ctrl:1
	v_add_f32_e32 v2, v2, v5
	v_add_f32_e32 v3, v3, v4
	v_cvt_i32_f32_e32 v5, v2
	v_cvt_i32_f32_e32 v4, v3
	v_mov_b32_dpp v6, v6 row_bcast:31 row_mask:0xf bank_mask:0xf bound_ctrl:1
	v_mov_b32_dpp v5, v5 row_bcast:31 row_mask:0xf bank_mask:0xf bound_ctrl:1
	;; [unrolled: 1-line block ×3, first 2 shown]
	s_and_saveexec_b64 s[6:7], s[0:1]
	s_cbranch_execz .LBB115_36
; %bb.32:                               ;   in Loop: Header=BB115_7 Depth=1
	s_andn2_b64 vcc, exec, s[26:27]
	s_waitcnt vmcnt(0)
	v_mov_b32_e32 v8, 0
	v_mov_b32_e32 v9, 0
	;; [unrolled: 1-line block ×4, first 2 shown]
	s_cbranch_vccnz .LBB115_34
; %bb.33:                               ;   in Loop: Header=BB115_7 Depth=1
	v_mul_hi_u32 v8, v80, v91
	v_mul_lo_u32 v8, v8, s12
	v_sub_u32_e32 v8, v80, v8
	v_subrev_u32_e32 v9, s12, v8
	v_cmp_le_u32_e32 vcc, s12, v8
	s_nop 1
	v_cndmask_b32_e32 v8, v8, v9, vcc
	v_subrev_u32_e32 v9, s12, v8
	v_cmp_le_u32_e32 vcc, s12, v8
	s_nop 1
	v_cndmask_b32_e32 v82, v8, v9, vcc
	v_add_u32_e32 v8, s43, v82
	v_mov_b32_e32 v9, v83
	v_lshl_add_u64 v[12:13], v[82:83], 1, s[18:19]
	v_lshl_add_u64 v[14:15], v[8:9], 1, s[18:19]
	v_add_u32_e32 v8, s44, v82
	v_add_u32_e32 v82, s45, v82
	v_lshl_add_u64 v[16:17], v[8:9], 1, s[18:19]
	v_lshl_add_u64 v[18:19], v[82:83], 1, s[18:19]
	global_load_ushort v11, v[12:13], off
	global_load_ushort v10, v[14:15], off
	;; [unrolled: 1-line block ×4, first 2 shown]
.LBB115_34:                             ;   in Loop: Header=BB115_7 Depth=1
	v_cmp_ne_u32_e32 vcc, 0, v85
	s_and_b64 exec, exec, vcc
	s_cbranch_execz .LBB115_36
; %bb.35:                               ;   in Loop: Header=BB115_7 Depth=1
	v_cvt_f32_i32_e32 v7, v7
	v_cvt_f32_i32_e32 v5, v5
	;; [unrolled: 1-line block ×4, first 2 shown]
	v_add_f32_e32 v0, v0, v7
	s_waitcnt vmcnt(3)
	v_cvt_f32_f16_e32 v7, v11
	v_add_f32_e32 v2, v2, v5
	v_add_f32_e32 v3, v3, v4
	s_waitcnt vmcnt(2)
	v_cvt_f32_f16_e32 v5, v10
	v_add_f32_e32 v0, v0, v7
	v_cvt_f16_f32_e32 v4, v0
	v_mov_b32_e32 v81, v83
	v_add_f32_e32 v6, v1, v6
	s_waitcnt lgkmcnt(0)
	v_lshl_add_u64 v[0:1], v[80:81], 1, s[10:11]
	global_store_short v[0:1], v4, off
	v_add_f32_e32 v0, v6, v5
	v_cvt_f16_f32_e32 v4, v0
	s_waitcnt vmcnt(2)
	v_cvt_f32_f16_e32 v5, v9
	v_add_u32_e32 v82, s23, v80
	v_lshl_add_u64 v[0:1], v[82:83], 1, s[10:11]
	global_store_short v[0:1], v4, off
	v_add_f32_e32 v0, v2, v5
	s_waitcnt vmcnt(2)
	v_cvt_f32_f16_e32 v2, v8
	v_cvt_f16_f32_e32 v4, v0
	v_add_u32_e32 v82, s23, v82
	v_lshl_add_u64 v[0:1], v[82:83], 1, s[10:11]
	v_add_f32_e32 v2, v3, v2
	v_cvt_f16_f32_e32 v2, v2
	v_add_u32_e32 v82, s23, v82
	global_store_short v[0:1], v4, off
	v_lshl_add_u64 v[0:1], v[82:83], 1, s[10:11]
	global_store_short v[0:1], v2, off
.LBB115_36:                             ;   in Loop: Header=BB115_7 Depth=1
	s_or_b64 exec, exec, s[6:7]
	v_add_u32_e32 v0, s42, v80
	v_add_u32_e32 v1, 1, v0
	v_cmp_gt_u32_e32 vcc, s23, v0
	v_cmp_le_u32_e64 s[6:7], s23, v1
	s_and_b64 s[28:29], vcc, s[6:7]
	s_and_saveexec_b64 s[6:7], s[28:29]
	s_cbranch_execz .LBB115_5
; %bb.37:                               ;   in Loop: Header=BB115_7 Depth=1
	v_add_u32_e32 v0, s13, v80
	v_cmp_eq_u32_e32 vcc, 1, v0
	v_mov_b32_e32 v0, s41
	s_nop 0
	v_cndmask_b32_e32 v85, 0, v85, vcc
	s_branch .LBB115_5
.LBB115_38:
	s_endpgm
	.section	.rodata,"a",@progbits
	.p2align	6, 0x0
	.amdhsa_kernel _Z16wvSplitK_hf_big_I6__halfLi64ELi1ELi16ELi8ELi4ELi4EEviiiiiiPKT_S3_S3_PS1_ii
		.amdhsa_group_segment_fixed_size 65536
		.amdhsa_private_segment_fixed_size 0
		.amdhsa_kernarg_size 64
		.amdhsa_user_sgpr_count 2
		.amdhsa_user_sgpr_dispatch_ptr 0
		.amdhsa_user_sgpr_queue_ptr 0
		.amdhsa_user_sgpr_kernarg_segment_ptr 1
		.amdhsa_user_sgpr_dispatch_id 0
		.amdhsa_user_sgpr_kernarg_preload_length 0
		.amdhsa_user_sgpr_kernarg_preload_offset 0
		.amdhsa_user_sgpr_private_segment_size 0
		.amdhsa_uses_dynamic_stack 0
		.amdhsa_enable_private_segment 0
		.amdhsa_system_sgpr_workgroup_id_x 1
		.amdhsa_system_sgpr_workgroup_id_y 0
		.amdhsa_system_sgpr_workgroup_id_z 0
		.amdhsa_system_sgpr_workgroup_info 0
		.amdhsa_system_vgpr_workitem_id 1
		.amdhsa_next_free_vgpr 103
		.amdhsa_next_free_sgpr 52
		.amdhsa_accum_offset 104
		.amdhsa_reserve_vcc 1
		.amdhsa_float_round_mode_32 0
		.amdhsa_float_round_mode_16_64 0
		.amdhsa_float_denorm_mode_32 3
		.amdhsa_float_denorm_mode_16_64 3
		.amdhsa_dx10_clamp 1
		.amdhsa_ieee_mode 1
		.amdhsa_fp16_overflow 0
		.amdhsa_tg_split 0
		.amdhsa_exception_fp_ieee_invalid_op 0
		.amdhsa_exception_fp_denorm_src 0
		.amdhsa_exception_fp_ieee_div_zero 0
		.amdhsa_exception_fp_ieee_overflow 0
		.amdhsa_exception_fp_ieee_underflow 0
		.amdhsa_exception_fp_ieee_inexact 0
		.amdhsa_exception_int_div_zero 0
	.end_amdhsa_kernel
	.section	.text._Z16wvSplitK_hf_big_I6__halfLi64ELi1ELi16ELi8ELi4ELi4EEviiiiiiPKT_S3_S3_PS1_ii,"axG",@progbits,_Z16wvSplitK_hf_big_I6__halfLi64ELi1ELi16ELi8ELi4ELi4EEviiiiiiPKT_S3_S3_PS1_ii,comdat
.Lfunc_end115:
	.size	_Z16wvSplitK_hf_big_I6__halfLi64ELi1ELi16ELi8ELi4ELi4EEviiiiiiPKT_S3_S3_PS1_ii, .Lfunc_end115-_Z16wvSplitK_hf_big_I6__halfLi64ELi1ELi16ELi8ELi4ELi4EEviiiiiiPKT_S3_S3_PS1_ii
                                        ; -- End function
	.section	.AMDGPU.csdata,"",@progbits
; Kernel info:
; codeLenInByte = 3468
; NumSgprs: 58
; NumVgprs: 103
; NumAgprs: 0
; TotalNumVgprs: 103
; ScratchSize: 0
; MemoryBound: 0
; FloatMode: 240
; IeeeMode: 1
; LDSByteSize: 65536 bytes/workgroup (compile time only)
; SGPRBlocks: 7
; VGPRBlocks: 12
; NumSGPRsForWavesPerEU: 58
; NumVGPRsForWavesPerEU: 103
; AccumOffset: 104
; Occupancy: 4
; WaveLimiterHint : 0
; COMPUTE_PGM_RSRC2:SCRATCH_EN: 0
; COMPUTE_PGM_RSRC2:USER_SGPR: 2
; COMPUTE_PGM_RSRC2:TRAP_HANDLER: 0
; COMPUTE_PGM_RSRC2:TGID_X_EN: 1
; COMPUTE_PGM_RSRC2:TGID_Y_EN: 0
; COMPUTE_PGM_RSRC2:TGID_Z_EN: 0
; COMPUTE_PGM_RSRC2:TIDIG_COMP_CNT: 1
; COMPUTE_PGM_RSRC3_GFX90A:ACCUM_OFFSET: 25
; COMPUTE_PGM_RSRC3_GFX90A:TG_SPLIT: 0
	.section	.text._Z16wvSplitK_hf_sml_I6__halfLi64ELi2ELi16ELi8ELi2ELi4EEviiiiiiPKT_S3_S3_PS1_ii,"axG",@progbits,_Z16wvSplitK_hf_sml_I6__halfLi64ELi2ELi16ELi8ELi2ELi4EEviiiiiiPKT_S3_S3_PS1_ii,comdat
	.protected	_Z16wvSplitK_hf_sml_I6__halfLi64ELi2ELi16ELi8ELi2ELi4EEviiiiiiPKT_S3_S3_PS1_ii ; -- Begin function _Z16wvSplitK_hf_sml_I6__halfLi64ELi2ELi16ELi8ELi2ELi4EEviiiiiiPKT_S3_S3_PS1_ii
	.globl	_Z16wvSplitK_hf_sml_I6__halfLi64ELi2ELi16ELi8ELi2ELi4EEviiiiiiPKT_S3_S3_PS1_ii
	.p2align	8
	.type	_Z16wvSplitK_hf_sml_I6__halfLi64ELi2ELi16ELi8ELi2ELi4EEviiiiiiPKT_S3_S3_PS1_ii,@function
_Z16wvSplitK_hf_sml_I6__halfLi64ELi2ELi16ELi8ELi2ELi4EEviiiiiiPKT_S3_S3_PS1_ii: ; @_Z16wvSplitK_hf_sml_I6__halfLi64ELi2ELi16ELi8ELi2ELi4EEviiiiiiPKT_S3_S3_PS1_ii
; %bb.0:
	s_load_dwordx4 s[4:7], s[0:1], 0x0
	s_load_dwordx2 s[8:9], s[0:1], 0x10
	s_load_dwordx2 s[10:11], s[0:1], 0x28
	v_and_b32_e32 v2, 0x3ff, v0
	v_bfe_u32 v3, v0, 10, 10
	v_lshlrev_b32_e32 v56, 3, v2
	s_waitcnt lgkmcnt(0)
	s_lshl_b32 s24, s6, 2
	v_lshl_add_u32 v4, v3, 9, v56
	s_min_u32 s3, s24, 0x8000
	v_cmp_gt_u32_e32 vcc, s3, v4
	s_and_saveexec_b64 s[12:13], vcc
	s_cbranch_execz .LBB116_3
; %bb.1:
	s_load_dwordx2 s[14:15], s[0:1], 0x20
	v_mov_b32_e32 v7, 0
	v_lshlrev_b32_e32 v6, 10, v3
	v_lshlrev_b32_e32 v8, 4, v2
	v_mov_b32_e32 v9, v7
	v_lshl_add_u64 v[0:1], v[6:7], 0, v[8:9]
	s_waitcnt lgkmcnt(0)
	v_lshl_add_u64 v[0:1], s[14:15], 0, v[0:1]
	v_add_u32_e32 v5, v6, v8
	s_mov_b64 s[14:15], 0
	s_mov_b64 s[16:17], 0x4000
.LBB116_2:                              ; =>This Inner Loop Header: Depth=1
	global_load_dwordx4 v[6:9], v[0:1], off
	v_add_u32_e32 v4, 0x2000, v4
	v_cmp_le_u32_e32 vcc, s3, v4
	v_lshl_add_u64 v[0:1], v[0:1], 0, s[16:17]
	s_or_b64 s[14:15], vcc, s[14:15]
	s_waitcnt vmcnt(0)
	ds_write_b128 v5, v[6:9]
	v_add_u32_e32 v5, 0x4000, v5
	s_andn2_b64 exec, exec, s[14:15]
	s_cbranch_execnz .LBB116_2
.LBB116_3:
	s_or_b64 exec, exec, s[12:13]
	s_load_dwordx2 s[16:17], s[0:1], 0x38
	s_waitcnt lgkmcnt(0)
	s_barrier
	v_cmp_gt_u32_e32 vcc, s16, v3
	s_and_saveexec_b64 s[12:13], vcc
	s_cbranch_execz .LBB116_20
; %bb.4:
	s_mul_i32 s2, s2, s16
	v_add_lshl_u32 v40, s2, v3, 1
	v_cmp_gt_u32_e32 vcc, s7, v40
	s_and_b64 exec, exec, vcc
	s_cbranch_execz .LBB116_20
; %bb.5:
	s_cmp_lg_u32 s4, 0
	s_cselect_b64 s[2:3], -1, 0
	s_add_i32 s25, s4, -8
	s_add_i32 s26, s7, -1
	s_cmp_lg_u64 s[10:11], 0
	s_cselect_b64 s[18:19], -1, 0
	s_abs_i32 s21, s9
	v_cvt_f32_u32_e32 v0, s8
	v_cvt_f32_u32_e32 v1, s21
	s_mul_i32 s20, s16, s17
	s_lshl_b32 s9, s20, 1
	v_rcp_iflag_f32_e32 v0, v0
	v_rcp_iflag_f32_e32 v1, v1
	s_sub_i32 s20, 0, s8
	s_load_dwordx2 s[12:13], s[0:1], 0x18
	s_load_dwordx2 s[14:15], s[0:1], 0x30
	v_mul_f32_e32 v0, 0x4f7ffffe, v0
	v_mul_f32_e32 v1, 0x4f7ffffe, v1
	v_cvt_u32_f32_e32 v0, v0
	v_cvt_u32_f32_e32 v1, v1
	v_cmp_eq_u32_e64 s[0:1], 63, v2
	s_mov_b64 s[16:17], 0
	v_mul_lo_u32 v3, s20, v0
	s_sub_i32 s20, 0, s21
	v_readfirstlane_b32 s22, v1
	s_mul_i32 s20, s20, s22
	s_mul_hi_u32 s20, s22, s20
	s_add_i32 s22, s22, s20
	s_sub_i32 s20, 1, s21
	s_cmp_lt_u32 s21, 2
	s_cselect_b32 s20, s20, 1
	s_sub_i32 s23, s20, s21
	s_cmp_ge_u32 s20, s21
	s_cselect_b32 s27, s23, s20
	s_lshr_b32 s20, s22, 31
	s_mul_i32 s20, s20, s21
	s_sub_i32 s20, 2, s20
	s_sub_i32 s23, s20, s21
	s_cmp_ge_u32 s20, s21
	s_cselect_b32 s20, s23, s20
	s_sub_i32 s23, s20, s21
	s_cmp_ge_u32 s20, s21
	s_cselect_b32 s28, s23, s20
	s_mul_hi_u32 s20, s22, 3
	s_mul_i32 s20, s20, s21
	s_sub_i32 s20, 3, s20
	s_sub_i32 s22, s20, s21
	s_cmp_ge_u32 s20, s21
	s_cselect_b32 s20, s22, s20
	s_sub_i32 s22, s20, s21
	v_mul_hi_u32 v3, v0, v3
	s_cmp_ge_u32 s20, s21
	v_add_u32_e32 v57, v0, v3
	s_cselect_b32 s29, s22, s20
	v_cndmask_b32_e64 v0, 0, 1, s[2:3]
	v_mov_b32_e32 v43, 0
	s_mul_i32 s27, s27, s8
	s_mul_i32 s28, s28, s8
	;; [unrolled: 1-line block ×4, first 2 shown]
	v_lshlrev_b32_e32 v58, 4, v2
	s_lshl_b32 s6, s6, 1
	v_cmp_ne_u32_e64 s[2:3], 1, v0
	s_branch .LBB116_8
.LBB116_6:                              ;   in Loop: Header=BB116_8 Depth=1
	v_cvt_f32_i32_e32 v2, v2
	v_cvt_f32_i32_e32 v4, v4
	;; [unrolled: 1-line block ×3, first 2 shown]
	v_add_u32_e32 v42, s7, v40
	v_add_f32_e32 v0, v0, v2
	v_cvt_f32_i32_e32 v2, v6
	v_add_f32_e32 v1, v1, v4
	v_cvt_f32_i32_e32 v4, v15
	v_add_f32_e32 v3, v3, v7
	v_add_f32_e32 v2, v5, v2
	v_cvt_f32_i32_e32 v5, v13
	s_waitcnt vmcnt(7)
	v_cvt_f32_f16_e32 v7, v23
	v_add_f32_e32 v4, v9, v4
	s_waitcnt vmcnt(6)
	v_cvt_f32_f16_e32 v9, v22
	v_add_f32_e32 v5, v10, v5
	v_cvt_f32_i32_e32 v10, v12
	v_add_f32_e32 v0, v0, v7
	v_cvt_f16_f32_e32 v7, v0
	v_add_f32_e32 v0, v1, v9
	v_cvt_f16_f32_e32 v9, v0
	v_add_f32_e32 v8, v8, v10
	s_waitcnt vmcnt(5)
	v_cvt_f32_f16_e32 v10, v21
	s_waitcnt lgkmcnt(0)
	v_lshl_add_u64 v[0:1], v[40:41], 1, s[14:15]
	v_pack_b32_f16 v7, v7, v9
	global_store_dword v[0:1], v7, off
	v_add_f32_e32 v0, v3, v10
	v_cvt_f16_f32_e32 v3, v0
	s_waitcnt vmcnt(5)
	v_cvt_f32_f16_e32 v7, v20
	v_cvt_f32_i32_e32 v6, v14
	v_lshl_add_u64 v[0:1], v[42:43], 1, s[14:15]
	global_store_short v[0:1], v3, off
	v_add_f32_e32 v0, v2, v7
	s_waitcnt vmcnt(5)
	v_cvt_f32_f16_e32 v3, v19
	s_waitcnt vmcnt(4)
	v_cvt_f32_f16_e32 v7, v18
	v_add_f32_e32 v6, v11, v6
	v_cvt_f16_f32_e32 v2, v0
	v_add_f32_e32 v3, v4, v3
	v_add_f32_e32 v4, v6, v7
	v_cvt_f16_f32_e32 v3, v3
	v_cvt_f16_f32_e32 v4, v4
	v_add_u32_e32 v0, 1, v42
	v_mov_b32_e32 v1, v43
	v_lshl_add_u64 v[0:1], v[0:1], 1, s[14:15]
	v_add_u32_e32 v42, s7, v42
	global_store_short v[0:1], v2, off
	v_lshl_add_u64 v[0:1], v[42:43], 1, s[14:15]
	v_pack_b32_f16 v2, v3, v4
	s_waitcnt vmcnt(4)
	v_cvt_f32_f16_e32 v3, v17
	global_store_dword v[0:1], v2, off
	s_waitcnt vmcnt(4)
	v_cvt_f32_f16_e32 v2, v16
	v_add_u32_e32 v42, s7, v42
	v_add_f32_e32 v0, v5, v3
	v_cvt_f16_f32_e32 v3, v0
	v_add_f32_e32 v2, v8, v2
	v_cvt_f16_f32_e32 v2, v2
	v_lshl_add_u64 v[0:1], v[42:43], 1, s[14:15]
	v_add_u32_e32 v42, 1, v42
	global_store_short v[0:1], v3, off
	v_lshl_add_u64 v[0:1], v[42:43], 1, s[14:15]
	global_store_short v[0:1], v2, off
.LBB116_7:                              ;   in Loop: Header=BB116_8 Depth=1
	s_or_b64 exec, exec, s[20:21]
	v_add_u32_e32 v40, s9, v40
	v_cmp_le_u32_e32 vcc, s7, v40
	s_or_b64 s[16:17], vcc, s[16:17]
	s_andn2_b64 exec, exec, s[16:17]
	s_cbranch_execz .LBB116_20
.LBB116_8:                              ; =>This Loop Header: Depth=1
                                        ;     Child Loop BB116_12 Depth 2
	s_mov_b32 s31, 0
	s_and_b64 vcc, exec, s[2:3]
	v_mov_b32_e32 v65, v43
	v_mov_b32_e32 v64, v43
	;; [unrolled: 1-line block ×8, first 2 shown]
	s_cbranch_vccnz .LBB116_15
; %bb.9:                                ;   in Loop: Header=BB116_8 Depth=1
	v_min_u32_e32 v0, s26, v40
	v_mul_lo_u32 v42, v0, s5
	v_or_b32_e32 v0, 1, v40
	v_min_u32_e32 v0, s26, v0
	v_mul_lo_u32 v0, v0, s5
	v_mov_b32_e32 v1, v43
	v_mov_b32_e32 v61, 0
	v_lshlrev_b64 v[44:45], 1, v[42:43]
	v_lshlrev_b64 v[46:47], 1, v[0:1]
	v_mov_b32_e32 v66, v58
	v_mov_b32_e32 v60, 0
	;; [unrolled: 1-line block ×8, first 2 shown]
	s_branch .LBB116_12
.LBB116_10:                             ;   in Loop: Header=BB116_12 Depth=2
	s_or_b64 exec, exec, s[22:23]
.LBB116_11:                             ;   in Loop: Header=BB116_12 Depth=2
	s_or_b64 exec, exec, s[20:21]
	s_waitcnt vmcnt(3) lgkmcnt(4)
	;;#ASMSTART
	v_dot2c_f32_f16 v65, v36, v16
	;;#ASMEND
	s_waitcnt vmcnt(2)
	;;#ASMSTART
	v_dot2c_f32_f16 v64, v36, v12
	;;#ASMEND
	s_waitcnt lgkmcnt(3)
	;;#ASMSTART
	v_dot2c_f32_f16 v63, v32, v16
	;;#ASMEND
	;;#ASMSTART
	v_dot2c_f32_f16 v62, v32, v12
	;;#ASMEND
	s_waitcnt lgkmcnt(2)
	;;#ASMSTART
	v_dot2c_f32_f16 v61, v52, v16
	;;#ASMEND
	;; [unrolled: 7-line block ×3, first 2 shown]
	;;#ASMSTART
	v_dot2c_f32_f16 v41, v28, v12
	;;#ASMEND
	;;#ASMSTART
	v_dot2c_f32_f16 v65, v37, v17
	;;#ASMEND
	;;#ASMSTART
	v_dot2c_f32_f16 v64, v37, v13
	;;#ASMEND
	;;#ASMSTART
	v_dot2c_f32_f16 v63, v33, v17
	;;#ASMEND
	;;#ASMSTART
	v_dot2c_f32_f16 v62, v33, v13
	;;#ASMEND
	;;#ASMSTART
	v_dot2c_f32_f16 v61, v53, v17
	;;#ASMEND
	;;#ASMSTART
	v_dot2c_f32_f16 v60, v53, v13
	;;#ASMEND
	s_nop 0
	;;#ASMSTART
	v_dot2c_f32_f16 v59, v29, v17
	;;#ASMEND
	;;#ASMSTART
	v_dot2c_f32_f16 v41, v29, v13
	;;#ASMEND
	;;#ASMSTART
	v_dot2c_f32_f16 v65, v38, v18
	;;#ASMEND
	;;#ASMSTART
	v_dot2c_f32_f16 v64, v38, v14
	;;#ASMEND
	;;#ASMSTART
	v_dot2c_f32_f16 v63, v34, v18
	;;#ASMEND
	;;#ASMSTART
	v_dot2c_f32_f16 v62, v34, v14
	;;#ASMEND
	;;#ASMSTART
	v_dot2c_f32_f16 v61, v54, v18
	;;#ASMEND
	;;#ASMSTART
	v_dot2c_f32_f16 v60, v54, v14
	;;#ASMEND
	s_nop 0
	;;#ASMSTART
	v_dot2c_f32_f16 v59, v30, v18
	;;#ASMEND
	;; [unrolled: 25-line block ×3, first 2 shown]
	;;#ASMSTART
	v_dot2c_f32_f16 v41, v31, v15
	;;#ASMEND
	s_waitcnt vmcnt(1)
	;;#ASMSTART
	v_dot2c_f32_f16 v65, v24, v4
	;;#ASMEND
	s_waitcnt vmcnt(0)
	;;#ASMSTART
	v_dot2c_f32_f16 v64, v24, v0
	;;#ASMEND
	;;#ASMSTART
	v_dot2c_f32_f16 v63, v20, v4
	;;#ASMEND
	;; [unrolled: 3-line block ×8, first 2 shown]
	s_nop 0
	;;#ASMSTART
	v_dot2c_f32_f16 v64, v25, v1
	;;#ASMEND
	;;#ASMSTART
	v_dot2c_f32_f16 v63, v21, v5
	;;#ASMEND
	;; [unrolled: 3-line block ×7, first 2 shown]
	s_addk_i32 s31, 0x400
	;;#ASMSTART
	v_dot2c_f32_f16 v65, v26, v6
	;;#ASMEND
	;;#ASMSTART
	v_dot2c_f32_f16 v64, v26, v2
	;;#ASMEND
	;; [unrolled: 3-line block ×8, first 2 shown]
	s_cmp_ge_u32 s31, s4
	v_add_u32_e32 v66, 0x800, v66
	;;#ASMSTART
	v_dot2c_f32_f16 v65, v27, v7
	;;#ASMEND
	;;#ASMSTART
	v_dot2c_f32_f16 v64, v27, v3
	;;#ASMEND
	;; [unrolled: 3-line block ×8, first 2 shown]
	s_cbranch_scc1 .LBB116_15
.LBB116_12:                             ;   Parent Loop BB116_8 Depth=1
                                        ; =>  This Inner Loop Header: Depth=2
	v_add_u32_e32 v20, s31, v56
	v_min_u32_e32 v42, s25, v20
	s_waitcnt lgkmcnt(0)
	v_lshl_add_u64 v[0:1], v[42:43], 1, s[12:13]
	v_add_u32_e32 v67, 0x200, v20
	v_lshl_add_u64 v[2:3], v[0:1], 0, v[44:45]
	v_lshl_add_u64 v[0:1], v[0:1], 0, v[46:47]
	v_min_u32_e32 v42, s25, v67
	global_load_dwordx4 v[16:19], v[2:3], off nt
	global_load_dwordx4 v[12:15], v[0:1], off nt
	v_lshl_add_u64 v[0:1], v[42:43], 1, s[12:13]
	v_lshl_add_u64 v[8:9], v[0:1], 0, v[44:45]
	;; [unrolled: 1-line block ×3, first 2 shown]
	global_load_dwordx4 v[4:7], v[8:9], off nt
	global_load_dwordx4 v[0:3], v[10:11], off nt
	v_cmp_gt_u32_e32 vcc, s4, v20
	v_mov_b32_e32 v36, 0
	v_mov_b32_e32 v37, 0
	;; [unrolled: 1-line block ×32, first 2 shown]
	s_and_saveexec_b64 s[20:21], vcc
	s_cbranch_execz .LBB116_11
; %bb.13:                               ;   in Loop: Header=BB116_12 Depth=2
	v_add_u32_e32 v42, s6, v66
	v_add_u32_e32 v68, s24, v66
	ds_read_b128 v[36:39], v66
	ds_read_b128 v[32:35], v42
	ds_read2_b32 v[52:53], v68 offset1:1
	v_add_u32_e32 v69, s30, v66
	ds_read2_b32 v[54:55], v68 offset0:2 offset1:3
	ds_read_b128 v[28:31], v69
	v_cmp_gt_u32_e32 vcc, s4, v67
	v_mov_b32_e32 v11, 0
	v_mov_b32_e32 v10, 0
	;; [unrolled: 1-line block ×16, first 2 shown]
	s_and_saveexec_b64 s[22:23], vcc
	s_cbranch_execz .LBB116_10
; %bb.14:                               ;   in Loop: Header=BB116_12 Depth=2
	v_add_u32_e32 v8, 0x400, v68
	v_add_u32_e32 v9, 0x408, v68
	ds_read_b128 v[24:27], v66 offset:1024
	ds_read2_b32 v[50:51], v8 offset1:1
	ds_read2_b32 v[48:49], v9 offset1:1
	ds_read_b128 v[20:23], v42 offset:1024
	ds_read_b128 v[8:11], v69 offset:1024
	s_branch .LBB116_10
.LBB116_15:                             ;   in Loop: Header=BB116_8 Depth=1
	; sched_barrier mask(0x00000000)
	v_cvt_i32_f32_e32 v0, v65
	v_cvt_i32_f32_e32 v1, v64
	;; [unrolled: 1-line block ×4, first 2 shown]
	v_cvt_f32_i32_dpp v0, v0 row_shr:8 row_mask:0xf bank_mask:0xf bound_ctrl:1
	v_cvt_f32_i32_dpp v1, v1 row_shr:8 row_mask:0xf bank_mask:0xf bound_ctrl:1
	;; [unrolled: 1-line block ×4, first 2 shown]
	v_add_f32_e32 v0, v65, v0
	v_cvt_i32_f32_e32 v4, v0
	v_add_f32_e32 v1, v64, v1
	v_cvt_i32_f32_e32 v5, v1
	v_add_f32_e32 v2, v63, v2
	v_cvt_f32_i32_dpp v4, v4 row_shr:4 row_mask:0xf bank_mask:0xf bound_ctrl:1
	v_cvt_i32_f32_e32 v6, v2
	v_cvt_f32_i32_dpp v5, v5 row_shr:4 row_mask:0xf bank_mask:0xf bound_ctrl:1
	v_add_f32_e32 v3, v62, v3
	v_add_f32_e32 v0, v0, v4
	v_cvt_i32_f32_e32 v4, v0
	v_add_f32_e32 v1, v1, v5
	v_cvt_i32_f32_e32 v5, v1
	v_cvt_f32_i32_dpp v6, v6 row_shr:4 row_mask:0xf bank_mask:0xf bound_ctrl:1
	v_cvt_f32_i32_dpp v4, v4 row_shr:2 row_mask:0xf bank_mask:0xf bound_ctrl:1
	v_cvt_i32_f32_e32 v7, v3
	v_cvt_f32_i32_dpp v5, v5 row_shr:2 row_mask:0xf bank_mask:0xf bound_ctrl:1
	v_add_f32_e32 v2, v2, v6
	v_add_f32_e32 v0, v0, v4
	v_cvt_i32_f32_e32 v4, v0
	v_add_f32_e32 v1, v1, v5
	v_cvt_i32_f32_e32 v5, v1
	v_cvt_i32_f32_e32 v6, v2
	v_cvt_f32_i32_dpp v4, v4 row_shr:1 row_mask:0xf bank_mask:0xf bound_ctrl:1
	v_cvt_f32_i32_dpp v7, v7 row_shr:4 row_mask:0xf bank_mask:0xf bound_ctrl:1
	;; [unrolled: 1-line block ×4, first 2 shown]
	v_add_f32_e32 v0, v0, v4
	v_cvt_i32_f32_e32 v4, v0
	v_add_f32_e32 v1, v1, v5
	v_add_f32_e32 v6, v2, v6
	v_add_f32_e32 v3, v3, v7
	v_cvt_f32_i32_dpp v2, v4 row_bcast:15 row_mask:0xf bank_mask:0xf bound_ctrl:1
	v_cvt_i32_f32_e32 v4, v1
	v_cvt_i32_f32_e32 v7, v3
	;; [unrolled: 1-line block ×3, first 2 shown]
	v_add_f32_e32 v0, v0, v2
	v_cvt_f32_i32_dpp v4, v4 row_bcast:15 row_mask:0xf bank_mask:0xf bound_ctrl:1
	v_cvt_f32_i32_dpp v7, v7 row_shr:2 row_mask:0xf bank_mask:0xf bound_ctrl:1
	v_cvt_f32_i32_dpp v5, v5 row_shr:1 row_mask:0xf bank_mask:0xf bound_ctrl:1
	v_cvt_i32_f32_e32 v2, v0
	v_add_f32_e32 v1, v1, v4
	v_cvt_i32_f32_e32 v4, v61
	v_add_f32_e32 v3, v3, v7
	v_add_f32_e32 v5, v6, v5
	v_cvt_i32_f32_e32 v6, v3
	v_cvt_f32_i32_dpp v4, v4 row_shr:8 row_mask:0xf bank_mask:0xf bound_ctrl:1
	v_cvt_i32_f32_e32 v7, v5
	v_cvt_i32_f32_e32 v8, v1
	v_cvt_f32_i32_dpp v6, v6 row_shr:1 row_mask:0xf bank_mask:0xf bound_ctrl:1
	v_add_f32_e32 v9, v61, v4
	v_cvt_i32_f32_e32 v10, v9
	v_cvt_f32_i32_dpp v7, v7 row_bcast:15 row_mask:0xf bank_mask:0xf bound_ctrl:1
	v_add_f32_e32 v6, v3, v6
	v_mov_b32_dpp v4, v8 row_bcast:31 row_mask:0xf bank_mask:0xf bound_ctrl:1
	v_cvt_f32_i32_dpp v8, v10 row_shr:4 row_mask:0xf bank_mask:0xf bound_ctrl:1
	v_cvt_i32_f32_e32 v11, v6
	v_add_f32_e32 v3, v5, v7
	v_cvt_i32_f32_e32 v7, v60
	v_add_f32_e32 v8, v9, v8
	v_cvt_f32_i32_dpp v5, v11 row_bcast:15 row_mask:0xf bank_mask:0xf bound_ctrl:1
	v_cvt_i32_f32_e32 v9, v8
	v_cvt_f32_i32_dpp v7, v7 row_shr:8 row_mask:0xf bank_mask:0xf bound_ctrl:1
	v_cvt_i32_f32_e32 v10, v3
	v_add_f32_e32 v5, v6, v5
	v_cvt_f32_i32_dpp v6, v9 row_shr:2 row_mask:0xf bank_mask:0xf bound_ctrl:1
	v_add_f32_e32 v11, v60, v7
	v_cvt_i32_f32_e32 v12, v11
	v_cvt_i32_f32_e32 v9, v5
	v_add_f32_e32 v8, v8, v6
	v_cvt_i32_f32_e32 v13, v8
	v_mov_b32_dpp v7, v10 row_bcast:31 row_mask:0xf bank_mask:0xf bound_ctrl:1
	v_cvt_f32_i32_dpp v10, v12 row_shr:4 row_mask:0xf bank_mask:0xf bound_ctrl:1
	v_mov_b32_dpp v6, v9 row_bcast:31 row_mask:0xf bank_mask:0xf bound_ctrl:1
	v_cvt_f32_i32_dpp v9, v13 row_shr:1 row_mask:0xf bank_mask:0xf bound_ctrl:1
	v_cvt_i32_f32_e32 v12, v59
	v_add_f32_e32 v10, v11, v10
	v_cvt_i32_f32_e32 v11, v41
	v_add_f32_e32 v8, v8, v9
	v_cvt_f32_i32_dpp v12, v12 row_shr:8 row_mask:0xf bank_mask:0xf bound_ctrl:1
	v_cvt_i32_f32_e32 v13, v10
	v_cvt_f32_i32_dpp v9, v11 row_shr:8 row_mask:0xf bank_mask:0xf bound_ctrl:1
	v_cvt_i32_f32_e32 v15, v8
	v_add_f32_e32 v12, v59, v12
	v_cvt_f32_i32_dpp v11, v13 row_shr:2 row_mask:0xf bank_mask:0xf bound_ctrl:1
	v_add_f32_e32 v9, v41, v9
	v_cvt_i32_f32_e32 v13, v12
	v_cvt_i32_f32_e32 v14, v9
	v_add_f32_e32 v10, v10, v11
	v_cvt_f32_i32_dpp v15, v15 row_bcast:15 row_mask:0xf bank_mask:0xf bound_ctrl:1
	v_cvt_f32_i32_dpp v13, v13 row_shr:4 row_mask:0xf bank_mask:0xf bound_ctrl:1
	v_cvt_f32_i32_dpp v11, v14 row_shr:4 row_mask:0xf bank_mask:0xf bound_ctrl:1
	v_cvt_i32_f32_e32 v14, v10
	v_mov_b32_dpp v2, v2 row_bcast:31 row_mask:0xf bank_mask:0xf bound_ctrl:1
	v_add_f32_e32 v12, v12, v13
	v_add_f32_e32 v9, v9, v11
	v_cvt_i32_f32_e32 v13, v12
	v_cvt_i32_f32_e32 v11, v9
	v_cvt_f32_i32_dpp v14, v14 row_shr:1 row_mask:0xf bank_mask:0xf bound_ctrl:1
	v_cvt_f32_i32_dpp v13, v13 row_shr:2 row_mask:0xf bank_mask:0xf bound_ctrl:1
	;; [unrolled: 1-line block ×3, first 2 shown]
	v_add_f32_e32 v10, v10, v14
	v_cvt_i32_f32_e32 v16, v10
	v_add_f32_e32 v12, v12, v13
	v_add_f32_e32 v11, v9, v11
	v_cvt_i32_f32_e32 v13, v12
	v_cvt_i32_f32_e32 v14, v11
	v_add_f32_e32 v9, v8, v15
	v_cvt_f32_i32_dpp v13, v13 row_shr:1 row_mask:0xf bank_mask:0xf bound_ctrl:1
	v_cvt_f32_i32_dpp v8, v14 row_shr:1 row_mask:0xf bank_mask:0xf bound_ctrl:1
	v_cvt_f32_i32_dpp v14, v16 row_bcast:15 row_mask:0xf bank_mask:0xf bound_ctrl:1
	v_cvt_i32_f32_e32 v16, v9
	v_add_f32_e32 v12, v12, v13
	v_add_f32_e32 v8, v11, v8
	v_cvt_i32_f32_e32 v13, v12
	v_cvt_i32_f32_e32 v15, v8
	v_add_f32_e32 v11, v10, v14
	v_cvt_i32_f32_e32 v17, v11
	v_cvt_f32_i32_dpp v13, v13 row_bcast:15 row_mask:0xf bank_mask:0xf bound_ctrl:1
	v_cvt_f32_i32_dpp v14, v15 row_bcast:15 row_mask:0xf bank_mask:0xf bound_ctrl:1
	v_mov_b32_dpp v15, v16 row_bcast:31 row_mask:0xf bank_mask:0xf bound_ctrl:1
	v_add_f32_e32 v10, v12, v13
	v_add_f32_e32 v8, v8, v14
	v_cvt_i32_f32_e32 v12, v10
	v_cvt_i32_f32_e32 v18, v8
	v_mov_b32_dpp v14, v17 row_bcast:31 row_mask:0xf bank_mask:0xf bound_ctrl:1
	v_mov_b32_dpp v13, v12 row_bcast:31 row_mask:0xf bank_mask:0xf bound_ctrl:1
	;; [unrolled: 1-line block ×3, first 2 shown]
	s_and_saveexec_b64 s[20:21], s[0:1]
	s_cbranch_execz .LBB116_7
; %bb.16:                               ;   in Loop: Header=BB116_8 Depth=1
	s_and_b64 vcc, exec, s[18:19]
	s_cbranch_vccz .LBB116_18
; %bb.17:                               ;   in Loop: Header=BB116_8 Depth=1
	v_mul_hi_u32 v16, v40, v57
	v_mul_lo_u32 v16, v16, s8
	v_sub_u32_e32 v16, v40, v16
	v_subrev_u32_e32 v17, s8, v16
	v_cmp_le_u32_e32 vcc, s8, v16
	v_mov_b32_e32 v19, v43
	v_mov_b32_e32 v41, v43
	v_cndmask_b32_e32 v16, v16, v17, vcc
	v_subrev_u32_e32 v17, s8, v16
	v_cmp_le_u32_e32 vcc, s8, v16
	s_nop 1
	v_cndmask_b32_e32 v42, v16, v17, vcc
	v_or_b32_e32 v16, 1, v40
	v_mul_hi_u32 v17, v16, v57
	v_mul_lo_u32 v17, v17, s8
	v_sub_u32_e32 v16, v16, v17
	v_subrev_u32_e32 v17, s8, v16
	v_cmp_le_u32_e32 vcc, s8, v16
	v_add_u32_e32 v18, s27, v42
	v_lshl_add_u64 v[28:29], v[18:19], 1, s[10:11]
	v_cndmask_b32_e32 v16, v16, v17, vcc
	v_subrev_u32_e32 v17, s8, v16
	v_cmp_le_u32_e32 vcc, s8, v16
	v_lshl_add_u64 v[24:25], v[42:43], 1, s[10:11]
	s_nop 0
	v_cndmask_b32_e32 v16, v16, v17, vcc
	v_add_u32_e32 v18, s27, v16
	v_lshl_add_u64 v[30:31], v[18:19], 1, s[10:11]
	v_add_u32_e32 v18, s28, v42
	v_add_u32_e32 v42, s29, v42
	v_mov_b32_e32 v17, v43
	v_lshl_add_u64 v[32:33], v[18:19], 1, s[10:11]
	v_add_u32_e32 v18, s28, v16
	v_lshl_add_u64 v[36:37], v[42:43], 1, s[10:11]
	v_add_u32_e32 v42, s29, v16
	v_lshl_add_u64 v[26:27], v[16:17], 1, s[10:11]
	v_lshl_add_u64 v[34:35], v[18:19], 1, s[10:11]
	;; [unrolled: 1-line block ×3, first 2 shown]
	global_load_ushort v23, v[24:25], off
	global_load_ushort v22, v[26:27], off
	;; [unrolled: 1-line block ×8, first 2 shown]
	s_cbranch_execnz .LBB116_6
	s_branch .LBB116_19
.LBB116_18:                             ;   in Loop: Header=BB116_8 Depth=1
                                        ; implicit-def: $vgpr16
                                        ; implicit-def: $vgpr17
                                        ; implicit-def: $vgpr18
                                        ; implicit-def: $vgpr19
                                        ; implicit-def: $vgpr20
                                        ; implicit-def: $vgpr21
                                        ; implicit-def: $vgpr22
                                        ; implicit-def: $vgpr23
.LBB116_19:                             ;   in Loop: Header=BB116_8 Depth=1
	v_mov_b32_e32 v41, v43
	s_waitcnt vmcnt(7)
	v_mov_b32_e32 v23, 0
	s_waitcnt vmcnt(6)
	;; [unrolled: 2-line block ×8, first 2 shown]
	v_mov_b32_e32 v16, 0
	s_branch .LBB116_6
.LBB116_20:
	s_endpgm
	.section	.rodata,"a",@progbits
	.p2align	6, 0x0
	.amdhsa_kernel _Z16wvSplitK_hf_sml_I6__halfLi64ELi2ELi16ELi8ELi2ELi4EEviiiiiiPKT_S3_S3_PS1_ii
		.amdhsa_group_segment_fixed_size 65536
		.amdhsa_private_segment_fixed_size 0
		.amdhsa_kernarg_size 64
		.amdhsa_user_sgpr_count 2
		.amdhsa_user_sgpr_dispatch_ptr 0
		.amdhsa_user_sgpr_queue_ptr 0
		.amdhsa_user_sgpr_kernarg_segment_ptr 1
		.amdhsa_user_sgpr_dispatch_id 0
		.amdhsa_user_sgpr_kernarg_preload_length 0
		.amdhsa_user_sgpr_kernarg_preload_offset 0
		.amdhsa_user_sgpr_private_segment_size 0
		.amdhsa_uses_dynamic_stack 0
		.amdhsa_enable_private_segment 0
		.amdhsa_system_sgpr_workgroup_id_x 1
		.amdhsa_system_sgpr_workgroup_id_y 0
		.amdhsa_system_sgpr_workgroup_id_z 0
		.amdhsa_system_sgpr_workgroup_info 0
		.amdhsa_system_vgpr_workitem_id 1
		.amdhsa_next_free_vgpr 70
		.amdhsa_next_free_sgpr 32
		.amdhsa_accum_offset 72
		.amdhsa_reserve_vcc 1
		.amdhsa_float_round_mode_32 0
		.amdhsa_float_round_mode_16_64 0
		.amdhsa_float_denorm_mode_32 3
		.amdhsa_float_denorm_mode_16_64 3
		.amdhsa_dx10_clamp 1
		.amdhsa_ieee_mode 1
		.amdhsa_fp16_overflow 0
		.amdhsa_tg_split 0
		.amdhsa_exception_fp_ieee_invalid_op 0
		.amdhsa_exception_fp_denorm_src 0
		.amdhsa_exception_fp_ieee_div_zero 0
		.amdhsa_exception_fp_ieee_overflow 0
		.amdhsa_exception_fp_ieee_underflow 0
		.amdhsa_exception_fp_ieee_inexact 0
		.amdhsa_exception_int_div_zero 0
	.end_amdhsa_kernel
	.section	.text._Z16wvSplitK_hf_sml_I6__halfLi64ELi2ELi16ELi8ELi2ELi4EEviiiiiiPKT_S3_S3_PS1_ii,"axG",@progbits,_Z16wvSplitK_hf_sml_I6__halfLi64ELi2ELi16ELi8ELi2ELi4EEviiiiiiPKT_S3_S3_PS1_ii,comdat
.Lfunc_end116:
	.size	_Z16wvSplitK_hf_sml_I6__halfLi64ELi2ELi16ELi8ELi2ELi4EEviiiiiiPKT_S3_S3_PS1_ii, .Lfunc_end116-_Z16wvSplitK_hf_sml_I6__halfLi64ELi2ELi16ELi8ELi2ELi4EEviiiiiiPKT_S3_S3_PS1_ii
                                        ; -- End function
	.section	.AMDGPU.csdata,"",@progbits
; Kernel info:
; codeLenInByte = 3152
; NumSgprs: 38
; NumVgprs: 70
; NumAgprs: 0
; TotalNumVgprs: 70
; ScratchSize: 0
; MemoryBound: 0
; FloatMode: 240
; IeeeMode: 1
; LDSByteSize: 65536 bytes/workgroup (compile time only)
; SGPRBlocks: 4
; VGPRBlocks: 8
; NumSGPRsForWavesPerEU: 38
; NumVGPRsForWavesPerEU: 70
; AccumOffset: 72
; Occupancy: 4
; WaveLimiterHint : 0
; COMPUTE_PGM_RSRC2:SCRATCH_EN: 0
; COMPUTE_PGM_RSRC2:USER_SGPR: 2
; COMPUTE_PGM_RSRC2:TRAP_HANDLER: 0
; COMPUTE_PGM_RSRC2:TGID_X_EN: 1
; COMPUTE_PGM_RSRC2:TGID_Y_EN: 0
; COMPUTE_PGM_RSRC2:TGID_Z_EN: 0
; COMPUTE_PGM_RSRC2:TIDIG_COMP_CNT: 1
; COMPUTE_PGM_RSRC3_GFX90A:ACCUM_OFFSET: 17
; COMPUTE_PGM_RSRC3_GFX90A:TG_SPLIT: 0
	.section	.text._Z12wvSplitK_hf_I6__halfLi64ELi2ELi16ELi8ELi2ELi4EEviiiiiiPKT_S3_S3_PS1_ii,"axG",@progbits,_Z12wvSplitK_hf_I6__halfLi64ELi2ELi16ELi8ELi2ELi4EEviiiiiiPKT_S3_S3_PS1_ii,comdat
	.protected	_Z12wvSplitK_hf_I6__halfLi64ELi2ELi16ELi8ELi2ELi4EEviiiiiiPKT_S3_S3_PS1_ii ; -- Begin function _Z12wvSplitK_hf_I6__halfLi64ELi2ELi16ELi8ELi2ELi4EEviiiiiiPKT_S3_S3_PS1_ii
	.globl	_Z12wvSplitK_hf_I6__halfLi64ELi2ELi16ELi8ELi2ELi4EEviiiiiiPKT_S3_S3_PS1_ii
	.p2align	8
	.type	_Z12wvSplitK_hf_I6__halfLi64ELi2ELi16ELi8ELi2ELi4EEviiiiiiPKT_S3_S3_PS1_ii,@function
_Z12wvSplitK_hf_I6__halfLi64ELi2ELi16ELi8ELi2ELi4EEviiiiiiPKT_S3_S3_PS1_ii: ; @_Z12wvSplitK_hf_I6__halfLi64ELi2ELi16ELi8ELi2ELi4EEviiiiiiPKT_S3_S3_PS1_ii
; %bb.0:
	s_load_dwordx2 s[4:5], s[0:1], 0x38
	s_load_dwordx4 s[8:11], s[0:1], 0x0
	s_load_dwordx2 s[6:7], s[0:1], 0x10
	v_bfe_u32 v3, v0, 10, 10
	s_mov_b32 s12, 1
	s_waitcnt lgkmcnt(0)
	s_mul_i32 s2, s2, s4
	v_add_lshl_u32 v50, s2, v3, 1
	v_add_u32_e32 v1, 2, v50
	v_cmp_gt_u32_e32 vcc, s11, v50
	v_cmp_le_u32_e64 s[2:3], s11, v1
	s_mov_b32 s13, s12
	s_and_b64 s[14:15], vcc, s[2:3]
	v_mov_b64_e32 v[48:49], s[12:13]
	s_and_saveexec_b64 s[2:3], s[14:15]
	s_cbranch_execz .LBB117_6
; %bb.1:
	s_add_i32 s20, s11, -2
	v_cmp_ne_u32_e32 vcc, s20, v50
	v_mov_b64_e32 v[48:49], s[12:13]
	s_and_saveexec_b64 s[12:13], vcc
	s_cbranch_execz .LBB117_5
; %bb.2:
	v_subrev_u32_e32 v1, s20, v50
	s_mov_b32 s14, 1
	v_cmp_lt_u32_e32 vcc, 1, v1
	s_mov_b64 s[16:17], 0
	s_mov_b64 s[18:19], 0
	v_cndmask_b32_e32 v2, 1, v1, vcc
	s_mov_b32 s15, s14
.LBB117_3:                              ; =>This Inner Loop Header: Depth=1
	s_cmp_lg_u32 s18, 1
	s_cselect_b32 s15, s15, 0
	s_cmp_lg_u32 s18, 0
	s_cselect_b32 s14, s14, 0
	s_add_u32 s18, s18, 1
	s_addc_u32 s19, s19, 0
	v_cmp_eq_u32_e32 vcc, s18, v2
	s_or_b64 s[16:17], vcc, s[16:17]
	v_mov_b64_e32 v[48:49], s[14:15]
	s_andn2_b64 exec, exec, s[16:17]
	s_cbranch_execnz .LBB117_3
; %bb.4:
	s_or_b64 exec, exec, s[16:17]
	v_mov_b32_e32 v50, s20
.LBB117_5:
	s_or_b64 exec, exec, s[12:13]
.LBB117_6:
	s_or_b64 exec, exec, s[2:3]
	s_load_dwordx4 s[12:15], s[0:1], 0x20
	v_and_b32_e32 v2, 0x3ff, v0
	v_lshlrev_b32_e32 v52, 3, v2
	s_lshl_b32 s33, s10, 2
	v_lshl_add_u32 v4, v3, 9, v52
	s_min_u32 s20, s33, 0x8000
	v_cmp_gt_u32_e32 vcc, s20, v4
	s_and_saveexec_b64 s[2:3], vcc
	s_cbranch_execz .LBB117_9
; %bb.7:
	v_mov_b32_e32 v7, 0
	v_lshlrev_b32_e32 v6, 10, v3
	v_lshlrev_b32_e32 v8, 4, v2
	v_mov_b32_e32 v9, v7
	v_lshl_add_u64 v[0:1], v[6:7], 0, v[8:9]
	s_waitcnt lgkmcnt(0)
	v_lshl_add_u64 v[0:1], s[12:13], 0, v[0:1]
	v_add_u32_e32 v5, v6, v8
	s_mov_b64 s[16:17], 0
	s_mov_b64 s[18:19], 0x4000
.LBB117_8:                              ; =>This Inner Loop Header: Depth=1
	global_load_dwordx4 v[6:9], v[0:1], off
	v_add_u32_e32 v4, 0x2000, v4
	v_cmp_le_u32_e32 vcc, s20, v4
	v_lshl_add_u64 v[0:1], v[0:1], 0, s[18:19]
	s_or_b64 s[16:17], vcc, s[16:17]
	s_waitcnt vmcnt(0)
	ds_write_b128 v5, v[6:9]
	v_add_u32_e32 v5, 0x4000, v5
	s_andn2_b64 exec, exec, s[16:17]
	s_cbranch_execnz .LBB117_8
.LBB117_9:
	s_or_b64 exec, exec, s[2:3]
	v_cmp_gt_u32_e32 vcc, s4, v3
	v_cmp_gt_u32_e64 s[2:3], s11, v50
	s_and_b64 s[2:3], vcc, s[2:3]
	s_waitcnt lgkmcnt(0)
	s_barrier
	s_and_saveexec_b64 s[16:17], s[2:3]
	s_cbranch_execz .LBB117_76
; %bb.10:
	s_cmp_lg_u32 s8, 0
	s_cselect_b64 s[2:3], -1, 0
	s_add_i32 s36, s8, -8
	s_add_i32 s37, s11, -1
	s_mul_i32 s4, s4, s5
	s_cmp_lg_u64 s[14:15], 0
	s_cselect_b64 s[22:23], -1, 0
	s_lshl_b32 s38, s4, 1
	s_abs_i32 s4, s7
	v_cvt_f32_u32_e32 v0, s6
	v_cvt_f32_u32_e32 v1, s4
	s_sub_i32 s5, 0, s6
	s_add_i32 s7, s11, -2
	v_rcp_iflag_f32_e32 v0, v0
	v_rcp_iflag_f32_e32 v1, v1
	s_load_dwordx2 s[16:17], s[0:1], 0x18
	s_load_dwordx2 s[18:19], s[0:1], 0x30
	v_cmp_eq_u32_e64 s[0:1], 63, v2
	v_mul_f32_e32 v0, 0x4f7ffffe, v0
	v_mul_f32_e32 v1, 0x4f7ffffe, v1
	v_cvt_u32_f32_e32 v0, v0
	v_cvt_u32_f32_e32 v1, v1
	s_mov_b64 s[20:21], 0
	v_mov_b32_e32 v55, 0
	v_mul_lo_u32 v3, s5, v0
	s_sub_i32 s5, 0, s4
	v_readfirstlane_b32 s24, v1
	s_mul_i32 s5, s5, s24
	s_mul_hi_u32 s5, s24, s5
	s_add_i32 s24, s24, s5
	s_sub_i32 s5, 1, s4
	s_cmp_lt_u32 s4, 2
	s_cselect_b32 s5, s5, 1
	s_sub_i32 s25, s5, s4
	s_cmp_ge_u32 s5, s4
	s_cselect_b32 s39, s25, s5
	s_lshr_b32 s5, s24, 31
	s_mul_i32 s5, s5, s4
	s_sub_i32 s5, 2, s5
	s_sub_i32 s25, s5, s4
	s_cmp_ge_u32 s5, s4
	s_cselect_b32 s5, s25, s5
	s_sub_i32 s25, s5, s4
	s_cmp_ge_u32 s5, s4
	s_cselect_b32 s40, s25, s5
	s_mul_hi_u32 s5, s24, 3
	s_mul_i32 s5, s5, s4
	s_sub_i32 s5, 3, s5
	s_sub_i32 s24, s5, s4
	s_cmp_ge_u32 s5, s4
	s_cselect_b32 s5, s24, s5
	v_mul_hi_u32 v3, v0, v3
	s_sub_i32 s24, s5, s4
	v_add_u32_e32 v53, v0, v3
	s_cmp_ge_u32 s5, s4
	s_cselect_b32 s41, s24, s5
	s_lshl_b32 s42, s10, 1
	v_mad_u64_u32 v[56:57], s[4:5], s10, 3, v[52:53]
	v_cndmask_b32_e64 v0, 0, 1, s[2:3]
	s_mul_i32 s39, s39, s6
	s_mul_i32 s40, s40, s6
	s_mul_i32 s41, s41, s6
	v_lshlrev_b32_e32 v70, 4, v2
	v_add_u32_e32 v71, s42, v52
	s_mul_i32 s43, s10, 6
	v_add_u32_e32 v57, s10, v52
	v_cmp_ne_u32_e64 s[2:3], 1, v0
	s_movk_i32 s10, 0x7fff
	s_mov_b32 s24, 0
	s_branch .LBB117_13
.LBB117_11:                             ;   in Loop: Header=BB117_13 Depth=1
	s_or_b64 exec, exec, s[28:29]
	v_mov_b32_e32 v50, s7
.LBB117_12:                             ;   in Loop: Header=BB117_13 Depth=1
	s_or_b64 exec, exec, s[26:27]
	v_cmp_le_u32_e32 vcc, s11, v50
	s_or_b64 s[20:21], vcc, s[20:21]
	s_andn2_b64 exec, exec, s[20:21]
	s_cbranch_execz .LBB117_76
.LBB117_13:                             ; =>This Loop Header: Depth=1
                                        ;     Child Loop BB117_18 Depth 2
                                        ;     Child Loop BB117_67 Depth 2
	s_and_b64 vcc, exec, s[2:3]
	v_add_u32_e32 v58, 1, v50
	v_mov_b32_e32 v77, v55
	v_mov_b32_e32 v76, v55
	v_mov_b32_e32 v75, v55
	v_mov_b32_e32 v74, v55
	v_mov_b32_e32 v51, v55
	v_mov_b32_e32 v59, v55
	v_mov_b32_e32 v72, v55
	v_mov_b32_e32 v73, v55
	s_cbranch_vccnz .LBB117_52
; %bb.14:                               ;   in Loop: Header=BB117_13 Depth=1
	v_min_u32_e32 v0, s37, v50
	v_mul_lo_u32 v54, v0, s9
	v_min_u32_e32 v0, s37, v58
	v_mul_lo_u32 v0, v0, s9
	v_mov_b32_e32 v1, v55
	v_mov_b32_e32 v73, 0
	v_lshlrev_b64 v[60:61], 1, v[54:55]
	v_lshlrev_b64 v[62:63], 1, v[0:1]
	v_mov_b32_e32 v78, v70
	v_mov_b32_e32 v72, 0
	;; [unrolled: 1-line block ×8, first 2 shown]
	s_mov_b32 s30, s24
	s_branch .LBB117_18
.LBB117_15:                             ;   in Loop: Header=BB117_18 Depth=2
	s_or_b64 exec, exec, s[28:29]
.LBB117_16:                             ;   in Loop: Header=BB117_18 Depth=2
	s_or_b64 exec, exec, s[26:27]
.LBB117_17:                             ;   in Loop: Header=BB117_18 Depth=2
	s_or_b64 exec, exec, s[4:5]
	s_waitcnt vmcnt(0) lgkmcnt(0)
	;;#ASMSTART
	v_dot2c_f32_f16 v77, v28, v12
	;;#ASMEND
	;;#ASMSTART
	v_dot2c_f32_f16 v76, v28, v8
	;;#ASMEND
	;;#ASMSTART
	v_dot2c_f32_f16 v75, v24, v12
	;;#ASMEND
	;;#ASMSTART
	v_dot2c_f32_f16 v74, v24, v8
	;;#ASMEND
	;;#ASMSTART
	v_dot2c_f32_f16 v73, v20, v12
	;;#ASMEND
	;;#ASMSTART
	v_dot2c_f32_f16 v72, v20, v8
	;;#ASMEND
	;;#ASMSTART
	v_dot2c_f32_f16 v59, v16, v12
	;;#ASMEND
	;;#ASMSTART
	v_dot2c_f32_f16 v51, v16, v8
	;;#ASMEND
	s_nop 0
	;;#ASMSTART
	v_dot2c_f32_f16 v77, v29, v13
	;;#ASMEND
	;;#ASMSTART
	v_dot2c_f32_f16 v76, v29, v9
	;;#ASMEND
	;;#ASMSTART
	v_dot2c_f32_f16 v75, v25, v13
	;;#ASMEND
	;;#ASMSTART
	v_dot2c_f32_f16 v74, v25, v9
	;;#ASMEND
	;;#ASMSTART
	v_dot2c_f32_f16 v73, v21, v13
	;;#ASMEND
	;;#ASMSTART
	v_dot2c_f32_f16 v72, v21, v9
	;;#ASMEND
	;;#ASMSTART
	v_dot2c_f32_f16 v59, v17, v13
	;;#ASMEND
	;;#ASMSTART
	v_dot2c_f32_f16 v51, v17, v9
	;;#ASMEND
	s_nop 0
	;; [unrolled: 25-line block ×5, first 2 shown]
	;;#ASMSTART
	v_dot2c_f32_f16 v77, v45, v5
	;;#ASMEND
	;;#ASMSTART
	v_dot2c_f32_f16 v76, v45, v1
	;;#ASMEND
	;; [unrolled: 3-line block ×8, first 2 shown]
	s_addk_i32 s30, 0x400
	;;#ASMSTART
	v_dot2c_f32_f16 v77, v46, v6
	;;#ASMEND
	;;#ASMSTART
	v_dot2c_f32_f16 v76, v46, v2
	;;#ASMEND
	;; [unrolled: 3-line block ×8, first 2 shown]
	s_cmp_ge_u32 s30, s8
	v_add_u32_e32 v78, 0x800, v78
	;;#ASMSTART
	v_dot2c_f32_f16 v77, v47, v7
	;;#ASMEND
	;;#ASMSTART
	v_dot2c_f32_f16 v76, v47, v3
	;;#ASMEND
	;; [unrolled: 3-line block ×8, first 2 shown]
	s_cbranch_scc1 .LBB117_52
.LBB117_18:                             ;   Parent Loop BB117_13 Depth=1
                                        ; =>  This Inner Loop Header: Depth=2
	v_add_u32_e32 v66, s30, v52
	v_min_u32_e32 v54, s36, v66
	s_waitcnt lgkmcnt(0)
	v_lshl_add_u64 v[0:1], v[54:55], 1, s[16:17]
	v_add_u32_e32 v64, 0x200, v66
	v_lshl_add_u64 v[2:3], v[0:1], 0, v[60:61]
	v_lshl_add_u64 v[0:1], v[0:1], 0, v[62:63]
	v_min_u32_e32 v54, s36, v64
	global_load_dwordx4 v[12:15], v[2:3], off nt
	global_load_dwordx4 v[8:11], v[0:1], off nt
	v_lshl_add_u64 v[0:1], v[54:55], 1, s[16:17]
	s_waitcnt vmcnt(2)
	v_lshl_add_u64 v[16:17], v[0:1], 0, v[60:61]
	v_lshl_add_u64 v[18:19], v[0:1], 0, v[62:63]
	global_load_dwordx4 v[4:7], v[16:17], off nt
	global_load_dwordx4 v[0:3], v[18:19], off nt
	s_mov_b32 s25, s24
	v_cmp_gt_u32_e32 vcc, s8, v66
	v_mov_b64_e32 v[34:35], s[24:25]
	v_mov_b32_e32 v39, 0
	v_mov_b32_e32 v38, 0
	;; [unrolled: 1-line block ×4, first 2 shown]
	v_mov_b64_e32 v[32:33], s[24:25]
	v_mov_b64_e32 v[42:43], s[24:25]
	;; [unrolled: 1-line block ×13, first 2 shown]
	s_and_saveexec_b64 s[4:5], vcc
	s_cbranch_execz .LBB117_17
; %bb.19:                               ;   in Loop: Header=BB117_18 Depth=2
	v_cmp_lt_u32_e32 vcc, s10, v66
                                        ; implicit-def: $vgpr30_vgpr31
	s_and_saveexec_b64 s[26:27], vcc
	s_xor_b64 s[26:27], exec, s[26:27]
	s_cbranch_execz .LBB117_21
; %bb.20:                               ;   in Loop: Header=BB117_18 Depth=2
	v_mov_b32_e32 v67, v55
	v_lshl_add_u64 v[16:17], v[66:67], 1, s[12:13]
	global_load_dwordx4 v[28:31], v[16:17], off
.LBB117_21:                             ;   in Loop: Header=BB117_18 Depth=2
	s_andn2_saveexec_b64 s[26:27], s[26:27]
	s_cbranch_execz .LBB117_23
; %bb.22:                               ;   in Loop: Header=BB117_18 Depth=2
	s_waitcnt vmcnt(0)
	ds_read_b128 v[28:31], v78
.LBB117_23:                             ;   in Loop: Header=BB117_18 Depth=2
	s_or_b64 exec, exec, s[26:27]
	v_add_u32_e32 v54, s30, v57
	v_cmp_lt_u32_e32 vcc, s10, v54
                                        ; implicit-def: $vgpr26_vgpr27
	s_and_saveexec_b64 s[26:27], vcc
	s_xor_b64 s[26:27], exec, s[26:27]
	s_cbranch_execz .LBB117_25
; %bb.24:                               ;   in Loop: Header=BB117_18 Depth=2
	v_lshl_add_u64 v[16:17], v[54:55], 1, s[12:13]
	global_load_dwordx4 v[24:27], v[16:17], off
.LBB117_25:                             ;   in Loop: Header=BB117_18 Depth=2
	s_andn2_saveexec_b64 s[26:27], s[26:27]
	s_cbranch_execz .LBB117_27
; %bb.26:                               ;   in Loop: Header=BB117_18 Depth=2
	v_add_u32_e32 v16, s42, v78
	s_waitcnt vmcnt(0)
	ds_read_b128 v[24:27], v16
.LBB117_27:                             ;   in Loop: Header=BB117_18 Depth=2
	s_or_b64 exec, exec, s[26:27]
	v_add_u32_e32 v68, s30, v71
	v_cmp_lt_u32_e32 vcc, s10, v68
                                        ; implicit-def: $vgpr22_vgpr23
	s_and_saveexec_b64 s[26:27], vcc
	s_xor_b64 s[26:27], exec, s[26:27]
	s_cbranch_execz .LBB117_29
; %bb.28:                               ;   in Loop: Header=BB117_18 Depth=2
	v_mov_b32_e32 v69, v55
	v_lshl_add_u64 v[16:17], v[68:69], 1, s[12:13]
	global_load_dwordx4 v[20:23], v[16:17], off
.LBB117_29:                             ;   in Loop: Header=BB117_18 Depth=2
	s_andn2_saveexec_b64 s[26:27], s[26:27]
	s_cbranch_execz .LBB117_31
; %bb.30:                               ;   in Loop: Header=BB117_18 Depth=2
	v_add_u32_e32 v16, s33, v78
	s_waitcnt vmcnt(0)
	ds_read2_b32 v[20:21], v16 offset1:1
	ds_read2_b32 v[22:23], v16 offset0:2 offset1:3
.LBB117_31:                             ;   in Loop: Header=BB117_18 Depth=2
	s_or_b64 exec, exec, s[26:27]
	v_add_u32_e32 v66, s30, v56
	v_cmp_lt_u32_e32 vcc, s10, v66
                                        ; implicit-def: $vgpr18_vgpr19
	s_and_saveexec_b64 s[26:27], vcc
	s_xor_b64 s[26:27], exec, s[26:27]
	s_cbranch_execz .LBB117_33
; %bb.32:                               ;   in Loop: Header=BB117_18 Depth=2
	v_mov_b32_e32 v67, v55
	v_lshl_add_u64 v[16:17], v[66:67], 1, s[12:13]
	global_load_dwordx4 v[16:19], v[16:17], off
.LBB117_33:                             ;   in Loop: Header=BB117_18 Depth=2
	s_andn2_saveexec_b64 s[26:27], s[26:27]
	s_cbranch_execz .LBB117_35
; %bb.34:                               ;   in Loop: Header=BB117_18 Depth=2
	s_waitcnt vmcnt(0)
	v_add_u32_e32 v16, s43, v78
	ds_read_b128 v[16:19], v16
.LBB117_35:                             ;   in Loop: Header=BB117_18 Depth=2
	s_or_b64 exec, exec, s[26:27]
	s_mov_b32 s25, s24
	v_cmp_gt_u32_e32 vcc, s8, v64
	v_mov_b32_e32 v39, 0
	v_mov_b64_e32 v[34:35], s[24:25]
	v_mov_b32_e32 v38, 0
	v_mov_b32_e32 v37, 0
	;; [unrolled: 1-line block ×3, first 2 shown]
	v_mov_b64_e32 v[32:33], s[24:25]
	v_mov_b64_e32 v[42:43], s[24:25]
	;; [unrolled: 1-line block ×5, first 2 shown]
	s_and_saveexec_b64 s[26:27], vcc
	s_cbranch_execz .LBB117_16
; %bb.36:                               ;   in Loop: Header=BB117_18 Depth=2
	v_cmp_lt_u32_e32 vcc, s10, v64
                                        ; implicit-def: $vgpr46_vgpr47
	s_and_saveexec_b64 s[28:29], vcc
	s_xor_b64 s[28:29], exec, s[28:29]
	s_cbranch_execz .LBB117_38
; %bb.37:                               ;   in Loop: Header=BB117_18 Depth=2
	v_mov_b32_e32 v65, v55
	v_lshl_add_u64 v[32:33], v[64:65], 1, s[12:13]
	global_load_dwordx4 v[44:47], v[32:33], off
.LBB117_38:                             ;   in Loop: Header=BB117_18 Depth=2
	s_andn2_saveexec_b64 s[28:29], s[28:29]
	s_cbranch_execz .LBB117_40
; %bb.39:                               ;   in Loop: Header=BB117_18 Depth=2
	s_waitcnt vmcnt(0)
	ds_read_b128 v[44:47], v78 offset:1024
.LBB117_40:                             ;   in Loop: Header=BB117_18 Depth=2
	s_or_b64 exec, exec, s[28:29]
	v_add_u32_e32 v54, 0x200, v54
	v_cmp_lt_u32_e32 vcc, s10, v54
                                        ; implicit-def: $vgpr42_vgpr43
	s_and_saveexec_b64 s[28:29], vcc
	s_xor_b64 s[28:29], exec, s[28:29]
	s_cbranch_execz .LBB117_42
; %bb.41:                               ;   in Loop: Header=BB117_18 Depth=2
	v_lshl_add_u64 v[32:33], v[54:55], 1, s[12:13]
	global_load_dwordx4 v[40:43], v[32:33], off
.LBB117_42:                             ;   in Loop: Header=BB117_18 Depth=2
	s_andn2_saveexec_b64 s[28:29], s[28:29]
	s_cbranch_execz .LBB117_44
; %bb.43:                               ;   in Loop: Header=BB117_18 Depth=2
	v_add_u32_e32 v32, s42, v78
	s_waitcnt vmcnt(0)
	ds_read_b128 v[40:43], v32 offset:1024
.LBB117_44:                             ;   in Loop: Header=BB117_18 Depth=2
	s_or_b64 exec, exec, s[28:29]
	v_add_u32_e32 v54, 0x200, v68
	v_cmp_lt_u32_e32 vcc, s10, v54
                                        ; implicit-def: $vgpr34_vgpr35
	s_and_saveexec_b64 s[28:29], vcc
	s_xor_b64 s[28:29], exec, s[28:29]
	s_cbranch_execz .LBB117_46
; %bb.45:                               ;   in Loop: Header=BB117_18 Depth=2
	v_lshl_add_u64 v[32:33], v[54:55], 1, s[12:13]
	global_load_dwordx4 v[32:35], v[32:33], off
.LBB117_46:                             ;   in Loop: Header=BB117_18 Depth=2
	s_andn2_saveexec_b64 s[28:29], s[28:29]
	s_cbranch_execz .LBB117_48
; %bb.47:                               ;   in Loop: Header=BB117_18 Depth=2
	s_waitcnt vmcnt(0)
	v_add_u32_e32 v32, s33, v78
	v_add_u32_e32 v33, 0x400, v32
	;; [unrolled: 1-line block ×3, first 2 shown]
	ds_read2_b32 v[32:33], v33 offset1:1
	ds_read2_b32 v[34:35], v34 offset1:1
.LBB117_48:                             ;   in Loop: Header=BB117_18 Depth=2
	s_or_b64 exec, exec, s[28:29]
	v_add_u32_e32 v54, 0x200, v66
	v_cmp_lt_u32_e32 vcc, s10, v54
                                        ; implicit-def: $vgpr39
	s_and_saveexec_b64 s[28:29], vcc
	s_xor_b64 s[28:29], exec, s[28:29]
	s_cbranch_execz .LBB117_50
; %bb.49:                               ;   in Loop: Header=BB117_18 Depth=2
	v_lshl_add_u64 v[36:37], v[54:55], 1, s[12:13]
	global_load_dwordx4 v[36:39], v[36:37], off
.LBB117_50:                             ;   in Loop: Header=BB117_18 Depth=2
	s_andn2_saveexec_b64 s[28:29], s[28:29]
	s_cbranch_execz .LBB117_15
; %bb.51:                               ;   in Loop: Header=BB117_18 Depth=2
	s_waitcnt vmcnt(0)
	v_add_u32_e32 v36, s43, v78
	ds_read_b128 v[36:39], v36 offset:1024
	s_branch .LBB117_15
.LBB117_52:                             ;   in Loop: Header=BB117_13 Depth=1
	v_cvt_i32_f32_e32 v0, v77
	v_cvt_i32_f32_e32 v1, v76
	;; [unrolled: 1-line block ×4, first 2 shown]
	v_cvt_f32_i32_dpp v0, v0 row_shr:8 row_mask:0xf bank_mask:0xf bound_ctrl:1
	v_cvt_f32_i32_dpp v1, v1 row_shr:8 row_mask:0xf bank_mask:0xf bound_ctrl:1
	;; [unrolled: 1-line block ×4, first 2 shown]
	v_add_f32_e32 v0, v77, v0
	v_cvt_i32_f32_e32 v4, v0
	v_add_f32_e32 v1, v76, v1
	v_cvt_i32_f32_e32 v5, v1
	v_add_f32_e32 v2, v75, v2
	v_cvt_f32_i32_dpp v4, v4 row_shr:4 row_mask:0xf bank_mask:0xf bound_ctrl:1
	v_add_f32_e32 v3, v74, v3
	v_cvt_f32_i32_dpp v5, v5 row_shr:4 row_mask:0xf bank_mask:0xf bound_ctrl:1
	v_cvt_i32_f32_e32 v6, v2
	v_add_f32_e32 v0, v0, v4
	v_cvt_i32_f32_e32 v4, v0
	v_add_f32_e32 v1, v1, v5
	v_cvt_i32_f32_e32 v5, v1
	v_cvt_i32_f32_e32 v7, v3
	v_cvt_f32_i32_dpp v4, v4 row_shr:2 row_mask:0xf bank_mask:0xf bound_ctrl:1
	v_cvt_f32_i32_dpp v6, v6 row_shr:4 row_mask:0xf bank_mask:0xf bound_ctrl:1
	;; [unrolled: 1-line block ×4, first 2 shown]
	v_add_f32_e32 v0, v0, v4
	v_cvt_i32_f32_e32 v4, v0
	v_add_f32_e32 v2, v2, v6
	v_add_f32_e32 v1, v1, v5
	v_add_f32_e32 v7, v3, v7
	v_cvt_f32_i32_dpp v4, v4 row_shr:1 row_mask:0xf bank_mask:0xf bound_ctrl:1
	v_cvt_i32_f32_e32 v3, v2
	v_cvt_i32_f32_e32 v5, v1
	;; [unrolled: 1-line block ×3, first 2 shown]
	v_add_f32_e32 v0, v0, v4
	v_cvt_f32_i32_dpp v3, v3 row_shr:2 row_mask:0xf bank_mask:0xf bound_ctrl:1
	v_cvt_i32_f32_e32 v4, v0
	v_cvt_f32_i32_dpp v5, v5 row_shr:1 row_mask:0xf bank_mask:0xf bound_ctrl:1
	v_cvt_f32_i32_dpp v8, v6 row_shr:2 row_mask:0xf bank_mask:0xf bound_ctrl:1
	v_add_f32_e32 v2, v2, v3
	v_cvt_f32_i32_dpp v3, v4 row_bcast:15 row_mask:0xf bank_mask:0xf bound_ctrl:1
	v_add_f32_e32 v1, v1, v5
	v_cvt_i32_f32_e32 v4, v1
	v_cvt_i32_f32_e32 v5, v2
	v_add_f32_e32 v3, v0, v3
	v_cvt_i32_f32_e32 v0, v3
	v_cvt_f32_i32_dpp v4, v4 row_bcast:15 row_mask:0xf bank_mask:0xf bound_ctrl:1
	v_cvt_f32_i32_dpp v5, v5 row_shr:1 row_mask:0xf bank_mask:0xf bound_ctrl:1
	v_mov_b32_dpp v6, v0 row_bcast:31 row_mask:0xf bank_mask:0xf bound_ctrl:1
	v_add_f32_e32 v0, v1, v4
	v_add_f32_e32 v1, v2, v5
	v_cvt_i32_f32_e32 v2, v73
	v_add_f32_e32 v4, v7, v8
	v_cvt_i32_f32_e32 v5, v4
	v_cvt_i32_f32_e32 v7, v1
	v_cvt_f32_i32_dpp v2, v2 row_shr:8 row_mask:0xf bank_mask:0xf bound_ctrl:1
	v_cvt_i32_f32_e32 v8, v0
	v_cvt_f32_i32_dpp v5, v5 row_shr:1 row_mask:0xf bank_mask:0xf bound_ctrl:1
	v_cvt_f32_i32_dpp v7, v7 row_bcast:15 row_mask:0xf bank_mask:0xf bound_ctrl:1
	v_add_f32_e32 v2, v73, v2
	v_cvt_i32_f32_e32 v9, v2
	v_add_f32_e32 v4, v4, v5
	v_cvt_i32_f32_e32 v5, v4
	v_add_f32_e32 v1, v1, v7
	v_cvt_f32_i32_dpp v9, v9 row_shr:4 row_mask:0xf bank_mask:0xf bound_ctrl:1
	v_cvt_i32_f32_e32 v7, v72
	v_cvt_f32_i32_dpp v5, v5 row_bcast:15 row_mask:0xf bank_mask:0xf bound_ctrl:1
	v_cvt_i32_f32_e32 v11, v1
	v_add_f32_e32 v9, v2, v9
	v_cvt_i32_f32_e32 v10, v9
	v_cvt_f32_i32_dpp v7, v7 row_shr:8 row_mask:0xf bank_mask:0xf bound_ctrl:1
	v_add_f32_e32 v2, v4, v5
	v_cvt_i32_f32_e32 v5, v2
	v_cvt_f32_i32_dpp v4, v10 row_shr:2 row_mask:0xf bank_mask:0xf bound_ctrl:1
	v_add_f32_e32 v7, v72, v7
	v_cvt_i32_f32_e32 v12, v7
	v_mov_b32_dpp v10, v11 row_bcast:31 row_mask:0xf bank_mask:0xf bound_ctrl:1
	v_add_f32_e32 v4, v9, v4
	v_cvt_i32_f32_e32 v9, v4
	v_cvt_f32_i32_dpp v11, v12 row_shr:4 row_mask:0xf bank_mask:0xf bound_ctrl:1
	v_cvt_i32_f32_e32 v12, v59
	v_mov_b32_dpp v8, v8 row_bcast:31 row_mask:0xf bank_mask:0xf bound_ctrl:1
	v_cvt_f32_i32_dpp v9, v9 row_shr:1 row_mask:0xf bank_mask:0xf bound_ctrl:1
	v_add_f32_e32 v7, v7, v11
	v_cvt_i32_f32_e32 v11, v51
	v_cvt_f32_i32_dpp v12, v12 row_shr:8 row_mask:0xf bank_mask:0xf bound_ctrl:1
	v_add_f32_e32 v4, v4, v9
	v_cvt_i32_f32_e32 v13, v7
	;; [unrolled: 3-line block ×4, first 2 shown]
	v_cvt_i32_f32_e32 v14, v9
	v_add_f32_e32 v7, v7, v11
	v_cvt_f32_i32_dpp v15, v15 row_bcast:15 row_mask:0xf bank_mask:0xf bound_ctrl:1
	v_cvt_f32_i32_dpp v13, v13 row_shr:4 row_mask:0xf bank_mask:0xf bound_ctrl:1
	v_cvt_f32_i32_dpp v11, v14 row_shr:4 row_mask:0xf bank_mask:0xf bound_ctrl:1
	v_cvt_i32_f32_e32 v14, v7
	v_mov_b32_dpp v5, v5 row_bcast:31 row_mask:0xf bank_mask:0xf bound_ctrl:1
	v_add_f32_e32 v12, v12, v13
	v_add_f32_e32 v9, v9, v11
	v_cvt_i32_f32_e32 v13, v12
	v_cvt_i32_f32_e32 v11, v9
	v_cvt_f32_i32_dpp v14, v14 row_shr:1 row_mask:0xf bank_mask:0xf bound_ctrl:1
	v_cvt_f32_i32_dpp v13, v13 row_shr:2 row_mask:0xf bank_mask:0xf bound_ctrl:1
	;; [unrolled: 1-line block ×3, first 2 shown]
	v_add_f32_e32 v7, v7, v14
	v_cvt_i32_f32_e32 v14, v7
	v_add_f32_e32 v12, v12, v13
	v_add_f32_e32 v9, v9, v11
	v_cvt_i32_f32_e32 v13, v12
	v_cvt_i32_f32_e32 v11, v9
	s_waitcnt vmcnt(0)
	v_cvt_f32_i32_dpp v16, v13 row_shr:1 row_mask:0xf bank_mask:0xf bound_ctrl:1
	v_add_f32_e32 v13, v4, v15
	v_cvt_f32_i32_dpp v4, v11 row_shr:1 row_mask:0xf bank_mask:0xf bound_ctrl:1
	v_cvt_f32_i32_dpp v11, v14 row_bcast:15 row_mask:0xf bank_mask:0xf bound_ctrl:1
	v_add_f32_e32 v14, v12, v16
	v_cvt_i32_f32_e32 v12, v14
	v_add_f32_e32 v4, v9, v4
	v_cvt_i32_f32_e32 v9, v4
	v_cvt_i32_f32_e32 v15, v13
	v_cvt_f32_i32_dpp v16, v12 row_bcast:15 row_mask:0xf bank_mask:0xf bound_ctrl:1
	v_add_f32_e32 v12, v7, v11
	v_cvt_f32_i32_dpp v7, v9 row_bcast:15 row_mask:0xf bank_mask:0xf bound_ctrl:1
	v_cvt_i32_f32_e32 v11, v12
	v_add_f32_e32 v9, v14, v16
	v_cvt_i32_f32_e32 v16, v9
	v_add_f32_e32 v4, v4, v7
	v_cvt_i32_f32_e32 v7, v4
	v_mov_b32_dpp v15, v15 row_bcast:31 row_mask:0xf bank_mask:0xf bound_ctrl:1
	v_mov_b32_dpp v14, v11 row_bcast:31 row_mask:0xf bank_mask:0xf bound_ctrl:1
	;; [unrolled: 1-line block ×4, first 2 shown]
	s_and_saveexec_b64 s[26:27], s[0:1]
	s_cbranch_execz .LBB117_64
; %bb.53:                               ;   in Loop: Header=BB117_13 Depth=1
	s_andn2_b64 vcc, exec, s[22:23]
	v_mov_b32_e32 v23, 0
	v_mov_b32_e32 v22, 0
	;; [unrolled: 1-line block ×8, first 2 shown]
	s_cbranch_vccnz .LBB117_55
; %bb.54:                               ;   in Loop: Header=BB117_13 Depth=1
	v_mul_hi_u32 v16, v50, v53
	v_mul_lo_u32 v16, v16, s6
	v_sub_u32_e32 v16, v50, v16
	v_subrev_u32_e32 v17, s6, v16
	v_cmp_le_u32_e32 vcc, s6, v16
	v_mov_b32_e32 v19, v55
	s_nop 0
	v_cndmask_b32_e32 v16, v16, v17, vcc
	v_subrev_u32_e32 v17, s6, v16
	v_cmp_le_u32_e32 vcc, s6, v16
	s_nop 1
	v_cndmask_b32_e32 v54, v16, v17, vcc
	v_mul_hi_u32 v16, v58, v53
	v_mul_lo_u32 v16, v16, s6
	v_sub_u32_e32 v16, v58, v16
	v_subrev_u32_e32 v17, s6, v16
	v_cmp_le_u32_e32 vcc, s6, v16
	v_add_u32_e32 v18, s39, v54
	v_lshl_add_u64 v[28:29], v[18:19], 1, s[14:15]
	v_cndmask_b32_e32 v16, v16, v17, vcc
	v_subrev_u32_e32 v17, s6, v16
	v_cmp_le_u32_e32 vcc, s6, v16
	v_lshl_add_u64 v[24:25], v[54:55], 1, s[14:15]
	s_nop 0
	v_cndmask_b32_e32 v16, v16, v17, vcc
	v_add_u32_e32 v18, s39, v16
	v_lshl_add_u64 v[30:31], v[18:19], 1, s[14:15]
	v_add_u32_e32 v18, s40, v54
	v_add_u32_e32 v54, s41, v54
	v_mov_b32_e32 v17, v55
	v_lshl_add_u64 v[32:33], v[18:19], 1, s[14:15]
	v_add_u32_e32 v18, s40, v16
	v_lshl_add_u64 v[36:37], v[54:55], 1, s[14:15]
	v_add_u32_e32 v54, s41, v16
	v_lshl_add_u64 v[26:27], v[16:17], 1, s[14:15]
	v_lshl_add_u64 v[34:35], v[18:19], 1, s[14:15]
	;; [unrolled: 1-line block ×3, first 2 shown]
	global_load_ushort v23, v[24:25], off
	global_load_ushort v22, v[26:27], off
	;; [unrolled: 1-line block ×8, first 2 shown]
.LBB117_55:                             ;   in Loop: Header=BB117_13 Depth=1
	v_cmp_ne_u32_e32 vcc, 0, v48
	s_and_saveexec_b64 s[4:5], vcc
	s_cbranch_execnz .LBB117_69
; %bb.56:                               ;   in Loop: Header=BB117_13 Depth=1
	s_or_b64 exec, exec, s[4:5]
	v_cmp_ne_u32_e64 s[4:5], 0, v49
	s_and_saveexec_b64 s[28:29], s[4:5]
	s_cbranch_execnz .LBB117_70
.LBB117_57:                             ;   in Loop: Header=BB117_13 Depth=1
	s_or_b64 exec, exec, s[28:29]
	v_add_u32_e32 v54, s11, v50
	s_and_saveexec_b64 s[28:29], vcc
	s_cbranch_execnz .LBB117_71
.LBB117_58:                             ;   in Loop: Header=BB117_13 Depth=1
	s_or_b64 exec, exec, s[28:29]
	s_and_saveexec_b64 s[28:29], s[4:5]
	s_cbranch_execnz .LBB117_72
.LBB117_59:                             ;   in Loop: Header=BB117_13 Depth=1
	s_or_b64 exec, exec, s[28:29]
	v_add_u32_e32 v54, s11, v54
	s_and_saveexec_b64 s[28:29], vcc
	s_cbranch_execnz .LBB117_73
.LBB117_60:                             ;   in Loop: Header=BB117_13 Depth=1
	s_or_b64 exec, exec, s[28:29]
	s_and_saveexec_b64 s[28:29], s[4:5]
	s_cbranch_execnz .LBB117_74
.LBB117_61:                             ;   in Loop: Header=BB117_13 Depth=1
	s_or_b64 exec, exec, s[28:29]
	v_add_u32_e32 v54, s11, v54
	s_and_saveexec_b64 s[28:29], vcc
	s_cbranch_execnz .LBB117_75
.LBB117_62:                             ;   in Loop: Header=BB117_13 Depth=1
	s_or_b64 exec, exec, s[28:29]
	s_and_b64 exec, exec, s[4:5]
	s_cbranch_execz .LBB117_64
.LBB117_63:                             ;   in Loop: Header=BB117_13 Depth=1
	v_cvt_f32_i32_e32 v0, v7
	s_waitcnt vmcnt(0)
	v_cvt_f32_f16_e32 v1, v16
	v_add_u32_e32 v54, 1, v54
	v_add_f32_e32 v0, v4, v0
	v_add_f32_e32 v0, v0, v1
	v_cvt_f16_f32_e32 v2, v0
	s_waitcnt lgkmcnt(0)
	v_lshl_add_u64 v[0:1], v[54:55], 1, s[18:19]
	global_store_short v[0:1], v2, off
.LBB117_64:                             ;   in Loop: Header=BB117_13 Depth=1
	s_or_b64 exec, exec, s[26:27]
	v_add_u32_e32 v50, s38, v50
	v_add_u32_e32 v0, 2, v50
	v_cmp_gt_u32_e32 vcc, s11, v50
	v_cmp_le_u32_e64 s[4:5], s11, v0
	s_and_b64 s[4:5], vcc, s[4:5]
	s_and_saveexec_b64 s[26:27], s[4:5]
	s_cbranch_execz .LBB117_12
; %bb.65:                               ;   in Loop: Header=BB117_13 Depth=1
	v_cmp_ne_u32_e32 vcc, s7, v50
	s_and_saveexec_b64 s[28:29], vcc
	s_cbranch_execz .LBB117_11
; %bb.66:                               ;   in Loop: Header=BB117_13 Depth=1
	v_subrev_u32_e32 v0, s7, v50
	v_cmp_lt_u32_e32 vcc, 1, v0
	s_mov_b64 s[30:31], 0
	s_mov_b64 s[34:35], 0
	v_cndmask_b32_e32 v0, 1, v0, vcc
.LBB117_67:                             ;   Parent Loop BB117_13 Depth=1
                                        ; =>  This Inner Loop Header: Depth=2
	s_cmp_lg_u32 s34, 1
	s_cselect_b64 vcc, -1, 0
	s_cmp_lg_u32 s34, 0
	v_cndmask_b32_e32 v49, 0, v49, vcc
	s_cselect_b64 vcc, -1, 0
	s_add_u32 s34, s34, 1
	s_addc_u32 s35, s35, 0
	v_cmp_eq_u32_e64 s[4:5], s34, v0
	s_or_b64 s[30:31], s[4:5], s[30:31]
	v_cndmask_b32_e32 v48, 0, v48, vcc
	s_andn2_b64 exec, exec, s[30:31]
	s_cbranch_execnz .LBB117_67
; %bb.68:                               ;   in Loop: Header=BB117_13 Depth=1
	s_or_b64 exec, exec, s[30:31]
	s_branch .LBB117_11
.LBB117_69:                             ;   in Loop: Header=BB117_13 Depth=1
	v_cvt_f32_i32_e32 v6, v6
	s_waitcnt vmcnt(7)
	v_cvt_f32_f16_e32 v23, v23
	v_mov_b32_e32 v51, v55
	s_waitcnt lgkmcnt(0)
	v_lshl_add_u64 v[24:25], v[50:51], 1, s[18:19]
	v_add_f32_e32 v3, v3, v6
	v_add_f32_e32 v3, v3, v23
	v_cvt_f16_f32_e32 v3, v3
	global_store_short v[24:25], v3, off
	s_or_b64 exec, exec, s[4:5]
	v_cmp_ne_u32_e64 s[4:5], 0, v49
	s_and_saveexec_b64 s[28:29], s[4:5]
	s_cbranch_execz .LBB117_57
.LBB117_70:                             ;   in Loop: Header=BB117_13 Depth=1
	v_cvt_f32_i32_e32 v3, v8
	s_waitcnt vmcnt(6)
	v_cvt_f32_f16_e32 v6, v22
	v_mov_b32_e32 v59, v55
	s_waitcnt lgkmcnt(0)
	v_lshl_add_u64 v[22:23], v[58:59], 1, s[18:19]
	v_add_f32_e32 v0, v0, v3
	v_add_f32_e32 v0, v0, v6
	v_cvt_f16_f32_e32 v0, v0
	global_store_short v[22:23], v0, off
	s_or_b64 exec, exec, s[28:29]
	v_add_u32_e32 v54, s11, v50
	s_and_saveexec_b64 s[28:29], vcc
	s_cbranch_execz .LBB117_58
.LBB117_71:                             ;   in Loop: Header=BB117_13 Depth=1
	v_cvt_f32_i32_e32 v0, v10
	s_waitcnt vmcnt(5)
	v_cvt_f32_f16_e32 v3, v21
	v_add_f32_e32 v0, v1, v0
	v_add_f32_e32 v0, v0, v3
	v_cvt_f16_f32_e32 v3, v0
	s_waitcnt lgkmcnt(0)
	v_lshl_add_u64 v[0:1], v[54:55], 1, s[18:19]
	global_store_short v[0:1], v3, off
	s_or_b64 exec, exec, s[28:29]
	s_and_saveexec_b64 s[28:29], s[4:5]
	s_cbranch_execz .LBB117_59
.LBB117_72:                             ;   in Loop: Header=BB117_13 Depth=1
	v_cvt_f32_i32_e32 v0, v5
	s_waitcnt vmcnt(4)
	v_cvt_f32_f16_e32 v1, v20
	v_add_f32_e32 v0, v2, v0
	v_add_f32_e32 v0, v0, v1
	v_cvt_f16_f32_e32 v2, v0
	v_add_u32_e32 v0, 1, v54
	v_mov_b32_e32 v1, v55
	s_waitcnt lgkmcnt(0)
	v_lshl_add_u64 v[0:1], v[0:1], 1, s[18:19]
	global_store_short v[0:1], v2, off
	s_or_b64 exec, exec, s[28:29]
	v_add_u32_e32 v54, s11, v54
	s_and_saveexec_b64 s[28:29], vcc
	s_cbranch_execz .LBB117_60
.LBB117_73:                             ;   in Loop: Header=BB117_13 Depth=1
	v_cvt_f32_i32_e32 v0, v15
	s_waitcnt vmcnt(3)
	v_cvt_f32_f16_e32 v1, v19
	v_add_f32_e32 v0, v13, v0
	v_add_f32_e32 v0, v0, v1
	v_cvt_f16_f32_e32 v2, v0
	s_waitcnt lgkmcnt(0)
	v_lshl_add_u64 v[0:1], v[54:55], 1, s[18:19]
	global_store_short v[0:1], v2, off
	s_or_b64 exec, exec, s[28:29]
	s_and_saveexec_b64 s[28:29], s[4:5]
	s_cbranch_execz .LBB117_61
.LBB117_74:                             ;   in Loop: Header=BB117_13 Depth=1
	v_cvt_f32_i32_e32 v0, v14
	s_waitcnt vmcnt(2)
	v_cvt_f32_f16_e32 v1, v18
	v_add_f32_e32 v0, v12, v0
	v_add_f32_e32 v0, v0, v1
	v_cvt_f16_f32_e32 v2, v0
	v_add_u32_e32 v0, 1, v54
	v_mov_b32_e32 v1, v55
	s_waitcnt lgkmcnt(0)
	v_lshl_add_u64 v[0:1], v[0:1], 1, s[18:19]
	global_store_short v[0:1], v2, off
	s_or_b64 exec, exec, s[28:29]
	v_add_u32_e32 v54, s11, v54
	s_and_saveexec_b64 s[28:29], vcc
	s_cbranch_execz .LBB117_62
.LBB117_75:                             ;   in Loop: Header=BB117_13 Depth=1
	v_cvt_f32_i32_e32 v0, v11
	s_waitcnt vmcnt(1)
	v_cvt_f32_f16_e32 v1, v17
	v_add_f32_e32 v0, v9, v0
	v_add_f32_e32 v0, v0, v1
	v_cvt_f16_f32_e32 v2, v0
	s_waitcnt lgkmcnt(0)
	v_lshl_add_u64 v[0:1], v[54:55], 1, s[18:19]
	global_store_short v[0:1], v2, off
	s_or_b64 exec, exec, s[28:29]
	s_and_b64 exec, exec, s[4:5]
	s_cbranch_execnz .LBB117_63
	s_branch .LBB117_64
.LBB117_76:
	s_endpgm
	.section	.rodata,"a",@progbits
	.p2align	6, 0x0
	.amdhsa_kernel _Z12wvSplitK_hf_I6__halfLi64ELi2ELi16ELi8ELi2ELi4EEviiiiiiPKT_S3_S3_PS1_ii
		.amdhsa_group_segment_fixed_size 65536
		.amdhsa_private_segment_fixed_size 0
		.amdhsa_kernarg_size 64
		.amdhsa_user_sgpr_count 2
		.amdhsa_user_sgpr_dispatch_ptr 0
		.amdhsa_user_sgpr_queue_ptr 0
		.amdhsa_user_sgpr_kernarg_segment_ptr 1
		.amdhsa_user_sgpr_dispatch_id 0
		.amdhsa_user_sgpr_kernarg_preload_length 0
		.amdhsa_user_sgpr_kernarg_preload_offset 0
		.amdhsa_user_sgpr_private_segment_size 0
		.amdhsa_uses_dynamic_stack 0
		.amdhsa_enable_private_segment 0
		.amdhsa_system_sgpr_workgroup_id_x 1
		.amdhsa_system_sgpr_workgroup_id_y 0
		.amdhsa_system_sgpr_workgroup_id_z 0
		.amdhsa_system_sgpr_workgroup_info 0
		.amdhsa_system_vgpr_workitem_id 1
		.amdhsa_next_free_vgpr 79
		.amdhsa_next_free_sgpr 44
		.amdhsa_accum_offset 80
		.amdhsa_reserve_vcc 1
		.amdhsa_float_round_mode_32 0
		.amdhsa_float_round_mode_16_64 0
		.amdhsa_float_denorm_mode_32 3
		.amdhsa_float_denorm_mode_16_64 3
		.amdhsa_dx10_clamp 1
		.amdhsa_ieee_mode 1
		.amdhsa_fp16_overflow 0
		.amdhsa_tg_split 0
		.amdhsa_exception_fp_ieee_invalid_op 0
		.amdhsa_exception_fp_denorm_src 0
		.amdhsa_exception_fp_ieee_div_zero 0
		.amdhsa_exception_fp_ieee_overflow 0
		.amdhsa_exception_fp_ieee_underflow 0
		.amdhsa_exception_fp_ieee_inexact 0
		.amdhsa_exception_int_div_zero 0
	.end_amdhsa_kernel
	.section	.text._Z12wvSplitK_hf_I6__halfLi64ELi2ELi16ELi8ELi2ELi4EEviiiiiiPKT_S3_S3_PS1_ii,"axG",@progbits,_Z12wvSplitK_hf_I6__halfLi64ELi2ELi16ELi8ELi2ELi4EEviiiiiiPKT_S3_S3_PS1_ii,comdat
.Lfunc_end117:
	.size	_Z12wvSplitK_hf_I6__halfLi64ELi2ELi16ELi8ELi2ELi4EEviiiiiiPKT_S3_S3_PS1_ii, .Lfunc_end117-_Z12wvSplitK_hf_I6__halfLi64ELi2ELi16ELi8ELi2ELi4EEviiiiiiPKT_S3_S3_PS1_ii
                                        ; -- End function
	.section	.AMDGPU.csdata,"",@progbits
; Kernel info:
; codeLenInByte = 4036
; NumSgprs: 50
; NumVgprs: 79
; NumAgprs: 0
; TotalNumVgprs: 79
; ScratchSize: 0
; MemoryBound: 1
; FloatMode: 240
; IeeeMode: 1
; LDSByteSize: 65536 bytes/workgroup (compile time only)
; SGPRBlocks: 6
; VGPRBlocks: 9
; NumSGPRsForWavesPerEU: 50
; NumVGPRsForWavesPerEU: 79
; AccumOffset: 80
; Occupancy: 4
; WaveLimiterHint : 0
; COMPUTE_PGM_RSRC2:SCRATCH_EN: 0
; COMPUTE_PGM_RSRC2:USER_SGPR: 2
; COMPUTE_PGM_RSRC2:TRAP_HANDLER: 0
; COMPUTE_PGM_RSRC2:TGID_X_EN: 1
; COMPUTE_PGM_RSRC2:TGID_Y_EN: 0
; COMPUTE_PGM_RSRC2:TGID_Z_EN: 0
; COMPUTE_PGM_RSRC2:TIDIG_COMP_CNT: 1
; COMPUTE_PGM_RSRC3_GFX90A:ACCUM_OFFSET: 19
; COMPUTE_PGM_RSRC3_GFX90A:TG_SPLIT: 0
	.section	.text._Z16wvSplitK_hf_big_I6__halfLi64ELi2ELi16ELi8ELi2ELi4EEviiiiiiPKT_S3_S3_PS1_ii,"axG",@progbits,_Z16wvSplitK_hf_big_I6__halfLi64ELi2ELi16ELi8ELi2ELi4EEviiiiiiPKT_S3_S3_PS1_ii,comdat
	.protected	_Z16wvSplitK_hf_big_I6__halfLi64ELi2ELi16ELi8ELi2ELi4EEviiiiiiPKT_S3_S3_PS1_ii ; -- Begin function _Z16wvSplitK_hf_big_I6__halfLi64ELi2ELi16ELi8ELi2ELi4EEviiiiiiPKT_S3_S3_PS1_ii
	.globl	_Z16wvSplitK_hf_big_I6__halfLi64ELi2ELi16ELi8ELi2ELi4EEviiiiiiPKT_S3_S3_PS1_ii
	.p2align	8
	.type	_Z16wvSplitK_hf_big_I6__halfLi64ELi2ELi16ELi8ELi2ELi4EEviiiiiiPKT_S3_S3_PS1_ii,@function
_Z16wvSplitK_hf_big_I6__halfLi64ELi2ELi16ELi8ELi2ELi4EEviiiiiiPKT_S3_S3_PS1_ii: ; @_Z16wvSplitK_hf_big_I6__halfLi64ELi2ELi16ELi8ELi2ELi4EEviiiiiiPKT_S3_S3_PS1_ii
; %bb.0:
	s_load_dwordx2 s[4:5], s[0:1], 0x38
	v_bfe_u32 v1, v0, 10, 10
	s_waitcnt lgkmcnt(0)
	v_cmp_gt_u32_e32 vcc, s4, v1
	s_and_saveexec_b64 s[6:7], vcc
	s_cbranch_execz .LBB118_56
; %bb.1:
	s_load_dwordx4 s[20:23], s[0:1], 0x0
	s_mul_i32 s2, s2, s4
	v_add_lshl_u32 v50, s2, v1, 1
	s_mov_b32 s6, 1
	v_add_u32_e32 v2, 2, v50
	s_waitcnt lgkmcnt(0)
	v_cmp_gt_u32_e32 vcc, s23, v50
	v_cmp_le_u32_e64 s[2:3], s23, v2
	s_mov_b32 s7, s6
	s_and_b64 s[8:9], vcc, s[2:3]
	v_mov_b64_e32 v[48:49], s[6:7]
	s_and_saveexec_b64 s[2:3], s[8:9]
	s_cbranch_execz .LBB118_7
; %bb.2:
	s_add_i32 s14, s23, -2
	v_cmp_ne_u32_e32 vcc, s14, v50
	v_mov_b64_e32 v[48:49], s[6:7]
	s_and_saveexec_b64 s[6:7], vcc
	s_cbranch_execz .LBB118_6
; %bb.3:
	v_subrev_u32_e32 v2, s14, v50
	s_mov_b32 s8, 1
	v_cmp_lt_u32_e32 vcc, 1, v2
	s_mov_b64 s[10:11], 0
	s_mov_b64 s[12:13], 0
	v_cndmask_b32_e32 v2, 1, v2, vcc
	s_mov_b32 s9, s8
.LBB118_4:                              ; =>This Inner Loop Header: Depth=1
	s_cmp_lg_u32 s12, 1
	s_cselect_b32 s9, s9, 0
	s_cmp_lg_u32 s12, 0
	s_cselect_b32 s8, s8, 0
	s_add_u32 s12, s12, 1
	s_addc_u32 s13, s13, 0
	v_cmp_eq_u32_e32 vcc, s12, v2
	s_or_b64 s[10:11], vcc, s[10:11]
	v_mov_b64_e32 v[48:49], s[8:9]
	s_andn2_b64 exec, exec, s[10:11]
	s_cbranch_execnz .LBB118_4
; %bb.5:
	s_or_b64 exec, exec, s[10:11]
	v_mov_b32_e32 v50, s14
.LBB118_6:
	s_or_b64 exec, exec, s[6:7]
.LBB118_7:
	s_or_b64 exec, exec, s[2:3]
	s_lshl_b32 s2, s4, 1
	s_abs_i32 s3, s2
	v_cvt_f32_u32_e32 v2, s3
	s_sub_i32 s8, 0, s3
	s_abs_i32 s7, s23
	s_ashr_i32 s6, s23, 31
	v_rcp_iflag_f32_e32 v2, v2
	s_nop 0
	v_mul_f32_e32 v2, 0x4f7ffffe, v2
	v_cvt_u32_f32_e32 v2, v2
	s_nop 0
	v_readfirstlane_b32 s9, v2
	s_mul_i32 s8, s8, s9
	s_mul_hi_u32 s8, s9, s8
	s_add_i32 s9, s9, s8
	s_mul_hi_u32 s8, s7, s9
	s_mul_i32 s8, s8, s3
	s_sub_i32 s7, s7, s8
	s_sub_i32 s8, s7, s3
	s_cmp_ge_u32 s7, s3
	s_cselect_b32 s7, s8, s7
	s_sub_i32 s8, s7, s3
	s_cmp_ge_u32 s7, s3
	s_cselect_b32 s3, s8, s7
	s_xor_b32 s3, s3, s6
	s_sub_i32 s3, s3, s6
	s_add_i32 s2, s2, s23
	s_sub_i32 s2, s2, s3
	s_cmp_eq_u32 s3, 0
	s_cselect_b32 s33, s23, s2
	v_cmp_gt_u32_e32 vcc, s33, v50
	s_and_b64 exec, exec, vcc
	s_cbranch_execz .LBB118_56
; %bb.8:
	s_load_dwordx8 s[12:19], s[0:1], 0x10
	s_min_u32 s40, s22, 0x2000
	s_cmp_lg_u32 s20, 0
	s_load_dwordx2 s[10:11], s[0:1], 0x30
	s_cselect_b64 s[2:3], -1, 0
	s_cmp_lg_u32 s22, 0
	s_mul_i32 s0, s5, s4
	s_cselect_b64 s[6:7], -1, 0
	s_lshl_b32 s41, s4, 9
	s_add_i32 s42, s20, -8
	s_add_i32 s43, s23, -1
	s_lshl_b32 s44, s0, 1
	s_waitcnt lgkmcnt(0)
	s_cmp_lg_u64 s[18:19], 0
	s_cselect_b64 s[26:27], -1, 0
	s_abs_i32 s5, s13
	v_cvt_f32_u32_e32 v2, s12
	v_cvt_f32_u32_e32 v3, s5
	s_sub_i32 s8, 0, s12
	s_add_i32 s13, s23, -2
	v_rcp_iflag_f32_e32 v2, v2
	v_rcp_iflag_f32_e32 v3, v3
	v_and_b32_e32 v0, 0x3ff, v0
	v_lshlrev_b32_e32 v55, 3, v0
	v_mul_f32_e32 v2, 0x4f7ffffe, v2
	v_mul_f32_e32 v3, 0x4f7ffffe, v3
	v_cvt_u32_f32_e32 v2, v2
	v_cvt_u32_f32_e32 v3, v3
	v_cmp_eq_u32_e64 s[0:1], 63, v0
	v_lshlrev_b32_e32 v0, 4, v0
	v_mul_lo_u32 v4, s8, v2
	s_sub_i32 s8, 0, s5
	v_readfirstlane_b32 s9, v3
	s_mul_i32 s8, s8, s9
	s_mul_hi_u32 s8, s9, s8
	s_add_i32 s9, s9, s8
	s_sub_i32 s8, 1, s5
	s_cmp_lt_u32 s5, 2
	s_cselect_b32 s8, s8, 1
	s_sub_i32 s28, s8, s5
	s_cmp_ge_u32 s8, s5
	s_cselect_b32 s45, s28, s8
	s_lshr_b32 s8, s9, 31
	s_mul_i32 s8, s8, s5
	s_sub_i32 s8, 2, s8
	s_sub_i32 s28, s8, s5
	s_cmp_ge_u32 s8, s5
	s_cselect_b32 s8, s28, s8
	s_sub_i32 s28, s8, s5
	s_cmp_ge_u32 s8, s5
	s_cselect_b32 s46, s28, s8
	s_mul_hi_u32 s8, s9, 3
	s_mul_i32 s8, s8, s5
	s_sub_i32 s8, 3, s8
	s_sub_i32 s9, s8, s5
	s_cmp_ge_u32 s8, s5
	s_cselect_b32 s8, s9, s8
	s_sub_i32 s9, s8, s5
	s_cmp_ge_u32 s8, s5
	s_cselect_b32 s47, s9, s8
	s_add_u32 s28, s10, 2
	v_lshl_add_u32 v63, v1, 10, v0
	v_lshl_add_u32 v54, v1, 9, v55
	v_cndmask_b32_e64 v0, 0, 1, s[2:3]
	v_mul_hi_u32 v4, v2, v4
	s_addc_u32 s29, s11, 0
	s_lshl_b32 s49, s4, 10
	v_mad_u64_u32 v[56:57], s[4:5], s22, 3, v[54:55]
	v_cmp_ne_u32_e64 s[2:3], 1, v0
	v_cndmask_b32_e64 v0, 0, 1, s[6:7]
	s_mov_b64 s[24:25], 0
	v_add_u32_e32 v62, v2, v4
	v_mov_b32_e32 v53, 0
	s_mul_i32 s45, s45, s12
	s_mul_i32 s46, s46, s12
	;; [unrolled: 1-line block ×4, first 2 shown]
	s_lshl_b32 s50, s40, 2
	s_lshl_b32 s51, s40, 1
	v_lshl_add_u32 v64, s22, 1, v54
	v_add_u32_e32 v57, s22, v54
	v_cmp_ne_u32_e64 s[4:5], 1, v0
	s_branch .LBB118_12
.LBB118_9:                              ;   in Loop: Header=BB118_12 Depth=1
	s_or_b64 exec, exec, s[34:35]
	v_mov_b32_e32 v50, s13
.LBB118_10:                             ;   in Loop: Header=BB118_12 Depth=1
	s_or_b64 exec, exec, s[30:31]
.LBB118_11:                             ;   in Loop: Header=BB118_12 Depth=1
	s_or_b64 exec, exec, s[8:9]
	v_cmp_le_u32_e32 vcc, s33, v50
	s_or_b64 s[24:25], vcc, s[24:25]
	s_andn2_b64 exec, exec, s[24:25]
	s_cbranch_execz .LBB118_56
.LBB118_12:                             ; =>This Loop Header: Depth=1
                                        ;     Child Loop BB118_17 Depth 2
                                        ;       Child Loop BB118_22 Depth 3
                                        ;     Child Loop BB118_47 Depth 2
	s_mov_b32 s36, 0
	s_and_b64 vcc, exec, s[2:3]
	v_mov_b32_e32 v71, v53
	v_mov_b32_e32 v70, v53
	;; [unrolled: 1-line block ×8, first 2 shown]
	s_cbranch_vccnz .LBB118_29
; %bb.13:                               ;   in Loop: Header=BB118_12 Depth=1
	v_min_u32_e32 v0, s43, v50
	v_mul_lo_u32 v52, v0, s21
	v_add_u32_e32 v0, 1, v50
	v_min_u32_e32 v0, s43, v0
	v_mul_lo_u32 v0, v0, s21
	v_mov_b32_e32 v1, v53
	v_cmp_gt_u32_e64 s[6:7], s23, v50
	v_mov_b32_e32 v67, 0
	v_lshlrev_b64 v[58:59], 1, v[52:53]
	v_lshlrev_b64 v[60:61], 1, v[0:1]
	v_mov_b32_e32 v66, 0
	v_mov_b32_e32 v65, 0
	;; [unrolled: 1-line block ×7, first 2 shown]
	s_mov_b32 s37, 0
	s_branch .LBB118_17
.LBB118_14:                             ;   in Loop: Header=BB118_17 Depth=2
	s_or_b64 exec, exec, s[34:35]
.LBB118_15:                             ;   in Loop: Header=BB118_17 Depth=2
	s_or_b64 exec, exec, s[30:31]
	s_waitcnt vmcnt(3) lgkmcnt(3)
	;;#ASMSTART
	v_dot2c_f32_f16 v71, v44, v24
	;;#ASMEND
	s_waitcnt vmcnt(2)
	;;#ASMSTART
	v_dot2c_f32_f16 v70, v44, v20
	;;#ASMEND
	s_waitcnt lgkmcnt(2)
	;;#ASMSTART
	v_dot2c_f32_f16 v69, v40, v24
	;;#ASMEND
	;;#ASMSTART
	v_dot2c_f32_f16 v68, v40, v20
	;;#ASMEND
	s_waitcnt lgkmcnt(1)
	;;#ASMSTART
	v_dot2c_f32_f16 v67, v36, v24
	;;#ASMEND
	;; [unrolled: 7-line block ×3, first 2 shown]
	;;#ASMSTART
	v_dot2c_f32_f16 v51, v32, v20
	;;#ASMEND
	;;#ASMSTART
	v_dot2c_f32_f16 v71, v45, v25
	;;#ASMEND
	;;#ASMSTART
	v_dot2c_f32_f16 v70, v45, v21
	;;#ASMEND
	;;#ASMSTART
	v_dot2c_f32_f16 v69, v41, v25
	;;#ASMEND
	;;#ASMSTART
	v_dot2c_f32_f16 v68, v41, v21
	;;#ASMEND
	;;#ASMSTART
	v_dot2c_f32_f16 v67, v37, v25
	;;#ASMEND
	;;#ASMSTART
	v_dot2c_f32_f16 v66, v37, v21
	;;#ASMEND
	s_nop 0
	;;#ASMSTART
	v_dot2c_f32_f16 v65, v33, v25
	;;#ASMEND
	;;#ASMSTART
	v_dot2c_f32_f16 v51, v33, v21
	;;#ASMEND
	;;#ASMSTART
	v_dot2c_f32_f16 v71, v46, v26
	;;#ASMEND
	;;#ASMSTART
	v_dot2c_f32_f16 v70, v46, v22
	;;#ASMEND
	;;#ASMSTART
	v_dot2c_f32_f16 v69, v42, v26
	;;#ASMEND
	;;#ASMSTART
	v_dot2c_f32_f16 v68, v42, v22
	;;#ASMEND
	;;#ASMSTART
	v_dot2c_f32_f16 v67, v38, v26
	;;#ASMEND
	;;#ASMSTART
	v_dot2c_f32_f16 v66, v38, v22
	;;#ASMEND
	s_nop 0
	;;#ASMSTART
	v_dot2c_f32_f16 v65, v34, v26
	;;#ASMEND
	;; [unrolled: 25-line block ×3, first 2 shown]
	;;#ASMSTART
	v_dot2c_f32_f16 v51, v35, v23
	;;#ASMEND
	s_waitcnt vmcnt(1)
	;;#ASMSTART
	v_dot2c_f32_f16 v71, v28, v4
	;;#ASMEND
	s_waitcnt vmcnt(0)
	;;#ASMSTART
	v_dot2c_f32_f16 v70, v28, v0
	;;#ASMEND
	;;#ASMSTART
	v_dot2c_f32_f16 v69, v16, v4
	;;#ASMEND
	;;#ASMSTART
	v_dot2c_f32_f16 v68, v16, v0
	;;#ASMEND
	;;#ASMSTART
	v_dot2c_f32_f16 v67, v12, v4
	;;#ASMEND
	;;#ASMSTART
	v_dot2c_f32_f16 v66, v12, v0
	;;#ASMEND
	;;#ASMSTART
	v_dot2c_f32_f16 v65, v8, v4
	;;#ASMEND
	;;#ASMSTART
	v_dot2c_f32_f16 v51, v8, v0
	;;#ASMEND
	;;#ASMSTART
	v_dot2c_f32_f16 v71, v29, v5
	;;#ASMEND
	s_nop 0
	;;#ASMSTART
	v_dot2c_f32_f16 v70, v29, v1
	;;#ASMEND
	;;#ASMSTART
	v_dot2c_f32_f16 v69, v17, v5
	;;#ASMEND
	;;#ASMSTART
	v_dot2c_f32_f16 v68, v17, v1
	;;#ASMEND
	;;#ASMSTART
	v_dot2c_f32_f16 v67, v13, v5
	;;#ASMEND
	;;#ASMSTART
	v_dot2c_f32_f16 v66, v13, v1
	;;#ASMEND
	;;#ASMSTART
	v_dot2c_f32_f16 v65, v9, v5
	;;#ASMEND
	;;#ASMSTART
	v_dot2c_f32_f16 v51, v9, v1
	;;#ASMEND
	;;#ASMSTART
	v_dot2c_f32_f16 v71, v30, v6
	;;#ASMEND
	s_nop 0
	;; [unrolled: 25-line block ×3, first 2 shown]
	;;#ASMSTART
	v_dot2c_f32_f16 v70, v31, v3
	;;#ASMEND
	;;#ASMSTART
	v_dot2c_f32_f16 v69, v19, v7
	;;#ASMEND
	;; [unrolled: 3-line block ×7, first 2 shown]
.LBB118_16:                             ;   in Loop: Header=BB118_17 Depth=2
	s_or_b64 exec, exec, s[8:9]
	s_addk_i32 s37, 0x400
	s_cmp_ge_u32 s37, s20
	s_cbranch_scc1 .LBB118_29
.LBB118_17:                             ;   Parent Loop BB118_12 Depth=1
                                        ; =>  This Loop Header: Depth=2
                                        ;       Child Loop BB118_22 Depth 3
	s_cmp_eq_u32 s37, 0
	s_cselect_b64 s[8:9], -1, 0
	s_add_i32 s30, s36, s40
	s_cmp_eq_u32 s37, s30
	s_cselect_b64 s[34:35], -1, 0
	s_or_b64 s[34:35], s[8:9], s[34:35]
	s_andn2_b64 vcc, exec, s[34:35]
	s_cbranch_vccz .LBB118_19
; %bb.18:                               ;   in Loop: Header=BB118_17 Depth=2
	s_and_saveexec_b64 s[8:9], s[6:7]
	s_cbranch_execz .LBB118_16
	s_branch .LBB118_26
.LBB118_19:                             ;   in Loop: Header=BB118_17 Depth=2
	s_and_b64 s[8:9], s[8:9], exec
	s_cselect_b32 s36, s36, s30
	s_and_b64 vcc, exec, s[4:5]
	s_barrier
	s_cbranch_vccnz .LBB118_25
; %bb.20:                               ;   in Loop: Header=BB118_17 Depth=2
	v_add_u32_e32 v0, s36, v64
	v_add_u32_e32 v1, s36, v56
	;; [unrolled: 1-line block ×4, first 2 shown]
	s_mov_b32 s38, 0
	s_mov_b64 s[30:31], 0
	v_mov_b32_e32 v4, v63
                                        ; implicit-def: $sgpr34_sgpr35
	s_branch .LBB118_22
.LBB118_21:                             ;   in Loop: Header=BB118_22 Depth=3
	s_or_b64 exec, exec, s[8:9]
	s_and_b64 s[8:9], exec, s[34:35]
	s_or_b64 s[30:31], s[8:9], s[30:31]
	s_andn2_b64 exec, exec, s[30:31]
	s_cbranch_execz .LBB118_24
.LBB118_22:                             ;   Parent Loop BB118_12 Depth=1
                                        ;     Parent Loop BB118_17 Depth=2
                                        ; =>    This Inner Loop Header: Depth=3
	v_add_u32_e32 v5, s38, v54
	v_add_u32_e32 v52, s38, v3
	v_cmp_gt_u32_e32 vcc, s22, v52
	v_cmp_gt_u32_e64 s[8:9], s40, v5
	s_and_b64 s[52:53], s[8:9], vcc
	s_or_b64 s[34:35], s[34:35], exec
	s_and_saveexec_b64 s[8:9], s[52:53]
	s_cbranch_execz .LBB118_21
; %bb.23:                               ;   in Loop: Header=BB118_22 Depth=3
	v_lshl_add_u64 v[6:7], v[52:53], 1, s[16:17]
	v_add_u32_e32 v52, s38, v2
	v_lshl_add_u64 v[10:11], v[52:53], 1, s[16:17]
	v_add_u32_e32 v52, s38, v0
	global_load_dwordx4 v[6:9], v[6:7], off
	s_nop 0
	global_load_dwordx4 v[10:13], v[10:11], off
	v_lshl_add_u64 v[14:15], v[52:53], 1, s[16:17]
	v_add_u32_e32 v52, s38, v1
	global_load_dwordx4 v[14:17], v[14:15], off
	s_waitcnt vmcnt(5)
	v_lshl_add_u64 v[18:19], v[52:53], 1, s[16:17]
	global_load_dwordx4 v[18:21], v[18:19], off
	s_add_i32 s38, s38, s41
	s_cmp_ge_u32 s38, s40
	s_cselect_b64 s[52:53], -1, 0
	s_andn2_b64 s[34:35], s[34:35], exec
	s_and_b64 s[52:53], s[52:53], exec
	v_add_u32_e32 v5, s51, v4
	v_add_u32_e32 v22, s50, v4
	;; [unrolled: 1-line block ×3, first 2 shown]
	s_or_b64 s[34:35], s[34:35], s[52:53]
	s_waitcnt vmcnt(3)
	ds_write_b128 v4, v[6:9]
	v_add_u32_e32 v4, s49, v4
	s_waitcnt vmcnt(2)
	ds_write2_b64 v5, v[10:11], v[12:13] offset1:1
	s_waitcnt vmcnt(1)
	ds_write2_b32 v22, v14, v15 offset1:1
	ds_write2_b32 v22, v16, v17 offset0:2 offset1:3
	s_waitcnt vmcnt(0)
	ds_write2_b64 v23, v[18:19], v[20:21] offset1:1
	s_branch .LBB118_21
.LBB118_24:                             ;   in Loop: Header=BB118_17 Depth=2
	s_or_b64 exec, exec, s[30:31]
.LBB118_25:                             ;   in Loop: Header=BB118_17 Depth=2
	s_waitcnt lgkmcnt(0)
	s_barrier
	s_and_saveexec_b64 s[8:9], s[6:7]
	s_cbranch_execz .LBB118_16
.LBB118_26:                             ;   in Loop: Header=BB118_17 Depth=2
	v_add_u32_e32 v72, s37, v55
	v_min_u32_e32 v52, s42, v72
	v_lshl_add_u64 v[0:1], v[52:53], 1, s[14:15]
	v_add_u32_e32 v73, 0x200, v72
	v_lshl_add_u64 v[2:3], v[0:1], 0, v[58:59]
	v_lshl_add_u64 v[0:1], v[0:1], 0, v[60:61]
	v_min_u32_e32 v52, s42, v73
	global_load_dwordx4 v[24:27], v[2:3], off nt
	global_load_dwordx4 v[20:23], v[0:1], off nt
	v_lshl_add_u64 v[0:1], v[52:53], 1, s[14:15]
	v_lshl_add_u64 v[8:9], v[0:1], 0, v[58:59]
	;; [unrolled: 1-line block ×3, first 2 shown]
	global_load_dwordx4 v[4:7], v[8:9], off nt
	global_load_dwordx4 v[0:3], v[10:11], off nt
	v_cmp_gt_u32_e32 vcc, s20, v72
	v_mov_b32_e32 v44, 0
	v_mov_b32_e32 v45, 0
	;; [unrolled: 1-line block ×20, first 2 shown]
	s_waitcnt vmcnt(4)
	v_mov_b32_e32 v16, 0
	v_mov_b32_e32 v17, 0
	;; [unrolled: 1-line block ×12, first 2 shown]
	s_and_saveexec_b64 s[30:31], vcc
	s_cbranch_execz .LBB118_15
; %bb.27:                               ;   in Loop: Header=BB118_17 Depth=2
	v_subrev_u32_e32 v8, s36, v72
	v_lshlrev_b32_e32 v75, 1, v8
	v_add_u32_e32 v74, s51, v75
	v_add_u32_e32 v72, s51, v74
	ds_read_b128 v[44:47], v75
	ds_read_b128 v[40:43], v74
	v_add_u32_e32 v52, s51, v72
	ds_read_b128 v[36:39], v72
	ds_read_b128 v[32:35], v52
	v_cmp_gt_u32_e32 vcc, s20, v73
	v_mov_b32_e32 v11, 0
	v_mov_b32_e32 v10, 0
	;; [unrolled: 1-line block ×16, first 2 shown]
	s_and_saveexec_b64 s[34:35], vcc
	s_cbranch_execz .LBB118_14
; %bb.28:                               ;   in Loop: Header=BB118_17 Depth=2
	ds_read_b128 v[28:31], v75 offset:1024
	ds_read_b128 v[16:19], v74 offset:1024
	;; [unrolled: 1-line block ×4, first 2 shown]
	s_branch .LBB118_14
.LBB118_29:                             ;   in Loop: Header=BB118_12 Depth=1
	v_cmp_le_u32_e32 vcc, s23, v50
	s_and_saveexec_b64 s[6:7], vcc
	s_xor_b64 s[6:7], exec, s[6:7]
; %bb.30:                               ;   in Loop: Header=BB118_12 Depth=1
	v_add_u32_e32 v50, s44, v50
                                        ; implicit-def: $vgpr71
                                        ; implicit-def: $vgpr70
                                        ; implicit-def: $vgpr69
                                        ; implicit-def: $vgpr68
                                        ; implicit-def: $vgpr51
                                        ; implicit-def: $vgpr65
                                        ; implicit-def: $vgpr66
                                        ; implicit-def: $vgpr67
; %bb.31:                               ;   in Loop: Header=BB118_12 Depth=1
	s_andn2_saveexec_b64 s[8:9], s[6:7]
	s_cbranch_execz .LBB118_11
; %bb.32:                               ;   in Loop: Header=BB118_12 Depth=1
	v_cvt_i32_f32_e32 v0, v71
	v_cvt_i32_f32_e32 v1, v70
	;; [unrolled: 1-line block ×4, first 2 shown]
	v_cvt_f32_i32_dpp v0, v0 row_shr:8 row_mask:0xf bank_mask:0xf bound_ctrl:1
	v_cvt_f32_i32_dpp v1, v1 row_shr:8 row_mask:0xf bank_mask:0xf bound_ctrl:1
	;; [unrolled: 1-line block ×4, first 2 shown]
	v_add_f32_e32 v0, v71, v0
	v_cvt_i32_f32_e32 v4, v0
	v_add_f32_e32 v1, v70, v1
	v_cvt_i32_f32_e32 v5, v1
	v_add_f32_e32 v2, v69, v2
	v_cvt_f32_i32_dpp v4, v4 row_shr:4 row_mask:0xf bank_mask:0xf bound_ctrl:1
	v_add_f32_e32 v3, v68, v3
	v_cvt_f32_i32_dpp v5, v5 row_shr:4 row_mask:0xf bank_mask:0xf bound_ctrl:1
	v_cvt_i32_f32_e32 v6, v2
	v_add_f32_e32 v0, v0, v4
	v_cvt_i32_f32_e32 v4, v0
	v_add_f32_e32 v1, v1, v5
	v_cvt_i32_f32_e32 v5, v1
	v_cvt_i32_f32_e32 v7, v3
	v_cvt_f32_i32_dpp v4, v4 row_shr:2 row_mask:0xf bank_mask:0xf bound_ctrl:1
	v_cvt_f32_i32_dpp v6, v6 row_shr:4 row_mask:0xf bank_mask:0xf bound_ctrl:1
	;; [unrolled: 1-line block ×4, first 2 shown]
	v_add_f32_e32 v0, v0, v4
	v_cvt_i32_f32_e32 v4, v0
	v_add_f32_e32 v2, v2, v6
	v_add_f32_e32 v1, v1, v5
	;; [unrolled: 1-line block ×3, first 2 shown]
	v_cvt_f32_i32_dpp v4, v4 row_shr:1 row_mask:0xf bank_mask:0xf bound_ctrl:1
	v_cvt_i32_f32_e32 v3, v2
	v_cvt_i32_f32_e32 v5, v1
	v_cvt_i32_f32_e32 v6, v7
	v_add_f32_e32 v0, v0, v4
	v_cvt_f32_i32_dpp v3, v3 row_shr:2 row_mask:0xf bank_mask:0xf bound_ctrl:1
	v_cvt_i32_f32_e32 v4, v0
	v_cvt_f32_i32_dpp v5, v5 row_shr:1 row_mask:0xf bank_mask:0xf bound_ctrl:1
	v_cvt_f32_i32_dpp v8, v6 row_shr:2 row_mask:0xf bank_mask:0xf bound_ctrl:1
	v_add_f32_e32 v2, v2, v3
	v_cvt_f32_i32_dpp v3, v4 row_bcast:15 row_mask:0xf bank_mask:0xf bound_ctrl:1
	v_add_f32_e32 v1, v1, v5
	v_cvt_i32_f32_e32 v4, v1
	v_cvt_i32_f32_e32 v5, v2
	v_add_f32_e32 v3, v0, v3
	v_cvt_i32_f32_e32 v0, v3
	v_cvt_f32_i32_dpp v4, v4 row_bcast:15 row_mask:0xf bank_mask:0xf bound_ctrl:1
	v_cvt_f32_i32_dpp v5, v5 row_shr:1 row_mask:0xf bank_mask:0xf bound_ctrl:1
	v_mov_b32_dpp v6, v0 row_bcast:31 row_mask:0xf bank_mask:0xf bound_ctrl:1
	v_add_f32_e32 v0, v1, v4
	v_add_f32_e32 v1, v2, v5
	v_cvt_i32_f32_e32 v2, v67
	v_add_f32_e32 v4, v7, v8
	v_cvt_i32_f32_e32 v5, v4
	v_cvt_i32_f32_e32 v7, v1
	v_cvt_f32_i32_dpp v2, v2 row_shr:8 row_mask:0xf bank_mask:0xf bound_ctrl:1
	v_cvt_i32_f32_e32 v8, v0
	v_cvt_f32_i32_dpp v5, v5 row_shr:1 row_mask:0xf bank_mask:0xf bound_ctrl:1
	v_cvt_f32_i32_dpp v7, v7 row_bcast:15 row_mask:0xf bank_mask:0xf bound_ctrl:1
	v_add_f32_e32 v2, v67, v2
	v_cvt_i32_f32_e32 v9, v2
	v_add_f32_e32 v4, v4, v5
	v_cvt_i32_f32_e32 v5, v4
	v_add_f32_e32 v1, v1, v7
	v_cvt_f32_i32_dpp v9, v9 row_shr:4 row_mask:0xf bank_mask:0xf bound_ctrl:1
	v_cvt_i32_f32_e32 v7, v66
	v_cvt_f32_i32_dpp v5, v5 row_bcast:15 row_mask:0xf bank_mask:0xf bound_ctrl:1
	v_cvt_i32_f32_e32 v11, v1
	v_add_f32_e32 v9, v2, v9
	v_cvt_i32_f32_e32 v10, v9
	v_cvt_f32_i32_dpp v7, v7 row_shr:8 row_mask:0xf bank_mask:0xf bound_ctrl:1
	v_add_f32_e32 v2, v4, v5
	v_cvt_i32_f32_e32 v5, v2
	v_cvt_f32_i32_dpp v4, v10 row_shr:2 row_mask:0xf bank_mask:0xf bound_ctrl:1
	v_add_f32_e32 v7, v66, v7
	v_cvt_i32_f32_e32 v12, v7
	v_mov_b32_dpp v10, v11 row_bcast:31 row_mask:0xf bank_mask:0xf bound_ctrl:1
	v_add_f32_e32 v4, v9, v4
	v_cvt_i32_f32_e32 v9, v4
	v_cvt_f32_i32_dpp v11, v12 row_shr:4 row_mask:0xf bank_mask:0xf bound_ctrl:1
	v_cvt_i32_f32_e32 v12, v65
	v_mov_b32_dpp v8, v8 row_bcast:31 row_mask:0xf bank_mask:0xf bound_ctrl:1
	v_cvt_f32_i32_dpp v9, v9 row_shr:1 row_mask:0xf bank_mask:0xf bound_ctrl:1
	v_add_f32_e32 v7, v7, v11
	v_cvt_i32_f32_e32 v11, v51
	v_cvt_f32_i32_dpp v12, v12 row_shr:8 row_mask:0xf bank_mask:0xf bound_ctrl:1
	v_add_f32_e32 v4, v4, v9
	v_cvt_i32_f32_e32 v13, v7
	;; [unrolled: 3-line block ×4, first 2 shown]
	v_cvt_i32_f32_e32 v14, v9
	v_add_f32_e32 v7, v7, v11
	v_cvt_f32_i32_dpp v15, v15 row_bcast:15 row_mask:0xf bank_mask:0xf bound_ctrl:1
	v_cvt_f32_i32_dpp v13, v13 row_shr:4 row_mask:0xf bank_mask:0xf bound_ctrl:1
	v_cvt_f32_i32_dpp v11, v14 row_shr:4 row_mask:0xf bank_mask:0xf bound_ctrl:1
	v_cvt_i32_f32_e32 v14, v7
	v_mov_b32_dpp v5, v5 row_bcast:31 row_mask:0xf bank_mask:0xf bound_ctrl:1
	v_add_f32_e32 v12, v12, v13
	v_add_f32_e32 v9, v9, v11
	v_cvt_i32_f32_e32 v13, v12
	v_cvt_i32_f32_e32 v11, v9
	v_cvt_f32_i32_dpp v14, v14 row_shr:1 row_mask:0xf bank_mask:0xf bound_ctrl:1
	v_cvt_f32_i32_dpp v13, v13 row_shr:2 row_mask:0xf bank_mask:0xf bound_ctrl:1
	;; [unrolled: 1-line block ×3, first 2 shown]
	v_add_f32_e32 v7, v7, v14
	v_cvt_i32_f32_e32 v14, v7
	v_add_f32_e32 v12, v12, v13
	v_add_f32_e32 v9, v9, v11
	v_cvt_i32_f32_e32 v13, v12
	v_cvt_i32_f32_e32 v11, v9
	s_waitcnt vmcnt(0)
	v_cvt_f32_i32_dpp v16, v13 row_shr:1 row_mask:0xf bank_mask:0xf bound_ctrl:1
	v_add_f32_e32 v13, v4, v15
	v_cvt_f32_i32_dpp v4, v11 row_shr:1 row_mask:0xf bank_mask:0xf bound_ctrl:1
	v_cvt_f32_i32_dpp v11, v14 row_bcast:15 row_mask:0xf bank_mask:0xf bound_ctrl:1
	v_add_f32_e32 v14, v12, v16
	v_cvt_i32_f32_e32 v12, v14
	v_add_f32_e32 v4, v9, v4
	v_cvt_i32_f32_e32 v9, v4
	v_cvt_i32_f32_e32 v15, v13
	v_cvt_f32_i32_dpp v16, v12 row_bcast:15 row_mask:0xf bank_mask:0xf bound_ctrl:1
	v_add_f32_e32 v12, v7, v11
	v_cvt_f32_i32_dpp v7, v9 row_bcast:15 row_mask:0xf bank_mask:0xf bound_ctrl:1
	v_cvt_i32_f32_e32 v11, v12
	v_add_f32_e32 v9, v14, v16
	v_cvt_i32_f32_e32 v16, v9
	v_add_f32_e32 v4, v4, v7
	v_cvt_i32_f32_e32 v7, v4
	v_mov_b32_dpp v15, v15 row_bcast:31 row_mask:0xf bank_mask:0xf bound_ctrl:1
	v_mov_b32_dpp v14, v11 row_bcast:31 row_mask:0xf bank_mask:0xf bound_ctrl:1
	;; [unrolled: 1-line block ×4, first 2 shown]
	s_and_saveexec_b64 s[30:31], s[0:1]
	s_cbranch_execz .LBB118_44
; %bb.33:                               ;   in Loop: Header=BB118_12 Depth=1
	s_andn2_b64 vcc, exec, s[26:27]
	v_mov_b32_e32 v23, 0
	v_mov_b32_e32 v22, 0
	;; [unrolled: 1-line block ×8, first 2 shown]
	s_cbranch_vccnz .LBB118_35
; %bb.34:                               ;   in Loop: Header=BB118_12 Depth=1
	v_mul_hi_u32 v16, v50, v62
	v_mul_lo_u32 v16, v16, s12
	v_sub_u32_e32 v16, v50, v16
	v_subrev_u32_e32 v17, s12, v16
	v_cmp_le_u32_e32 vcc, s12, v16
	v_mov_b32_e32 v19, v53
	s_nop 0
	v_cndmask_b32_e32 v16, v16, v17, vcc
	v_subrev_u32_e32 v17, s12, v16
	v_cmp_le_u32_e32 vcc, s12, v16
	s_nop 1
	v_cndmask_b32_e32 v52, v16, v17, vcc
	v_add_u32_e32 v16, 1, v50
	v_mul_hi_u32 v17, v16, v62
	v_mul_lo_u32 v17, v17, s12
	v_sub_u32_e32 v16, v16, v17
	v_subrev_u32_e32 v17, s12, v16
	v_cmp_le_u32_e32 vcc, s12, v16
	v_add_u32_e32 v18, s45, v52
	v_lshl_add_u64 v[28:29], v[18:19], 1, s[18:19]
	v_cndmask_b32_e32 v16, v16, v17, vcc
	v_subrev_u32_e32 v17, s12, v16
	v_cmp_le_u32_e32 vcc, s12, v16
	v_lshl_add_u64 v[24:25], v[52:53], 1, s[18:19]
	s_nop 0
	v_cndmask_b32_e32 v16, v16, v17, vcc
	v_add_u32_e32 v18, s45, v16
	v_lshl_add_u64 v[30:31], v[18:19], 1, s[18:19]
	v_add_u32_e32 v18, s46, v52
	v_add_u32_e32 v52, s47, v52
	v_mov_b32_e32 v17, v53
	v_lshl_add_u64 v[32:33], v[18:19], 1, s[18:19]
	v_add_u32_e32 v18, s46, v16
	v_lshl_add_u64 v[36:37], v[52:53], 1, s[18:19]
	v_add_u32_e32 v52, s47, v16
	v_lshl_add_u64 v[26:27], v[16:17], 1, s[18:19]
	v_lshl_add_u64 v[34:35], v[18:19], 1, s[18:19]
	;; [unrolled: 1-line block ×3, first 2 shown]
	global_load_ushort v23, v[24:25], off
	global_load_ushort v22, v[26:27], off
	;; [unrolled: 1-line block ×8, first 2 shown]
.LBB118_35:                             ;   in Loop: Header=BB118_12 Depth=1
	v_cmp_ne_u32_e32 vcc, 0, v48
	s_and_saveexec_b64 s[6:7], vcc
	s_cbranch_execnz .LBB118_49
; %bb.36:                               ;   in Loop: Header=BB118_12 Depth=1
	s_or_b64 exec, exec, s[6:7]
	v_cmp_ne_u32_e64 s[6:7], 0, v49
	s_and_saveexec_b64 s[34:35], s[6:7]
	s_cbranch_execnz .LBB118_50
.LBB118_37:                             ;   in Loop: Header=BB118_12 Depth=1
	s_or_b64 exec, exec, s[34:35]
	v_add_u32_e32 v52, s23, v50
	s_and_saveexec_b64 s[34:35], vcc
	s_cbranch_execnz .LBB118_51
.LBB118_38:                             ;   in Loop: Header=BB118_12 Depth=1
	s_or_b64 exec, exec, s[34:35]
	s_and_saveexec_b64 s[34:35], s[6:7]
	s_cbranch_execnz .LBB118_52
.LBB118_39:                             ;   in Loop: Header=BB118_12 Depth=1
	s_or_b64 exec, exec, s[34:35]
	v_add_u32_e32 v52, s23, v52
	s_and_saveexec_b64 s[34:35], vcc
	s_cbranch_execnz .LBB118_53
.LBB118_40:                             ;   in Loop: Header=BB118_12 Depth=1
	s_or_b64 exec, exec, s[34:35]
	s_and_saveexec_b64 s[34:35], s[6:7]
	s_cbranch_execnz .LBB118_54
.LBB118_41:                             ;   in Loop: Header=BB118_12 Depth=1
	s_or_b64 exec, exec, s[34:35]
	v_add_u32_e32 v52, s23, v52
	s_and_saveexec_b64 s[34:35], vcc
	s_cbranch_execnz .LBB118_55
.LBB118_42:                             ;   in Loop: Header=BB118_12 Depth=1
	s_or_b64 exec, exec, s[34:35]
	s_and_b64 exec, exec, s[6:7]
	s_cbranch_execz .LBB118_44
.LBB118_43:                             ;   in Loop: Header=BB118_12 Depth=1
	v_cvt_f32_i32_e32 v0, v7
	s_waitcnt vmcnt(0)
	v_cvt_f32_f16_e32 v1, v16
	v_add_u32_e32 v52, 1, v52
	v_add_f32_e32 v0, v4, v0
	v_add_f32_e32 v0, v0, v1
	v_cvt_f16_f32_e32 v2, v0
	v_lshl_add_u64 v[0:1], v[52:53], 1, s[10:11]
	global_store_short v[0:1], v2, off
.LBB118_44:                             ;   in Loop: Header=BB118_12 Depth=1
	s_or_b64 exec, exec, s[30:31]
	v_add_u32_e32 v50, s44, v50
	v_add_u32_e32 v0, 2, v50
	v_cmp_gt_u32_e32 vcc, s23, v50
	v_cmp_le_u32_e64 s[6:7], s23, v0
	s_and_b64 s[6:7], vcc, s[6:7]
	s_and_saveexec_b64 s[30:31], s[6:7]
	s_cbranch_execz .LBB118_10
; %bb.45:                               ;   in Loop: Header=BB118_12 Depth=1
	v_cmp_ne_u32_e32 vcc, s13, v50
	s_and_saveexec_b64 s[34:35], vcc
	s_cbranch_execz .LBB118_9
; %bb.46:                               ;   in Loop: Header=BB118_12 Depth=1
	v_subrev_u32_e32 v0, s13, v50
	v_cmp_lt_u32_e32 vcc, 1, v0
	s_mov_b64 s[36:37], 0
	s_mov_b64 s[38:39], 0
	v_cndmask_b32_e32 v0, 1, v0, vcc
.LBB118_47:                             ;   Parent Loop BB118_12 Depth=1
                                        ; =>  This Inner Loop Header: Depth=2
	s_cmp_lg_u32 s38, 1
	s_cselect_b64 vcc, -1, 0
	s_cmp_lg_u32 s38, 0
	v_cndmask_b32_e32 v49, 0, v49, vcc
	s_cselect_b64 vcc, -1, 0
	s_add_u32 s38, s38, 1
	s_addc_u32 s39, s39, 0
	v_cmp_eq_u32_e64 s[6:7], s38, v0
	s_or_b64 s[36:37], s[6:7], s[36:37]
	v_cndmask_b32_e32 v48, 0, v48, vcc
	s_andn2_b64 exec, exec, s[36:37]
	s_cbranch_execnz .LBB118_47
; %bb.48:                               ;   in Loop: Header=BB118_12 Depth=1
	s_or_b64 exec, exec, s[36:37]
	s_branch .LBB118_9
.LBB118_49:                             ;   in Loop: Header=BB118_12 Depth=1
	v_cvt_f32_i32_e32 v6, v6
	s_waitcnt vmcnt(7)
	v_cvt_f32_f16_e32 v23, v23
	v_mov_b32_e32 v51, v53
	v_lshl_add_u64 v[24:25], v[50:51], 1, s[10:11]
	v_add_f32_e32 v3, v3, v6
	v_add_f32_e32 v3, v3, v23
	v_cvt_f16_f32_e32 v3, v3
	global_store_short v[24:25], v3, off
	s_or_b64 exec, exec, s[6:7]
	v_cmp_ne_u32_e64 s[6:7], 0, v49
	s_and_saveexec_b64 s[34:35], s[6:7]
	s_cbranch_execz .LBB118_37
.LBB118_50:                             ;   in Loop: Header=BB118_12 Depth=1
	v_cvt_f32_i32_e32 v3, v8
	s_waitcnt vmcnt(6)
	v_cvt_f32_f16_e32 v6, v22
	v_mov_b32_e32 v51, v53
	v_lshl_add_u64 v[22:23], v[50:51], 1, s[28:29]
	v_add_f32_e32 v0, v0, v3
	v_add_f32_e32 v0, v0, v6
	v_cvt_f16_f32_e32 v0, v0
	global_store_short v[22:23], v0, off
	s_or_b64 exec, exec, s[34:35]
	v_add_u32_e32 v52, s23, v50
	s_and_saveexec_b64 s[34:35], vcc
	s_cbranch_execz .LBB118_38
.LBB118_51:                             ;   in Loop: Header=BB118_12 Depth=1
	v_cvt_f32_i32_e32 v0, v10
	s_waitcnt vmcnt(5)
	v_cvt_f32_f16_e32 v3, v21
	v_add_f32_e32 v0, v1, v0
	v_add_f32_e32 v0, v0, v3
	v_cvt_f16_f32_e32 v3, v0
	v_lshl_add_u64 v[0:1], v[52:53], 1, s[10:11]
	global_store_short v[0:1], v3, off
	s_or_b64 exec, exec, s[34:35]
	s_and_saveexec_b64 s[34:35], s[6:7]
	s_cbranch_execz .LBB118_39
.LBB118_52:                             ;   in Loop: Header=BB118_12 Depth=1
	v_cvt_f32_i32_e32 v0, v5
	s_waitcnt vmcnt(4)
	v_cvt_f32_f16_e32 v1, v20
	v_add_f32_e32 v0, v2, v0
	v_add_f32_e32 v0, v0, v1
	v_cvt_f16_f32_e32 v2, v0
	v_add_u32_e32 v0, 1, v52
	v_mov_b32_e32 v1, v53
	v_lshl_add_u64 v[0:1], v[0:1], 1, s[10:11]
	global_store_short v[0:1], v2, off
	s_or_b64 exec, exec, s[34:35]
	v_add_u32_e32 v52, s23, v52
	s_and_saveexec_b64 s[34:35], vcc
	s_cbranch_execz .LBB118_40
.LBB118_53:                             ;   in Loop: Header=BB118_12 Depth=1
	v_cvt_f32_i32_e32 v0, v15
	s_waitcnt vmcnt(3)
	v_cvt_f32_f16_e32 v1, v19
	v_add_f32_e32 v0, v13, v0
	v_add_f32_e32 v0, v0, v1
	v_cvt_f16_f32_e32 v2, v0
	v_lshl_add_u64 v[0:1], v[52:53], 1, s[10:11]
	global_store_short v[0:1], v2, off
	s_or_b64 exec, exec, s[34:35]
	s_and_saveexec_b64 s[34:35], s[6:7]
	s_cbranch_execz .LBB118_41
.LBB118_54:                             ;   in Loop: Header=BB118_12 Depth=1
	v_cvt_f32_i32_e32 v0, v14
	s_waitcnt vmcnt(2)
	v_cvt_f32_f16_e32 v1, v18
	v_add_f32_e32 v0, v12, v0
	v_add_f32_e32 v0, v0, v1
	v_cvt_f16_f32_e32 v2, v0
	v_add_u32_e32 v0, 1, v52
	v_mov_b32_e32 v1, v53
	v_lshl_add_u64 v[0:1], v[0:1], 1, s[10:11]
	global_store_short v[0:1], v2, off
	s_or_b64 exec, exec, s[34:35]
	v_add_u32_e32 v52, s23, v52
	s_and_saveexec_b64 s[34:35], vcc
	s_cbranch_execz .LBB118_42
.LBB118_55:                             ;   in Loop: Header=BB118_12 Depth=1
	v_cvt_f32_i32_e32 v0, v11
	s_waitcnt vmcnt(1)
	v_cvt_f32_f16_e32 v1, v17
	v_add_f32_e32 v0, v9, v0
	v_add_f32_e32 v0, v0, v1
	v_cvt_f16_f32_e32 v2, v0
	v_lshl_add_u64 v[0:1], v[52:53], 1, s[10:11]
	global_store_short v[0:1], v2, off
	s_or_b64 exec, exec, s[34:35]
	s_and_b64 exec, exec, s[6:7]
	s_cbranch_execnz .LBB118_43
	s_branch .LBB118_44
.LBB118_56:
	s_endpgm
	.section	.rodata,"a",@progbits
	.p2align	6, 0x0
	.amdhsa_kernel _Z16wvSplitK_hf_big_I6__halfLi64ELi2ELi16ELi8ELi2ELi4EEviiiiiiPKT_S3_S3_PS1_ii
		.amdhsa_group_segment_fixed_size 65536
		.amdhsa_private_segment_fixed_size 0
		.amdhsa_kernarg_size 64
		.amdhsa_user_sgpr_count 2
		.amdhsa_user_sgpr_dispatch_ptr 0
		.amdhsa_user_sgpr_queue_ptr 0
		.amdhsa_user_sgpr_kernarg_segment_ptr 1
		.amdhsa_user_sgpr_dispatch_id 0
		.amdhsa_user_sgpr_kernarg_preload_length 0
		.amdhsa_user_sgpr_kernarg_preload_offset 0
		.amdhsa_user_sgpr_private_segment_size 0
		.amdhsa_uses_dynamic_stack 0
		.amdhsa_enable_private_segment 0
		.amdhsa_system_sgpr_workgroup_id_x 1
		.amdhsa_system_sgpr_workgroup_id_y 0
		.amdhsa_system_sgpr_workgroup_id_z 0
		.amdhsa_system_sgpr_workgroup_info 0
		.amdhsa_system_vgpr_workitem_id 1
		.amdhsa_next_free_vgpr 76
		.amdhsa_next_free_sgpr 54
		.amdhsa_accum_offset 76
		.amdhsa_reserve_vcc 1
		.amdhsa_float_round_mode_32 0
		.amdhsa_float_round_mode_16_64 0
		.amdhsa_float_denorm_mode_32 3
		.amdhsa_float_denorm_mode_16_64 3
		.amdhsa_dx10_clamp 1
		.amdhsa_ieee_mode 1
		.amdhsa_fp16_overflow 0
		.amdhsa_tg_split 0
		.amdhsa_exception_fp_ieee_invalid_op 0
		.amdhsa_exception_fp_denorm_src 0
		.amdhsa_exception_fp_ieee_div_zero 0
		.amdhsa_exception_fp_ieee_overflow 0
		.amdhsa_exception_fp_ieee_underflow 0
		.amdhsa_exception_fp_ieee_inexact 0
		.amdhsa_exception_int_div_zero 0
	.end_amdhsa_kernel
	.section	.text._Z16wvSplitK_hf_big_I6__halfLi64ELi2ELi16ELi8ELi2ELi4EEviiiiiiPKT_S3_S3_PS1_ii,"axG",@progbits,_Z16wvSplitK_hf_big_I6__halfLi64ELi2ELi16ELi8ELi2ELi4EEviiiiiiPKT_S3_S3_PS1_ii,comdat
.Lfunc_end118:
	.size	_Z16wvSplitK_hf_big_I6__halfLi64ELi2ELi16ELi8ELi2ELi4EEviiiiiiPKT_S3_S3_PS1_ii, .Lfunc_end118-_Z16wvSplitK_hf_big_I6__halfLi64ELi2ELi16ELi8ELi2ELi4EEviiiiiiPKT_S3_S3_PS1_ii
                                        ; -- End function
	.section	.AMDGPU.csdata,"",@progbits
; Kernel info:
; codeLenInByte = 4044
; NumSgprs: 60
; NumVgprs: 76
; NumAgprs: 0
; TotalNumVgprs: 76
; ScratchSize: 0
; MemoryBound: 0
; FloatMode: 240
; IeeeMode: 1
; LDSByteSize: 65536 bytes/workgroup (compile time only)
; SGPRBlocks: 7
; VGPRBlocks: 9
; NumSGPRsForWavesPerEU: 60
; NumVGPRsForWavesPerEU: 76
; AccumOffset: 76
; Occupancy: 4
; WaveLimiterHint : 0
; COMPUTE_PGM_RSRC2:SCRATCH_EN: 0
; COMPUTE_PGM_RSRC2:USER_SGPR: 2
; COMPUTE_PGM_RSRC2:TRAP_HANDLER: 0
; COMPUTE_PGM_RSRC2:TGID_X_EN: 1
; COMPUTE_PGM_RSRC2:TGID_Y_EN: 0
; COMPUTE_PGM_RSRC2:TGID_Z_EN: 0
; COMPUTE_PGM_RSRC2:TIDIG_COMP_CNT: 1
; COMPUTE_PGM_RSRC3_GFX90A:ACCUM_OFFSET: 18
; COMPUTE_PGM_RSRC3_GFX90A:TG_SPLIT: 0
	.section	.text._Z16wvSplitK_hf_sml_I6__halfLi64ELi3ELi16ELi8ELi2ELi4EEviiiiiiPKT_S3_S3_PS1_ii,"axG",@progbits,_Z16wvSplitK_hf_sml_I6__halfLi64ELi3ELi16ELi8ELi2ELi4EEviiiiiiPKT_S3_S3_PS1_ii,comdat
	.protected	_Z16wvSplitK_hf_sml_I6__halfLi64ELi3ELi16ELi8ELi2ELi4EEviiiiiiPKT_S3_S3_PS1_ii ; -- Begin function _Z16wvSplitK_hf_sml_I6__halfLi64ELi3ELi16ELi8ELi2ELi4EEviiiiiiPKT_S3_S3_PS1_ii
	.globl	_Z16wvSplitK_hf_sml_I6__halfLi64ELi3ELi16ELi8ELi2ELi4EEviiiiiiPKT_S3_S3_PS1_ii
	.p2align	8
	.type	_Z16wvSplitK_hf_sml_I6__halfLi64ELi3ELi16ELi8ELi2ELi4EEviiiiiiPKT_S3_S3_PS1_ii,@function
_Z16wvSplitK_hf_sml_I6__halfLi64ELi3ELi16ELi8ELi2ELi4EEviiiiiiPKT_S3_S3_PS1_ii: ; @_Z16wvSplitK_hf_sml_I6__halfLi64ELi3ELi16ELi8ELi2ELi4EEviiiiiiPKT_S3_S3_PS1_ii
; %bb.0:
	s_load_dwordx4 s[4:7], s[0:1], 0x0
	s_load_dwordx2 s[8:9], s[0:1], 0x10
	s_load_dwordx2 s[10:11], s[0:1], 0x28
	v_and_b32_e32 v2, 0x3ff, v0
	v_bfe_u32 v3, v0, 10, 10
	v_lshlrev_b32_e32 v70, 3, v2
	s_waitcnt lgkmcnt(0)
	s_lshl_b32 s24, s6, 2
	v_lshl_add_u32 v4, v3, 9, v70
	s_min_u32 s3, s24, 0x8000
	v_cmp_gt_u32_e32 vcc, s3, v4
	s_and_saveexec_b64 s[12:13], vcc
	s_cbranch_execz .LBB119_3
; %bb.1:
	s_load_dwordx2 s[14:15], s[0:1], 0x20
	v_mov_b32_e32 v7, 0
	v_lshlrev_b32_e32 v6, 10, v3
	v_lshlrev_b32_e32 v8, 4, v2
	v_mov_b32_e32 v9, v7
	v_lshl_add_u64 v[0:1], v[6:7], 0, v[8:9]
	s_waitcnt lgkmcnt(0)
	v_lshl_add_u64 v[0:1], s[14:15], 0, v[0:1]
	v_add_u32_e32 v5, v6, v8
	s_mov_b64 s[14:15], 0
	s_mov_b64 s[16:17], 0x4000
.LBB119_2:                              ; =>This Inner Loop Header: Depth=1
	global_load_dwordx4 v[6:9], v[0:1], off
	v_add_u32_e32 v4, 0x2000, v4
	v_cmp_le_u32_e32 vcc, s3, v4
	v_lshl_add_u64 v[0:1], v[0:1], 0, s[16:17]
	s_or_b64 s[14:15], vcc, s[14:15]
	s_waitcnt vmcnt(0)
	ds_write_b128 v5, v[6:9]
	v_add_u32_e32 v5, 0x4000, v5
	s_andn2_b64 exec, exec, s[14:15]
	s_cbranch_execnz .LBB119_2
.LBB119_3:
	s_or_b64 exec, exec, s[12:13]
	s_load_dwordx2 s[16:17], s[0:1], 0x38
	s_waitcnt lgkmcnt(0)
	s_barrier
	v_cmp_gt_u32_e32 vcc, s16, v3
	s_and_saveexec_b64 s[12:13], vcc
	s_cbranch_execz .LBB119_20
; %bb.4:
	s_mul_i32 s2, s2, s16
	v_add_u32_e32 v0, s2, v3
	v_lshl_add_u32 v48, v0, 1, v0
	v_cmp_gt_u32_e32 vcc, s7, v48
	s_and_b64 exec, exec, vcc
	s_cbranch_execz .LBB119_20
; %bb.5:
	s_cmp_lg_u32 s4, 0
	s_cselect_b64 s[2:3], -1, 0
	s_add_i32 s25, s4, -8
	s_add_i32 s26, s7, -1
	s_cmp_lg_u64 s[10:11], 0
	s_mul_i32 s20, s16, s17
	s_cselect_b64 s[16:17], -1, 0
	s_abs_i32 s21, s9
	v_cvt_f32_u32_e32 v0, s8
	v_cvt_f32_u32_e32 v1, s21
	s_mul_i32 s9, s20, 3
	s_sub_i32 s20, 0, s8
	v_rcp_iflag_f32_e32 v0, v0
	v_rcp_iflag_f32_e32 v1, v1
	s_load_dwordx2 s[12:13], s[0:1], 0x18
	s_load_dwordx2 s[14:15], s[0:1], 0x30
	v_cmp_eq_u32_e64 s[0:1], 63, v2
	v_mul_f32_e32 v0, 0x4f7ffffe, v0
	v_mul_f32_e32 v1, 0x4f7ffffe, v1
	v_cvt_u32_f32_e32 v0, v0
	v_cvt_u32_f32_e32 v1, v1
	s_mov_b64 s[18:19], 0
	s_mul_i32 s30, s6, 6
	v_mul_lo_u32 v3, s20, v0
	s_sub_i32 s20, 0, s21
	v_readfirstlane_b32 s22, v1
	s_mul_i32 s20, s20, s22
	s_mul_hi_u32 s20, s22, s20
	s_add_i32 s22, s22, s20
	s_sub_i32 s20, 1, s21
	s_cmp_lt_u32 s21, 2
	s_cselect_b32 s20, s20, 1
	s_sub_i32 s23, s20, s21
	s_cmp_ge_u32 s20, s21
	s_cselect_b32 s27, s23, s20
	s_lshr_b32 s20, s22, 31
	s_mul_i32 s20, s20, s21
	s_sub_i32 s20, 2, s20
	s_sub_i32 s23, s20, s21
	s_cmp_ge_u32 s20, s21
	s_cselect_b32 s20, s23, s20
	s_sub_i32 s23, s20, s21
	s_cmp_ge_u32 s20, s21
	s_cselect_b32 s28, s23, s20
	s_mul_hi_u32 s20, s22, 3
	s_mul_i32 s20, s20, s21
	s_sub_i32 s20, 3, s20
	s_sub_i32 s22, s20, s21
	s_cmp_ge_u32 s20, s21
	s_cselect_b32 s20, s22, s20
	s_sub_i32 s22, s20, s21
	v_mul_hi_u32 v3, v0, v3
	s_cmp_ge_u32 s20, s21
	v_add_u32_e32 v71, v0, v3
	s_cselect_b32 s29, s22, s20
	v_cndmask_b32_e64 v0, 0, 1, s[2:3]
	s_mul_i32 s27, s27, s8
	s_mul_i32 s28, s28, s8
	;; [unrolled: 1-line block ×3, first 2 shown]
	v_lshlrev_b32_e32 v72, 4, v2
	s_lshl_b32 s6, s6, 1
	v_cmp_ne_u32_e64 s[2:3], 1, v0
	v_mov_b32_e32 v51, 0
	s_branch .LBB119_8
.LBB119_6:                              ;   in Loop: Header=BB119_8 Depth=1
	v_cvt_f32_i32_e32 v2, v2
	v_cvt_f32_i32_e32 v4, v4
	;; [unrolled: 1-line block ×4, first 2 shown]
	v_add_f32_e32 v0, v0, v2
	v_add_f32_e32 v2, v1, v4
	v_cvt_f32_i32_e32 v1, v10
	v_add_f32_e32 v3, v3, v6
	v_add_f32_e32 v4, v5, v7
	v_cvt_f32_i32_e32 v5, v12
	v_add_f32_e32 v6, v8, v1
	v_cvt_f32_i32_e32 v1, v14
	v_cvt_f32_i32_e32 v7, v15
	v_add_f32_e32 v5, v9, v5
	s_waitcnt vmcnt(10)
	v_cvt_f32_f16_e32 v14, v34
	v_add_f32_e32 v9, v11, v1
	v_cvt_f32_i32_e32 v1, v22
	v_cvt_f32_f16_e32 v11, v35
	v_add_f32_e32 v7, v13, v7
	v_add_u32_e32 v50, s7, v48
	v_add_f32_e32 v12, v17, v1
	v_cvt_f32_i32_e32 v1, v20
	v_add_f32_e32 v0, v0, v11
	v_cvt_f16_f32_e32 v11, v0
	v_cvt_f32_i32_e32 v8, v23
	v_add_f32_e32 v13, v18, v1
	s_waitcnt lgkmcnt(0)
	v_lshl_add_u64 v[0:1], v[48:49], 1, s[14:15]
	global_store_short v[0:1], v11, off
	s_waitcnt vmcnt(10)
	v_cvt_f32_f16_e32 v11, v33
	v_add_f32_e32 v0, v2, v14
	v_cvt_f16_f32_e32 v2, v0
	v_lshl_add_u64 v[0:1], v[54:55], 1, s[14:15]
	v_add_f32_e32 v3, v3, v11
	v_cvt_f16_f32_e32 v3, v3
	s_waitcnt vmcnt(9)
	v_cvt_f32_f16_e32 v11, v32
	global_store_short v[0:1], v2, off
	v_lshl_add_u64 v[0:1], v[52:53], 1, s[14:15]
	global_store_short v[0:1], v3, off
	v_add_f32_e32 v0, v4, v11
	v_cvt_f16_f32_e32 v2, v0
	s_waitcnt vmcnt(10)
	v_cvt_f32_f16_e32 v3, v31
	v_lshl_add_u64 v[0:1], v[50:51], 1, s[14:15]
	v_add_f32_e32 v8, v16, v8
	global_store_short v[0:1], v2, off
	v_add_f32_e32 v0, v6, v3
	v_cvt_f16_f32_e32 v2, v0
	s_waitcnt vmcnt(10)
	v_cvt_f32_f16_e32 v3, v30
	v_add_u32_e32 v0, 1, v50
	v_mov_b32_e32 v1, v51
	v_lshl_add_u64 v[0:1], v[0:1], 1, s[14:15]
	global_store_short v[0:1], v2, off
	v_add_f32_e32 v0, v5, v3
	v_cvt_f16_f32_e32 v2, v0
	s_waitcnt vmcnt(10)
	v_cvt_f32_f16_e32 v3, v28
	v_add_u32_e32 v0, 2, v50
	v_mov_b32_e32 v1, v51
	v_lshl_add_u64 v[0:1], v[0:1], 1, s[14:15]
	global_store_short v[0:1], v2, off
	v_add_f32_e32 v0, v9, v3
	v_cvt_f16_f32_e32 v2, v0
	s_waitcnt vmcnt(10)
	v_cvt_f32_f16_e32 v3, v26
	v_add_u32_e32 v50, s7, v50
	v_lshl_add_u64 v[0:1], v[50:51], 1, s[14:15]
	global_store_short v[0:1], v2, off
	v_add_f32_e32 v0, v7, v3
	v_cvt_f16_f32_e32 v2, v0
	s_waitcnt vmcnt(10)
	v_cvt_f32_f16_e32 v3, v29
	v_add_u32_e32 v0, 1, v50
	v_mov_b32_e32 v1, v51
	v_lshl_add_u64 v[0:1], v[0:1], 1, s[14:15]
	global_store_short v[0:1], v2, off
	v_add_f32_e32 v0, v8, v3
	v_cvt_f16_f32_e32 v2, v0
	s_waitcnt vmcnt(10)
	v_cvt_f32_f16_e32 v3, v27
	v_add_u32_e32 v0, 2, v50
	v_mov_b32_e32 v1, v51
	v_lshl_add_u64 v[0:1], v[0:1], 1, s[14:15]
	v_cvt_f32_i32_e32 v10, v21
	global_store_short v[0:1], v2, off
	v_add_f32_e32 v0, v12, v3
	v_cvt_f16_f32_e32 v2, v0
	s_waitcnt vmcnt(10)
	v_cvt_f32_f16_e32 v3, v25
	v_add_u32_e32 v50, s7, v50
	v_add_f32_e32 v10, v19, v10
	v_lshl_add_u64 v[0:1], v[50:51], 1, s[14:15]
	global_store_short v[0:1], v2, off
	v_add_f32_e32 v0, v10, v3
	s_waitcnt vmcnt(10)
	v_cvt_f32_f16_e32 v3, v24
	v_cvt_f16_f32_e32 v2, v0
	v_add_u32_e32 v0, 1, v50
	v_mov_b32_e32 v1, v51
	v_add_f32_e32 v3, v13, v3
	v_cvt_f16_f32_e32 v3, v3
	v_lshl_add_u64 v[0:1], v[0:1], 1, s[14:15]
	v_add_u32_e32 v50, 2, v50
	global_store_short v[0:1], v2, off
	v_lshl_add_u64 v[0:1], v[50:51], 1, s[14:15]
	global_store_short v[0:1], v3, off
.LBB119_7:                              ;   in Loop: Header=BB119_8 Depth=1
	s_or_b64 exec, exec, s[20:21]
	v_add_u32_e32 v48, s9, v48
	v_cmp_le_u32_e32 vcc, s7, v48
	s_or_b64 s[18:19], vcc, s[18:19]
	s_andn2_b64 exec, exec, s[18:19]
	s_cbranch_execz .LBB119_20
.LBB119_8:                              ; =>This Loop Header: Depth=1
                                        ;     Child Loop BB119_12 Depth 2
	s_mov_b32 s31, 0
	s_and_b64 vcc, exec, s[2:3]
	v_add_u32_e32 v54, 1, v48
	v_add_u32_e32 v52, 2, v48
	v_mov_b32_e32 v81, v51
	v_mov_b32_e32 v80, v51
	;; [unrolled: 1-line block ×12, first 2 shown]
	s_cbranch_vccnz .LBB119_15
; %bb.9:                                ;   in Loop: Header=BB119_8 Depth=1
	v_min_u32_e32 v0, s26, v48
	v_mul_lo_u32 v50, v0, s5
	v_min_u32_e32 v0, s26, v54
	v_min_u32_e32 v2, s26, v52
	v_mul_lo_u32 v0, v0, s5
	v_mov_b32_e32 v1, v51
	v_mul_lo_u32 v2, v2, s5
	v_mov_b32_e32 v3, v51
	v_mov_b32_e32 v75, 0
	v_lshlrev_b64 v[56:57], 1, v[50:51]
	v_lshlrev_b64 v[58:59], 1, v[0:1]
	;; [unrolled: 1-line block ×3, first 2 shown]
	v_mov_b32_e32 v82, v72
	v_mov_b32_e32 v74, 0
	;; [unrolled: 1-line block ×12, first 2 shown]
	s_branch .LBB119_12
.LBB119_10:                             ;   in Loop: Header=BB119_12 Depth=2
	s_or_b64 exec, exec, s[22:23]
.LBB119_11:                             ;   in Loop: Header=BB119_12 Depth=2
	s_or_b64 exec, exec, s[20:21]
	s_waitcnt vmcnt(5) lgkmcnt(4)
	;;#ASMSTART
	v_dot2c_f32_f16 v81, v44, v28
	;;#ASMEND
	s_waitcnt vmcnt(4)
	;;#ASMSTART
	v_dot2c_f32_f16 v80, v44, v20
	;;#ASMEND
	s_waitcnt vmcnt(3)
	;;#ASMSTART
	v_dot2c_f32_f16 v79, v44, v24
	;;#ASMEND
	s_waitcnt lgkmcnt(3)
	;;#ASMSTART
	v_dot2c_f32_f16 v78, v40, v28
	;;#ASMEND
	;;#ASMSTART
	v_dot2c_f32_f16 v77, v40, v20
	;;#ASMEND
	;;#ASMSTART
	v_dot2c_f32_f16 v76, v40, v24
	;;#ASMEND
	s_waitcnt lgkmcnt(2)
	;;#ASMSTART
	v_dot2c_f32_f16 v75, v66, v28
	;;#ASMEND
	;;#ASMSTART
	v_dot2c_f32_f16 v74, v66, v20
	;;#ASMEND
	;; [unrolled: 10-line block ×3, first 2 shown]
	;;#ASMSTART
	v_dot2c_f32_f16 v49, v36, v24
	;;#ASMEND
	;;#ASMSTART
	v_dot2c_f32_f16 v81, v45, v29
	;;#ASMEND
	;;#ASMSTART
	v_dot2c_f32_f16 v80, v45, v21
	;;#ASMEND
	;;#ASMSTART
	v_dot2c_f32_f16 v79, v45, v25
	;;#ASMEND
	;;#ASMSTART
	v_dot2c_f32_f16 v78, v41, v29
	;;#ASMEND
	;;#ASMSTART
	v_dot2c_f32_f16 v77, v41, v21
	;;#ASMEND
	;;#ASMSTART
	v_dot2c_f32_f16 v76, v41, v25
	;;#ASMEND
	;;#ASMSTART
	v_dot2c_f32_f16 v75, v67, v29
	;;#ASMEND
	;;#ASMSTART
	v_dot2c_f32_f16 v74, v67, v21
	;;#ASMEND
	;;#ASMSTART
	v_dot2c_f32_f16 v73, v67, v25
	;;#ASMEND
	s_nop 0
	;;#ASMSTART
	v_dot2c_f32_f16 v55, v37, v29
	;;#ASMEND
	;;#ASMSTART
	v_dot2c_f32_f16 v53, v37, v21
	;;#ASMEND
	;;#ASMSTART
	v_dot2c_f32_f16 v49, v37, v25
	;;#ASMEND
	;;#ASMSTART
	v_dot2c_f32_f16 v81, v46, v30
	;;#ASMEND
	;;#ASMSTART
	v_dot2c_f32_f16 v80, v46, v22
	;;#ASMEND
	;;#ASMSTART
	v_dot2c_f32_f16 v79, v46, v26
	;;#ASMEND
	;;#ASMSTART
	v_dot2c_f32_f16 v78, v42, v30
	;;#ASMEND
	;;#ASMSTART
	v_dot2c_f32_f16 v77, v42, v22
	;;#ASMEND
	;;#ASMSTART
	v_dot2c_f32_f16 v76, v42, v26
	;;#ASMEND
	;;#ASMSTART
	v_dot2c_f32_f16 v75, v68, v30
	;;#ASMEND
	;;#ASMSTART
	v_dot2c_f32_f16 v74, v68, v22
	;;#ASMEND
	;;#ASMSTART
	v_dot2c_f32_f16 v73, v68, v26
	;;#ASMEND
	s_nop 0
	;;#ASMSTART
	v_dot2c_f32_f16 v55, v38, v30
	;;#ASMEND
	;;#ASMSTART
	v_dot2c_f32_f16 v53, v38, v22
	;;#ASMEND
	;; [unrolled: 37-line block ×3, first 2 shown]
	;;#ASMSTART
	v_dot2c_f32_f16 v49, v39, v27
	;;#ASMEND
	s_waitcnt vmcnt(2)
	;;#ASMSTART
	v_dot2c_f32_f16 v81, v32, v8
	;;#ASMEND
	s_waitcnt vmcnt(1)
	;; [unrolled: 4-line block ×3, first 2 shown]
	;;#ASMSTART
	v_dot2c_f32_f16 v79, v32, v0
	;;#ASMEND
	;;#ASMSTART
	v_dot2c_f32_f16 v78, v16, v8
	;;#ASMEND
	;; [unrolled: 3-line block ×12, first 2 shown]
	s_nop 0
	;;#ASMSTART
	v_dot2c_f32_f16 v79, v33, v1
	;;#ASMEND
	;;#ASMSTART
	v_dot2c_f32_f16 v78, v17, v9
	;;#ASMEND
	;; [unrolled: 3-line block ×10, first 2 shown]
	s_addk_i32 s31, 0x400
	;;#ASMSTART
	v_dot2c_f32_f16 v81, v34, v10
	;;#ASMEND
	;;#ASMSTART
	v_dot2c_f32_f16 v80, v34, v6
	;;#ASMEND
	;; [unrolled: 3-line block ×12, first 2 shown]
	s_cmp_ge_u32 s31, s4
	v_add_u32_e32 v82, 0x800, v82
	;;#ASMSTART
	v_dot2c_f32_f16 v81, v35, v11
	;;#ASMEND
	;;#ASMSTART
	v_dot2c_f32_f16 v80, v35, v7
	;;#ASMEND
	;;#ASMSTART
	v_dot2c_f32_f16 v79, v35, v3
	;;#ASMEND
	;;#ASMSTART
	v_dot2c_f32_f16 v78, v19, v11
	;;#ASMEND
	;;#ASMSTART
	v_dot2c_f32_f16 v77, v19, v7
	;;#ASMEND
	;;#ASMSTART
	v_dot2c_f32_f16 v76, v19, v3
	;;#ASMEND
	;;#ASMSTART
	v_dot2c_f32_f16 v75, v63, v11
	;;#ASMEND
	;;#ASMSTART
	v_dot2c_f32_f16 v74, v63, v7
	;;#ASMEND
	;;#ASMSTART
	v_dot2c_f32_f16 v73, v63, v3
	;;#ASMEND
	;;#ASMSTART
	v_dot2c_f32_f16 v55, v15, v11
	;;#ASMEND
	;;#ASMSTART
	v_dot2c_f32_f16 v53, v15, v7
	;;#ASMEND
	;;#ASMSTART
	v_dot2c_f32_f16 v49, v15, v3
	;;#ASMEND
	s_cbranch_scc1 .LBB119_15
.LBB119_12:                             ;   Parent Loop BB119_8 Depth=1
                                        ; =>  This Inner Loop Header: Depth=2
	v_add_u32_e32 v16, s31, v70
	v_min_u32_e32 v50, s25, v16
	s_waitcnt lgkmcnt(0)
	v_lshl_add_u64 v[0:1], v[50:51], 1, s[12:13]
	v_add_u32_e32 v83, 0x200, v16
	v_lshl_add_u64 v[2:3], v[0:1], 0, v[56:57]
	v_min_u32_e32 v50, s25, v83
	v_lshl_add_u64 v[4:5], v[0:1], 0, v[58:59]
	global_load_dwordx4 v[28:31], v[2:3], off nt
	global_load_dwordx4 v[20:23], v[4:5], off nt
	v_lshl_add_u64 v[2:3], v[50:51], 1, s[12:13]
	v_lshl_add_u64 v[0:1], v[0:1], 0, v[60:61]
	;; [unrolled: 1-line block ×4, first 2 shown]
	global_load_dwordx4 v[24:27], v[0:1], off nt
	global_load_dwordx4 v[8:11], v[4:5], off nt
	v_lshl_add_u64 v[14:15], v[2:3], 0, v[60:61]
	global_load_dwordx4 v[4:7], v[12:13], off nt
	global_load_dwordx4 v[0:3], v[14:15], off nt
	v_cmp_gt_u32_e32 vcc, s4, v16
	v_mov_b32_e32 v44, 0
	v_mov_b32_e32 v45, 0
	v_mov_b32_e32 v46, 0
	v_mov_b32_e32 v47, 0
	v_mov_b32_e32 v40, 0
	v_mov_b32_e32 v41, 0
	v_mov_b32_e32 v42, 0
	v_mov_b32_e32 v43, 0
	v_mov_b32_e32 v66, 0
	v_mov_b32_e32 v67, 0
	v_mov_b32_e32 v68, 0
	v_mov_b32_e32 v69, 0
	v_mov_b32_e32 v36, 0
	v_mov_b32_e32 v37, 0
	v_mov_b32_e32 v38, 0
	v_mov_b32_e32 v39, 0
	v_mov_b32_e32 v32, 0
	v_mov_b32_e32 v33, 0
	v_mov_b32_e32 v34, 0
	v_mov_b32_e32 v35, 0
	v_mov_b32_e32 v16, 0
	v_mov_b32_e32 v17, 0
	v_mov_b32_e32 v18, 0
	v_mov_b32_e32 v19, 0
	v_mov_b32_e32 v64, 0
	v_mov_b32_e32 v65, 0
	v_mov_b32_e32 v62, 0
	v_mov_b32_e32 v63, 0
	v_mov_b32_e32 v12, 0
	v_mov_b32_e32 v13, 0
	v_mov_b32_e32 v14, 0
	v_mov_b32_e32 v15, 0
	s_and_saveexec_b64 s[20:21], vcc
	s_cbranch_execz .LBB119_11
; %bb.13:                               ;   in Loop: Header=BB119_12 Depth=2
	v_add_u32_e32 v50, s6, v82
	v_add_u32_e32 v84, s24, v82
	ds_read_b128 v[44:47], v82
	ds_read_b128 v[40:43], v50
	ds_read2_b32 v[66:67], v84 offset1:1
	v_add_u32_e32 v85, s30, v82
	ds_read2_b32 v[68:69], v84 offset0:2 offset1:3
	ds_read_b128 v[36:39], v85
	v_cmp_gt_u32_e32 vcc, s4, v83
	v_mov_b32_e32 v15, 0
	v_mov_b32_e32 v14, 0
	;; [unrolled: 1-line block ×16, first 2 shown]
	s_and_saveexec_b64 s[22:23], vcc
	s_cbranch_execz .LBB119_10
; %bb.14:                               ;   in Loop: Header=BB119_12 Depth=2
	v_add_u32_e32 v12, 0x400, v84
	v_add_u32_e32 v13, 0x408, v84
	ds_read_b128 v[32:35], v82 offset:1024
	ds_read2_b32 v[64:65], v12 offset1:1
	ds_read2_b32 v[62:63], v13 offset1:1
	ds_read_b128 v[16:19], v50 offset:1024
	ds_read_b128 v[12:15], v85 offset:1024
	s_branch .LBB119_10
.LBB119_15:                             ;   in Loop: Header=BB119_8 Depth=1
	; sched_barrier mask(0x00000000)
	v_cvt_i32_f32_e32 v0, v81
	v_cvt_i32_f32_e32 v1, v80
	;; [unrolled: 1-line block ×4, first 2 shown]
	v_cvt_f32_i32_dpp v0, v0 row_shr:8 row_mask:0xf bank_mask:0xf bound_ctrl:1
	v_cvt_f32_i32_dpp v1, v1 row_shr:8 row_mask:0xf bank_mask:0xf bound_ctrl:1
	;; [unrolled: 1-line block ×4, first 2 shown]
	v_add_f32_e32 v0, v81, v0
	v_cvt_i32_f32_e32 v5, v0
	v_add_f32_e32 v1, v80, v1
	v_cvt_i32_f32_e32 v6, v1
	v_add_f32_e32 v2, v79, v2
	v_cvt_f32_i32_dpp v5, v5 row_shr:4 row_mask:0xf bank_mask:0xf bound_ctrl:1
	v_cvt_i32_f32_e32 v7, v2
	v_cvt_f32_i32_dpp v6, v6 row_shr:4 row_mask:0xf bank_mask:0xf bound_ctrl:1
	v_add_f32_e32 v3, v78, v3
	v_add_f32_e32 v0, v0, v5
	v_cvt_i32_f32_e32 v5, v0
	v_add_f32_e32 v1, v1, v6
	v_cvt_i32_f32_e32 v6, v1
	v_cvt_f32_i32_dpp v7, v7 row_shr:4 row_mask:0xf bank_mask:0xf bound_ctrl:1
	v_cvt_f32_i32_dpp v5, v5 row_shr:2 row_mask:0xf bank_mask:0xf bound_ctrl:1
	v_cvt_i32_f32_e32 v8, v3
	v_cvt_f32_i32_dpp v6, v6 row_shr:2 row_mask:0xf bank_mask:0xf bound_ctrl:1
	v_add_f32_e32 v2, v2, v7
	v_add_f32_e32 v0, v0, v5
	v_cvt_i32_f32_e32 v5, v0
	v_cvt_i32_f32_e32 v7, v2
	v_add_f32_e32 v1, v1, v6
	v_cvt_i32_f32_e32 v6, v1
	v_cvt_f32_i32_dpp v5, v5 row_shr:1 row_mask:0xf bank_mask:0xf bound_ctrl:1
	v_cvt_f32_i32_dpp v7, v7 row_shr:2 row_mask:0xf bank_mask:0xf bound_ctrl:1
	;; [unrolled: 1-line block ×4, first 2 shown]
	v_add_f32_e32 v0, v0, v5
	v_cvt_i32_f32_e32 v5, v0
	v_add_f32_e32 v7, v2, v7
	v_cvt_i32_f32_e32 v4, v77
	v_cvt_i32_f32_e32 v2, v7
	v_cvt_f32_i32_dpp v5, v5 row_bcast:15 row_mask:0xf bank_mask:0xf bound_ctrl:1
	v_add_f32_e32 v1, v1, v6
	v_add_f32_e32 v3, v3, v8
	v_cvt_i32_f32_e32 v6, v1
	v_add_f32_e32 v0, v0, v5
	v_cvt_i32_f32_e32 v5, v0
	v_cvt_f32_i32_dpp v8, v2 row_shr:1 row_mask:0xf bank_mask:0xf bound_ctrl:1
	v_cvt_f32_i32_dpp v4, v4 row_shr:8 row_mask:0xf bank_mask:0xf bound_ctrl:1
	v_cvt_f32_i32_dpp v6, v6 row_bcast:15 row_mask:0xf bank_mask:0xf bound_ctrl:1
	v_mov_b32_dpp v2, v5 row_bcast:31 row_mask:0xf bank_mask:0xf bound_ctrl:1
	v_cvt_i32_f32_e32 v5, v3
	v_add_f32_e32 v7, v7, v8
	v_add_f32_e32 v9, v77, v4
	v_cvt_i32_f32_e32 v8, v7
	v_cvt_f32_i32_dpp v5, v5 row_shr:2 row_mask:0xf bank_mask:0xf bound_ctrl:1
	v_cvt_i32_f32_e32 v4, v9
	v_add_f32_e32 v1, v1, v6
	v_cvt_i32_f32_e32 v6, v1
	v_add_f32_e32 v5, v3, v5
	v_cvt_i32_f32_e32 v3, v5
	v_cvt_f32_i32_dpp v8, v8 row_bcast:15 row_mask:0xf bank_mask:0xf bound_ctrl:1
	v_cvt_f32_i32_dpp v10, v4 row_shr:4 row_mask:0xf bank_mask:0xf bound_ctrl:1
	v_mov_b32_dpp v4, v6 row_bcast:31 row_mask:0xf bank_mask:0xf bound_ctrl:1
	v_cvt_f32_i32_dpp v6, v3 row_shr:1 row_mask:0xf bank_mask:0xf bound_ctrl:1
	v_add_f32_e32 v3, v7, v8
	v_add_f32_e32 v7, v9, v10
	v_cvt_i32_f32_e32 v8, v7
	v_add_f32_e32 v5, v5, v6
	v_cvt_i32_f32_e32 v6, v76
	v_cvt_i32_f32_e32 v9, v5
	v_cvt_f32_i32_dpp v8, v8 row_shr:2 row_mask:0xf bank_mask:0xf bound_ctrl:1
	v_cvt_i32_f32_e32 v10, v3
	v_cvt_f32_i32_dpp v6, v6 row_shr:8 row_mask:0xf bank_mask:0xf bound_ctrl:1
	v_cvt_f32_i32_dpp v9, v9 row_bcast:15 row_mask:0xf bank_mask:0xf bound_ctrl:1
	v_add_f32_e32 v7, v7, v8
	v_cvt_i32_f32_e32 v8, v7
	v_add_f32_e32 v11, v76, v6
	v_cvt_i32_f32_e32 v12, v11
	v_add_f32_e32 v5, v5, v9
	v_cvt_f32_i32_dpp v8, v8 row_shr:1 row_mask:0xf bank_mask:0xf bound_ctrl:1
	v_mov_b32_dpp v6, v10 row_bcast:31 row_mask:0xf bank_mask:0xf bound_ctrl:1
	v_cvt_f32_i32_dpp v9, v12 row_shr:4 row_mask:0xf bank_mask:0xf bound_ctrl:1
	v_cvt_i32_f32_e32 v10, v5
	v_add_f32_e32 v8, v7, v8
	v_cvt_i32_f32_e32 v7, v75
	v_add_f32_e32 v9, v11, v9
	v_cvt_i32_f32_e32 v11, v9
	v_cvt_i32_f32_e32 v12, v8
	v_cvt_f32_i32_dpp v13, v7 row_shr:8 row_mask:0xf bank_mask:0xf bound_ctrl:1
	v_mov_b32_dpp v7, v10 row_bcast:31 row_mask:0xf bank_mask:0xf bound_ctrl:1
	v_cvt_f32_i32_dpp v10, v11 row_shr:2 row_mask:0xf bank_mask:0xf bound_ctrl:1
	v_cvt_f32_i32_dpp v11, v12 row_bcast:15 row_mask:0xf bank_mask:0xf bound_ctrl:1
	v_add_f32_e32 v12, v75, v13
	v_cvt_i32_f32_e32 v13, v12
	v_add_f32_e32 v9, v9, v10
	v_cvt_i32_f32_e32 v10, v74
	v_cvt_i32_f32_e32 v14, v9
	v_cvt_f32_i32_dpp v13, v13 row_shr:4 row_mask:0xf bank_mask:0xf bound_ctrl:1
	v_add_f32_e32 v8, v8, v11
	v_cvt_f32_i32_dpp v10, v10 row_shr:8 row_mask:0xf bank_mask:0xf bound_ctrl:1
	v_cvt_f32_i32_dpp v11, v14 row_shr:1 row_mask:0xf bank_mask:0xf bound_ctrl:1
	v_add_f32_e32 v12, v12, v13
	v_cvt_i32_f32_e32 v13, v12
	v_add_f32_e32 v10, v74, v10
	v_cvt_i32_f32_e32 v14, v10
	v_add_f32_e32 v9, v9, v11
	v_cvt_f32_i32_dpp v13, v13 row_shr:2 row_mask:0xf bank_mask:0xf bound_ctrl:1
	v_cvt_i32_f32_e32 v15, v8
	v_cvt_f32_i32_dpp v11, v14 row_shr:4 row_mask:0xf bank_mask:0xf bound_ctrl:1
	v_cvt_i32_f32_e32 v14, v9
	v_add_f32_e32 v12, v12, v13
	v_cvt_i32_f32_e32 v13, v12
	v_add_f32_e32 v11, v10, v11
	v_cvt_i32_f32_e32 v16, v11
	v_mov_b32_dpp v10, v15 row_bcast:31 row_mask:0xf bank_mask:0xf bound_ctrl:1
	v_cvt_f32_i32_dpp v13, v13 row_shr:1 row_mask:0xf bank_mask:0xf bound_ctrl:1
	v_cvt_f32_i32_dpp v14, v14 row_bcast:15 row_mask:0xf bank_mask:0xf bound_ctrl:1
	v_cvt_f32_i32_dpp v15, v16 row_shr:2 row_mask:0xf bank_mask:0xf bound_ctrl:1
	v_add_f32_e32 v13, v12, v13
	v_cvt_i32_f32_e32 v12, v73
	v_add_f32_e32 v11, v11, v15
	v_add_f32_e32 v9, v9, v14
	v_cvt_i32_f32_e32 v14, v11
	v_cvt_f32_i32_dpp v12, v12 row_shr:8 row_mask:0xf bank_mask:0xf bound_ctrl:1
	v_cvt_i32_f32_e32 v15, v13
	v_cvt_i32_f32_e32 v16, v9
	v_cvt_f32_i32_dpp v14, v14 row_shr:1 row_mask:0xf bank_mask:0xf bound_ctrl:1
	v_add_f32_e32 v17, v73, v12
	v_cvt_i32_f32_e32 v18, v17
	v_cvt_f32_i32_dpp v15, v15 row_bcast:15 row_mask:0xf bank_mask:0xf bound_ctrl:1
	v_add_f32_e32 v14, v11, v14
	v_mov_b32_dpp v12, v16 row_bcast:31 row_mask:0xf bank_mask:0xf bound_ctrl:1
	v_cvt_f32_i32_dpp v16, v18 row_shr:4 row_mask:0xf bank_mask:0xf bound_ctrl:1
	v_cvt_i32_f32_e32 v19, v14
	v_add_f32_e32 v11, v13, v15
	v_cvt_i32_f32_e32 v15, v55
	v_add_f32_e32 v16, v17, v16
	v_cvt_f32_i32_dpp v13, v19 row_bcast:15 row_mask:0xf bank_mask:0xf bound_ctrl:1
	v_cvt_i32_f32_e32 v17, v16
	v_cvt_f32_i32_dpp v15, v15 row_shr:8 row_mask:0xf bank_mask:0xf bound_ctrl:1
	v_cvt_i32_f32_e32 v18, v11
	v_add_f32_e32 v13, v14, v13
	v_cvt_f32_i32_dpp v14, v17 row_shr:2 row_mask:0xf bank_mask:0xf bound_ctrl:1
	v_add_f32_e32 v19, v55, v15
	v_cvt_i32_f32_e32 v15, v19
	v_cvt_i32_f32_e32 v17, v13
	v_add_f32_e32 v16, v16, v14
	v_cvt_i32_f32_e32 v20, v16
	v_mov_b32_dpp v14, v18 row_bcast:31 row_mask:0xf bank_mask:0xf bound_ctrl:1
	v_cvt_f32_i32_dpp v18, v15 row_shr:4 row_mask:0xf bank_mask:0xf bound_ctrl:1
	v_mov_b32_dpp v15, v17 row_bcast:31 row_mask:0xf bank_mask:0xf bound_ctrl:1
	v_cvt_f32_i32_dpp v17, v20 row_shr:1 row_mask:0xf bank_mask:0xf bound_ctrl:1
	v_cvt_i32_f32_e32 v20, v53
	v_add_f32_e32 v18, v19, v18
	v_cvt_i32_f32_e32 v19, v49
	v_add_f32_e32 v16, v16, v17
	v_cvt_f32_i32_dpp v20, v20 row_shr:8 row_mask:0xf bank_mask:0xf bound_ctrl:1
	v_cvt_i32_f32_e32 v21, v18
	v_cvt_f32_i32_dpp v17, v19 row_shr:8 row_mask:0xf bank_mask:0xf bound_ctrl:1
	v_cvt_i32_f32_e32 v23, v16
	v_add_f32_e32 v20, v53, v20
	v_cvt_f32_i32_dpp v19, v21 row_shr:2 row_mask:0xf bank_mask:0xf bound_ctrl:1
	v_add_f32_e32 v17, v49, v17
	v_cvt_i32_f32_e32 v21, v20
	v_cvt_i32_f32_e32 v22, v17
	v_add_f32_e32 v18, v18, v19
	v_cvt_f32_i32_dpp v23, v23 row_bcast:15 row_mask:0xf bank_mask:0xf bound_ctrl:1
	v_cvt_f32_i32_dpp v21, v21 row_shr:4 row_mask:0xf bank_mask:0xf bound_ctrl:1
	v_cvt_f32_i32_dpp v19, v22 row_shr:4 row_mask:0xf bank_mask:0xf bound_ctrl:1
	v_cvt_i32_f32_e32 v22, v18
	v_add_f32_e32 v16, v16, v23
	v_add_f32_e32 v20, v20, v21
	;; [unrolled: 1-line block ×3, first 2 shown]
	v_cvt_i32_f32_e32 v21, v20
	v_cvt_i32_f32_e32 v19, v17
	v_cvt_f32_i32_dpp v22, v22 row_shr:1 row_mask:0xf bank_mask:0xf bound_ctrl:1
	v_cvt_i32_f32_e32 v24, v16
	v_cvt_f32_i32_dpp v21, v21 row_shr:2 row_mask:0xf bank_mask:0xf bound_ctrl:1
	v_cvt_f32_i32_dpp v19, v19 row_shr:2 row_mask:0xf bank_mask:0xf bound_ctrl:1
	v_add_f32_e32 v18, v18, v22
	v_cvt_i32_f32_e32 v22, v18
	v_add_f32_e32 v20, v20, v21
	v_add_f32_e32 v17, v17, v19
	v_cvt_i32_f32_e32 v21, v20
	v_cvt_i32_f32_e32 v19, v17
	v_cvt_f32_i32_dpp v22, v22 row_bcast:15 row_mask:0xf bank_mask:0xf bound_ctrl:1
	v_cvt_f32_i32_dpp v21, v21 row_shr:1 row_mask:0xf bank_mask:0xf bound_ctrl:1
	v_cvt_f32_i32_dpp v19, v19 row_shr:1 row_mask:0xf bank_mask:0xf bound_ctrl:1
	v_add_f32_e32 v20, v20, v21
	v_add_f32_e32 v23, v17, v19
	v_cvt_i32_f32_e32 v21, v20
	v_cvt_i32_f32_e32 v19, v23
	v_add_f32_e32 v17, v18, v22
	v_cvt_i32_f32_e32 v22, v17
	v_cvt_f32_i32_dpp v21, v21 row_bcast:15 row_mask:0xf bank_mask:0xf bound_ctrl:1
	v_cvt_f32_i32_dpp v18, v19 row_bcast:15 row_mask:0xf bank_mask:0xf bound_ctrl:1
	v_mov_b32_dpp v22, v22 row_bcast:31 row_mask:0xf bank_mask:0xf bound_ctrl:1
	v_add_f32_e32 v19, v20, v21
	v_add_f32_e32 v18, v23, v18
	v_cvt_i32_f32_e32 v20, v19
	v_cvt_i32_f32_e32 v25, v18
	v_mov_b32_dpp v23, v24 row_bcast:31 row_mask:0xf bank_mask:0xf bound_ctrl:1
	v_mov_b32_dpp v21, v20 row_bcast:31 row_mask:0xf bank_mask:0xf bound_ctrl:1
	;; [unrolled: 1-line block ×3, first 2 shown]
	s_and_saveexec_b64 s[20:21], s[0:1]
	s_cbranch_execz .LBB119_7
; %bb.16:                               ;   in Loop: Header=BB119_8 Depth=1
	s_and_b64 vcc, exec, s[16:17]
	s_cbranch_vccz .LBB119_18
; %bb.17:                               ;   in Loop: Header=BB119_8 Depth=1
	v_mul_hi_u32 v24, v48, v71
	v_mul_lo_u32 v24, v24, s8
	v_sub_u32_e32 v24, v48, v24
	v_subrev_u32_e32 v25, s8, v24
	v_cmp_le_u32_e32 vcc, s8, v24
	v_mul_hi_u32 v26, v54, v71
	v_mul_lo_u32 v26, v26, s8
	v_cndmask_b32_e32 v24, v24, v25, vcc
	v_subrev_u32_e32 v25, s8, v24
	v_cmp_le_u32_e32 vcc, s8, v24
	v_sub_u32_e32 v26, v54, v26
	v_subrev_u32_e32 v27, s8, v26
	v_cndmask_b32_e32 v50, v24, v25, vcc
	v_cmp_le_u32_e32 vcc, s8, v26
	v_lshl_add_u64 v[24:25], v[50:51], 1, s[10:11]
	v_mov_b32_e32 v37, v51
	v_cndmask_b32_e32 v26, v26, v27, vcc
	v_subrev_u32_e32 v27, s8, v26
	v_cmp_le_u32_e32 vcc, s8, v26
	v_mov_b32_e32 v41, v51
	v_mov_b32_e32 v49, v51
	v_cndmask_b32_e32 v36, v26, v27, vcc
	v_mul_hi_u32 v26, v52, v71
	v_mul_lo_u32 v26, v26, s8
	v_sub_u32_e32 v26, v52, v26
	v_subrev_u32_e32 v27, s8, v26
	v_cmp_le_u32_e32 vcc, s8, v26
	v_lshl_add_u64 v[38:39], v[36:37], 1, s[10:11]
	v_mov_b32_e32 v55, v51
	v_cndmask_b32_e32 v26, v26, v27, vcc
	v_subrev_u32_e32 v27, s8, v26
	v_cmp_le_u32_e32 vcc, s8, v26
	v_mov_b32_e32 v53, v51
	s_nop 0
	v_cndmask_b32_e32 v40, v26, v27, vcc
	v_add_u32_e32 v26, s27, v50
	v_mov_b32_e32 v27, v51
	v_lshl_add_u64 v[44:45], v[26:27], 1, s[10:11]
	v_add_u32_e32 v26, s27, v36
	v_lshl_add_u64 v[46:47], v[26:27], 1, s[10:11]
	v_add_u32_e32 v26, s27, v40
	;; [unrolled: 2-line block ×4, first 2 shown]
	v_lshl_add_u64 v[42:43], v[40:41], 1, s[10:11]
	v_lshl_add_u64 v[60:61], v[26:27], 1, s[10:11]
	global_load_ushort v35, v[24:25], off
	global_load_ushort v34, v[38:39], off
	;; [unrolled: 1-line block ×8, first 2 shown]
	v_add_u32_e32 v50, s29, v50
	v_add_u32_e32 v24, s28, v40
	v_mov_b32_e32 v25, v51
	v_lshl_add_u64 v[42:43], v[50:51], 1, s[10:11]
	v_add_u32_e32 v50, s29, v36
	v_lshl_add_u64 v[38:39], v[24:25], 1, s[10:11]
	v_lshl_add_u64 v[36:37], v[50:51], 1, s[10:11]
	v_add_u32_e32 v50, s29, v40
	v_lshl_add_u64 v[40:41], v[50:51], 1, s[10:11]
	global_load_ushort v29, v[38:39], off
	global_load_ushort v27, v[42:43], off
	;; [unrolled: 1-line block ×4, first 2 shown]
	s_cbranch_execnz .LBB119_6
	s_branch .LBB119_19
.LBB119_18:                             ;   in Loop: Header=BB119_8 Depth=1
                                        ; implicit-def: $vgpr24
                                        ; implicit-def: $vgpr25
                                        ; implicit-def: $vgpr27
                                        ; implicit-def: $vgpr29
                                        ; implicit-def: $vgpr26
                                        ; implicit-def: $vgpr28
                                        ; implicit-def: $vgpr30
                                        ; implicit-def: $vgpr31
                                        ; implicit-def: $vgpr32
                                        ; implicit-def: $vgpr33
                                        ; implicit-def: $vgpr34
                                        ; implicit-def: $vgpr35
.LBB119_19:                             ;   in Loop: Header=BB119_8 Depth=1
	v_mov_b32_e32 v49, v51
	v_mov_b32_e32 v55, v51
	;; [unrolled: 1-line block ×3, first 2 shown]
	s_waitcnt vmcnt(11)
	v_mov_b32_e32 v35, 0
	s_waitcnt vmcnt(10)
	v_mov_b32_e32 v34, 0
	;; [unrolled: 2-line block ×12, first 2 shown]
	s_branch .LBB119_6
.LBB119_20:
	s_endpgm
	.section	.rodata,"a",@progbits
	.p2align	6, 0x0
	.amdhsa_kernel _Z16wvSplitK_hf_sml_I6__halfLi64ELi3ELi16ELi8ELi2ELi4EEviiiiiiPKT_S3_S3_PS1_ii
		.amdhsa_group_segment_fixed_size 65536
		.amdhsa_private_segment_fixed_size 0
		.amdhsa_kernarg_size 64
		.amdhsa_user_sgpr_count 2
		.amdhsa_user_sgpr_dispatch_ptr 0
		.amdhsa_user_sgpr_queue_ptr 0
		.amdhsa_user_sgpr_kernarg_segment_ptr 1
		.amdhsa_user_sgpr_dispatch_id 0
		.amdhsa_user_sgpr_kernarg_preload_length 0
		.amdhsa_user_sgpr_kernarg_preload_offset 0
		.amdhsa_user_sgpr_private_segment_size 0
		.amdhsa_uses_dynamic_stack 0
		.amdhsa_enable_private_segment 0
		.amdhsa_system_sgpr_workgroup_id_x 1
		.amdhsa_system_sgpr_workgroup_id_y 0
		.amdhsa_system_sgpr_workgroup_id_z 0
		.amdhsa_system_sgpr_workgroup_info 0
		.amdhsa_system_vgpr_workitem_id 1
		.amdhsa_next_free_vgpr 86
		.amdhsa_next_free_sgpr 32
		.amdhsa_accum_offset 88
		.amdhsa_reserve_vcc 1
		.amdhsa_float_round_mode_32 0
		.amdhsa_float_round_mode_16_64 0
		.amdhsa_float_denorm_mode_32 3
		.amdhsa_float_denorm_mode_16_64 3
		.amdhsa_dx10_clamp 1
		.amdhsa_ieee_mode 1
		.amdhsa_fp16_overflow 0
		.amdhsa_tg_split 0
		.amdhsa_exception_fp_ieee_invalid_op 0
		.amdhsa_exception_fp_denorm_src 0
		.amdhsa_exception_fp_ieee_div_zero 0
		.amdhsa_exception_fp_ieee_overflow 0
		.amdhsa_exception_fp_ieee_underflow 0
		.amdhsa_exception_fp_ieee_inexact 0
		.amdhsa_exception_int_div_zero 0
	.end_amdhsa_kernel
	.section	.text._Z16wvSplitK_hf_sml_I6__halfLi64ELi3ELi16ELi8ELi2ELi4EEviiiiiiPKT_S3_S3_PS1_ii,"axG",@progbits,_Z16wvSplitK_hf_sml_I6__halfLi64ELi3ELi16ELi8ELi2ELi4EEviiiiiiPKT_S3_S3_PS1_ii,comdat
.Lfunc_end119:
	.size	_Z16wvSplitK_hf_sml_I6__halfLi64ELi3ELi16ELi8ELi2ELi4EEviiiiiiPKT_S3_S3_PS1_ii, .Lfunc_end119-_Z16wvSplitK_hf_sml_I6__halfLi64ELi3ELi16ELi8ELi2ELi4EEviiiiiiPKT_S3_S3_PS1_ii
                                        ; -- End function
	.section	.AMDGPU.csdata,"",@progbits
; Kernel info:
; codeLenInByte = 4252
; NumSgprs: 38
; NumVgprs: 86
; NumAgprs: 0
; TotalNumVgprs: 86
; ScratchSize: 0
; MemoryBound: 0
; FloatMode: 240
; IeeeMode: 1
; LDSByteSize: 65536 bytes/workgroup (compile time only)
; SGPRBlocks: 4
; VGPRBlocks: 10
; NumSGPRsForWavesPerEU: 38
; NumVGPRsForWavesPerEU: 86
; AccumOffset: 88
; Occupancy: 4
; WaveLimiterHint : 0
; COMPUTE_PGM_RSRC2:SCRATCH_EN: 0
; COMPUTE_PGM_RSRC2:USER_SGPR: 2
; COMPUTE_PGM_RSRC2:TRAP_HANDLER: 0
; COMPUTE_PGM_RSRC2:TGID_X_EN: 1
; COMPUTE_PGM_RSRC2:TGID_Y_EN: 0
; COMPUTE_PGM_RSRC2:TGID_Z_EN: 0
; COMPUTE_PGM_RSRC2:TIDIG_COMP_CNT: 1
; COMPUTE_PGM_RSRC3_GFX90A:ACCUM_OFFSET: 21
; COMPUTE_PGM_RSRC3_GFX90A:TG_SPLIT: 0
	.section	.text._Z12wvSplitK_hf_I6__halfLi64ELi3ELi16ELi8ELi2ELi4EEviiiiiiPKT_S3_S3_PS1_ii,"axG",@progbits,_Z12wvSplitK_hf_I6__halfLi64ELi3ELi16ELi8ELi2ELi4EEviiiiiiPKT_S3_S3_PS1_ii,comdat
	.protected	_Z12wvSplitK_hf_I6__halfLi64ELi3ELi16ELi8ELi2ELi4EEviiiiiiPKT_S3_S3_PS1_ii ; -- Begin function _Z12wvSplitK_hf_I6__halfLi64ELi3ELi16ELi8ELi2ELi4EEviiiiiiPKT_S3_S3_PS1_ii
	.globl	_Z12wvSplitK_hf_I6__halfLi64ELi3ELi16ELi8ELi2ELi4EEviiiiiiPKT_S3_S3_PS1_ii
	.p2align	8
	.type	_Z12wvSplitK_hf_I6__halfLi64ELi3ELi16ELi8ELi2ELi4EEviiiiiiPKT_S3_S3_PS1_ii,@function
_Z12wvSplitK_hf_I6__halfLi64ELi3ELi16ELi8ELi2ELi4EEviiiiiiPKT_S3_S3_PS1_ii: ; @_Z12wvSplitK_hf_I6__halfLi64ELi3ELi16ELi8ELi2ELi4EEviiiiiiPKT_S3_S3_PS1_ii
; %bb.0:
	s_load_dwordx2 s[22:23], s[0:1], 0x38
	s_load_dwordx4 s[8:11], s[0:1], 0x0
	s_load_dwordx2 s[16:17], s[0:1], 0x10
	v_bfe_u32 v3, v0, 10, 10
	s_mov_b32 s4, 1
	s_waitcnt lgkmcnt(0)
	s_mul_i32 s2, s2, s22
	v_add_u32_e32 v1, s2, v3
	v_lshl_add_u32 v60, v1, 1, v1
	v_add_u32_e32 v1, 3, v60
	s_mov_b32 s6, s4
	v_cmp_gt_u32_e32 vcc, s11, v60
	v_cmp_le_u32_e64 s[2:3], s11, v1
	s_mov_b32 s5, s4
	v_mov_b32_e32 v58, s6
	s_and_b64 s[12:13], vcc, s[2:3]
	v_mov_b32_e32 v57, s5
	v_mov_b32_e32 v56, s4
	s_and_saveexec_b64 s[2:3], s[12:13]
	s_cbranch_execz .LBB120_6
; %bb.1:
	s_add_i32 s7, s11, -3
	v_mov_b32_e32 v58, s6
	v_cmp_ne_u32_e32 vcc, s7, v60
	v_mov_b32_e32 v57, s5
	v_mov_b32_e32 v56, s4
	s_and_saveexec_b64 s[12:13], vcc
	s_cbranch_execz .LBB120_5
; %bb.2:
	v_subrev_u32_e32 v1, s7, v60
	v_cmp_lt_u32_e32 vcc, 1, v1
	s_mov_b64 s[14:15], 0
	s_mov_b64 s[18:19], 0
	v_cndmask_b32_e32 v2, 1, v1, vcc
	s_mov_b32 s5, s4
	s_mov_b32 s6, s4
.LBB120_3:                              ; =>This Inner Loop Header: Depth=1
	s_cmp_lg_u32 s18, 2
	s_cselect_b32 s6, s6, 0
	s_cmp_lg_u32 s18, 1
	s_cselect_b32 s5, s5, 0
	;; [unrolled: 2-line block ×3, first 2 shown]
	s_add_u32 s18, s18, 1
	s_addc_u32 s19, s19, 0
	v_cmp_eq_u32_e32 vcc, s18, v2
	v_mov_b32_e32 v58, s6
	s_or_b64 s[14:15], vcc, s[14:15]
	v_mov_b32_e32 v57, s5
	v_mov_b32_e32 v56, s4
	s_andn2_b64 exec, exec, s[14:15]
	s_cbranch_execnz .LBB120_3
; %bb.4:
	s_or_b64 exec, exec, s[14:15]
	v_mov_b32_e32 v60, s7
.LBB120_5:
	s_or_b64 exec, exec, s[12:13]
.LBB120_6:
	s_or_b64 exec, exec, s[2:3]
	s_load_dwordx4 s[12:15], s[0:1], 0x20
	v_and_b32_e32 v2, 0x3ff, v0
	v_lshlrev_b32_e32 v62, 3, v2
	s_lshl_b32 s33, s10, 2
	v_lshl_add_u32 v4, v3, 9, v62
	s_min_u32 s18, s33, 0x8000
	v_cmp_gt_u32_e32 vcc, s18, v4
	s_and_saveexec_b64 s[2:3], vcc
	s_cbranch_execz .LBB120_9
; %bb.7:
	v_mov_b32_e32 v7, 0
	v_lshlrev_b32_e32 v6, 10, v3
	v_lshlrev_b32_e32 v8, 4, v2
	v_mov_b32_e32 v9, v7
	v_lshl_add_u64 v[0:1], v[6:7], 0, v[8:9]
	s_waitcnt lgkmcnt(0)
	v_lshl_add_u64 v[0:1], s[12:13], 0, v[0:1]
	v_add_u32_e32 v5, v6, v8
	s_mov_b64 s[4:5], 0
	s_mov_b64 s[6:7], 0x4000
.LBB120_8:                              ; =>This Inner Loop Header: Depth=1
	global_load_dwordx4 v[6:9], v[0:1], off
	v_add_u32_e32 v4, 0x2000, v4
	v_cmp_le_u32_e32 vcc, s18, v4
	v_lshl_add_u64 v[0:1], v[0:1], 0, s[6:7]
	s_or_b64 s[4:5], vcc, s[4:5]
	s_waitcnt vmcnt(0)
	ds_write_b128 v5, v[6:9]
	v_add_u32_e32 v5, 0x4000, v5
	s_andn2_b64 exec, exec, s[4:5]
	s_cbranch_execnz .LBB120_8
.LBB120_9:
	s_or_b64 exec, exec, s[2:3]
	v_cmp_gt_u32_e32 vcc, s22, v3
	v_cmp_gt_u32_e64 s[2:3], s11, v60
	s_and_b64 s[2:3], vcc, s[2:3]
	s_waitcnt lgkmcnt(0)
	s_barrier
	s_and_saveexec_b64 s[4:5], s[2:3]
	s_cbranch_execz .LBB120_84
; %bb.10:
	s_cmp_lg_u32 s8, 0
	s_cselect_b64 s[2:3], -1, 0
	s_add_i32 s36, s8, -8
	s_add_i32 s37, s11, -1
	s_cmp_lg_u64 s[14:15], 0
	s_cselect_b64 s[24:25], -1, 0
	s_abs_i32 s4, s17
	v_cvt_f32_u32_e32 v0, s16
	v_cvt_f32_u32_e32 v1, s4
	s_sub_i32 s5, 0, s16
	s_add_i32 s17, s11, -3
	v_rcp_iflag_f32_e32 v0, v0
	v_rcp_iflag_f32_e32 v1, v1
	s_load_dwordx2 s[18:19], s[0:1], 0x18
	s_load_dwordx2 s[20:21], s[0:1], 0x30
	v_lshlrev_b32_e32 v63, 4, v2
	v_mul_f32_e32 v0, 0x4f7ffffe, v0
	v_mul_f32_e32 v1, 0x4f7ffffe, v1
	v_cvt_u32_f32_e32 v0, v0
	v_cvt_u32_f32_e32 v1, v1
	s_mul_i32 s38, s22, s23
	v_cmp_eq_u32_e64 s[0:1], 63, v2
	v_mul_lo_u32 v3, s5, v0
	s_sub_i32 s5, 0, s4
	v_readfirstlane_b32 s6, v1
	s_mul_i32 s5, s5, s6
	s_mul_hi_u32 s5, s6, s5
	s_add_i32 s6, s6, s5
	s_sub_i32 s5, 1, s4
	s_cmp_lt_u32 s4, 2
	s_cselect_b32 s5, s5, 1
	s_sub_i32 s7, s5, s4
	s_cmp_ge_u32 s5, s4
	s_cselect_b32 s39, s7, s5
	s_lshr_b32 s5, s6, 31
	s_mul_i32 s5, s5, s4
	s_sub_i32 s5, 2, s5
	s_sub_i32 s7, s5, s4
	s_cmp_ge_u32 s5, s4
	s_cselect_b32 s5, s7, s5
	s_sub_i32 s7, s5, s4
	s_cmp_ge_u32 s5, s4
	s_cselect_b32 s40, s7, s5
	s_mul_hi_u32 s5, s6, 3
	s_mul_i32 s5, s5, s4
	s_sub_i32 s5, 3, s5
	s_sub_i32 s6, s5, s4
	s_cmp_ge_u32 s5, s4
	s_cselect_b32 s5, s6, s5
	s_sub_i32 s6, s5, s4
	v_mul_hi_u32 v3, v0, v3
	s_cmp_ge_u32 s5, s4
	v_add_u32_e32 v59, v0, v3
	s_cselect_b32 s41, s6, s5
	s_lshl_b32 s42, s10, 1
	v_mad_u64_u32 v[66:67], s[4:5], s10, 3, v[62:63]
	v_cndmask_b32_e64 v0, 0, 1, s[2:3]
	s_mov_b64 s[22:23], 0
	s_mul_i32 s38, s38, 3
	v_mov_b32_e32 v65, 0
	s_mul_i32 s39, s39, s16
	s_mul_i32 s40, s40, s16
	;; [unrolled: 1-line block ×3, first 2 shown]
	v_add_u32_e32 v84, s42, v62
	s_mul_i32 s43, s10, 6
	v_add_u32_e32 v67, s10, v62
	v_cmp_ne_u32_e64 s[2:3], 1, v0
	s_movk_i32 s10, 0x7fff
	s_mov_b32 s26, 0
	s_branch .LBB120_13
.LBB120_11:                             ;   in Loop: Header=BB120_13 Depth=1
	s_or_b64 exec, exec, s[28:29]
	v_mov_b32_e32 v60, s17
.LBB120_12:                             ;   in Loop: Header=BB120_13 Depth=1
	s_or_b64 exec, exec, s[6:7]
	v_cmp_le_u32_e32 vcc, s11, v60
	s_or_b64 s[22:23], vcc, s[22:23]
	s_andn2_b64 exec, exec, s[22:23]
	s_cbranch_execz .LBB120_84
.LBB120_13:                             ; =>This Loop Header: Depth=1
                                        ;     Child Loop BB120_18 Depth 2
                                        ;     Child Loop BB120_71 Depth 2
	s_and_b64 vcc, exec, s[2:3]
	v_add_u32_e32 v70, 1, v60
	v_add_u32_e32 v68, 2, v60
	v_mov_b32_e32 v93, v65
	v_mov_b32_e32 v92, v65
	;; [unrolled: 1-line block ×12, first 2 shown]
	s_cbranch_vccnz .LBB120_52
; %bb.14:                               ;   in Loop: Header=BB120_13 Depth=1
	v_min_u32_e32 v0, s37, v60
	v_mul_lo_u32 v64, v0, s9
	v_min_u32_e32 v0, s37, v70
	v_min_u32_e32 v2, s37, v68
	v_mul_lo_u32 v0, v0, s9
	v_mov_b32_e32 v1, v65
	v_mul_lo_u32 v2, v2, s9
	v_mov_b32_e32 v3, v65
	v_mov_b32_e32 v87, 0
	v_lshlrev_b64 v[72:73], 1, v[64:65]
	v_lshlrev_b64 v[74:75], 1, v[0:1]
	;; [unrolled: 1-line block ×3, first 2 shown]
	v_mov_b32_e32 v94, v63
	v_mov_b32_e32 v86, 0
	;; [unrolled: 1-line block ×12, first 2 shown]
	s_mov_b32 s30, s26
	s_branch .LBB120_18
.LBB120_15:                             ;   in Loop: Header=BB120_18 Depth=2
	s_or_b64 exec, exec, s[28:29]
.LBB120_16:                             ;   in Loop: Header=BB120_18 Depth=2
	s_or_b64 exec, exec, s[6:7]
.LBB120_17:                             ;   in Loop: Header=BB120_18 Depth=2
	s_or_b64 exec, exec, s[4:5]
	s_waitcnt vmcnt(0) lgkmcnt(0)
	;;#ASMSTART
	v_dot2c_f32_f16 v93, v36, v20
	;;#ASMEND
	;;#ASMSTART
	v_dot2c_f32_f16 v92, v36, v12
	;;#ASMEND
	;;#ASMSTART
	v_dot2c_f32_f16 v91, v36, v16
	;;#ASMEND
	;;#ASMSTART
	v_dot2c_f32_f16 v90, v32, v20
	;;#ASMEND
	;;#ASMSTART
	v_dot2c_f32_f16 v89, v32, v12
	;;#ASMEND
	;;#ASMSTART
	v_dot2c_f32_f16 v88, v32, v16
	;;#ASMEND
	;;#ASMSTART
	v_dot2c_f32_f16 v87, v28, v20
	;;#ASMEND
	;;#ASMSTART
	v_dot2c_f32_f16 v86, v28, v12
	;;#ASMEND
	;;#ASMSTART
	v_dot2c_f32_f16 v85, v28, v16
	;;#ASMEND
	;;#ASMSTART
	v_dot2c_f32_f16 v71, v24, v20
	;;#ASMEND
	;;#ASMSTART
	v_dot2c_f32_f16 v69, v24, v12
	;;#ASMEND
	;;#ASMSTART
	v_dot2c_f32_f16 v61, v24, v16
	;;#ASMEND
	s_nop 0
	;;#ASMSTART
	v_dot2c_f32_f16 v93, v37, v21
	;;#ASMEND
	;;#ASMSTART
	v_dot2c_f32_f16 v92, v37, v13
	;;#ASMEND
	;;#ASMSTART
	v_dot2c_f32_f16 v91, v37, v17
	;;#ASMEND
	;;#ASMSTART
	v_dot2c_f32_f16 v90, v33, v21
	;;#ASMEND
	;;#ASMSTART
	v_dot2c_f32_f16 v89, v33, v13
	;;#ASMEND
	;;#ASMSTART
	v_dot2c_f32_f16 v88, v33, v17
	;;#ASMEND
	;;#ASMSTART
	v_dot2c_f32_f16 v87, v29, v21
	;;#ASMEND
	;;#ASMSTART
	v_dot2c_f32_f16 v86, v29, v13
	;;#ASMEND
	;;#ASMSTART
	v_dot2c_f32_f16 v85, v29, v17
	;;#ASMEND
	;;#ASMSTART
	v_dot2c_f32_f16 v71, v25, v21
	;;#ASMEND
	;;#ASMSTART
	v_dot2c_f32_f16 v69, v25, v13
	;;#ASMEND
	;;#ASMSTART
	v_dot2c_f32_f16 v61, v25, v17
	;;#ASMEND
	s_nop 0
	;; [unrolled: 37-line block ×5, first 2 shown]
	;;#ASMSTART
	v_dot2c_f32_f16 v93, v53, v9
	;;#ASMEND
	;;#ASMSTART
	v_dot2c_f32_f16 v92, v53, v5
	;;#ASMEND
	;; [unrolled: 3-line block ×12, first 2 shown]
	s_addk_i32 s30, 0x400
	;;#ASMSTART
	v_dot2c_f32_f16 v93, v54, v10
	;;#ASMEND
	;;#ASMSTART
	v_dot2c_f32_f16 v92, v54, v6
	;;#ASMEND
	;; [unrolled: 3-line block ×12, first 2 shown]
	s_cmp_ge_u32 s30, s8
	v_add_u32_e32 v94, 0x800, v94
	;;#ASMSTART
	v_dot2c_f32_f16 v93, v55, v11
	;;#ASMEND
	;;#ASMSTART
	v_dot2c_f32_f16 v92, v55, v7
	;;#ASMEND
	;; [unrolled: 3-line block ×12, first 2 shown]
	s_cbranch_scc1 .LBB120_52
.LBB120_18:                             ;   Parent Loop BB120_13 Depth=1
                                        ; =>  This Inner Loop Header: Depth=2
	v_add_u32_e32 v80, s30, v62
	v_min_u32_e32 v64, s36, v80
	s_waitcnt lgkmcnt(0)
	v_lshl_add_u64 v[0:1], v[64:65], 1, s[18:19]
	v_add_u32_e32 v78, 0x200, v80
	v_lshl_add_u64 v[2:3], v[0:1], 0, v[72:73]
	v_min_u32_e32 v64, s36, v78
	v_lshl_add_u64 v[4:5], v[0:1], 0, v[74:75]
	global_load_dwordx4 v[20:23], v[2:3], off nt
	global_load_dwordx4 v[12:15], v[4:5], off nt
	v_lshl_add_u64 v[2:3], v[64:65], 1, s[18:19]
	v_lshl_add_u64 v[0:1], v[0:1], 0, v[76:77]
	v_lshl_add_u64 v[4:5], v[2:3], 0, v[72:73]
	s_waitcnt vmcnt(2)
	v_lshl_add_u64 v[24:25], v[2:3], 0, v[74:75]
	global_load_dwordx4 v[16:19], v[0:1], off nt
	global_load_dwordx4 v[8:11], v[4:5], off nt
	v_lshl_add_u64 v[26:27], v[2:3], 0, v[76:77]
	global_load_dwordx4 v[4:7], v[24:25], off nt
	global_load_dwordx4 v[0:3], v[26:27], off nt
	s_mov_b32 s27, s26
	v_cmp_gt_u32_e32 vcc, s8, v80
	v_mov_b64_e32 v[46:47], s[26:27]
	v_mov_b32_e32 v43, 0
	v_mov_b32_e32 v42, 0
	;; [unrolled: 1-line block ×4, first 2 shown]
	v_mov_b64_e32 v[44:45], s[26:27]
	v_mov_b64_e32 v[50:51], s[26:27]
	;; [unrolled: 1-line block ×13, first 2 shown]
	s_and_saveexec_b64 s[4:5], vcc
	s_cbranch_execz .LBB120_17
; %bb.19:                               ;   in Loop: Header=BB120_18 Depth=2
	v_cmp_lt_u32_e32 vcc, s10, v80
                                        ; implicit-def: $vgpr38_vgpr39
	s_and_saveexec_b64 s[6:7], vcc
	s_xor_b64 s[6:7], exec, s[6:7]
	s_cbranch_execz .LBB120_21
; %bb.20:                               ;   in Loop: Header=BB120_18 Depth=2
	v_mov_b32_e32 v81, v65
	v_lshl_add_u64 v[24:25], v[80:81], 1, s[12:13]
	global_load_dwordx4 v[36:39], v[24:25], off
.LBB120_21:                             ;   in Loop: Header=BB120_18 Depth=2
	s_andn2_saveexec_b64 s[6:7], s[6:7]
	s_cbranch_execz .LBB120_23
; %bb.22:                               ;   in Loop: Header=BB120_18 Depth=2
	s_waitcnt vmcnt(0)
	ds_read_b128 v[36:39], v94
.LBB120_23:                             ;   in Loop: Header=BB120_18 Depth=2
	s_or_b64 exec, exec, s[6:7]
	v_add_u32_e32 v64, s30, v67
	v_cmp_lt_u32_e32 vcc, s10, v64
                                        ; implicit-def: $vgpr34_vgpr35
	s_and_saveexec_b64 s[6:7], vcc
	s_xor_b64 s[6:7], exec, s[6:7]
	s_cbranch_execz .LBB120_25
; %bb.24:                               ;   in Loop: Header=BB120_18 Depth=2
	v_lshl_add_u64 v[24:25], v[64:65], 1, s[12:13]
	global_load_dwordx4 v[32:35], v[24:25], off
.LBB120_25:                             ;   in Loop: Header=BB120_18 Depth=2
	s_andn2_saveexec_b64 s[6:7], s[6:7]
	s_cbranch_execz .LBB120_27
; %bb.26:                               ;   in Loop: Header=BB120_18 Depth=2
	v_add_u32_e32 v24, s42, v94
	s_waitcnt vmcnt(0)
	ds_read_b128 v[32:35], v24
.LBB120_27:                             ;   in Loop: Header=BB120_18 Depth=2
	s_or_b64 exec, exec, s[6:7]
	v_add_u32_e32 v82, s30, v84
	v_cmp_lt_u32_e32 vcc, s10, v82
                                        ; implicit-def: $vgpr30_vgpr31
	s_and_saveexec_b64 s[6:7], vcc
	s_xor_b64 s[6:7], exec, s[6:7]
	s_cbranch_execz .LBB120_29
; %bb.28:                               ;   in Loop: Header=BB120_18 Depth=2
	v_mov_b32_e32 v83, v65
	v_lshl_add_u64 v[24:25], v[82:83], 1, s[12:13]
	global_load_dwordx4 v[28:31], v[24:25], off
.LBB120_29:                             ;   in Loop: Header=BB120_18 Depth=2
	s_andn2_saveexec_b64 s[6:7], s[6:7]
	s_cbranch_execz .LBB120_31
; %bb.30:                               ;   in Loop: Header=BB120_18 Depth=2
	v_add_u32_e32 v24, s33, v94
	s_waitcnt vmcnt(0)
	ds_read2_b32 v[28:29], v24 offset1:1
	ds_read2_b32 v[30:31], v24 offset0:2 offset1:3
.LBB120_31:                             ;   in Loop: Header=BB120_18 Depth=2
	s_or_b64 exec, exec, s[6:7]
	v_add_u32_e32 v80, s30, v66
	v_cmp_lt_u32_e32 vcc, s10, v80
                                        ; implicit-def: $vgpr26_vgpr27
	s_and_saveexec_b64 s[6:7], vcc
	s_xor_b64 s[6:7], exec, s[6:7]
	s_cbranch_execz .LBB120_33
; %bb.32:                               ;   in Loop: Header=BB120_18 Depth=2
	v_mov_b32_e32 v81, v65
	v_lshl_add_u64 v[24:25], v[80:81], 1, s[12:13]
	global_load_dwordx4 v[24:27], v[24:25], off
.LBB120_33:                             ;   in Loop: Header=BB120_18 Depth=2
	s_andn2_saveexec_b64 s[6:7], s[6:7]
	s_cbranch_execz .LBB120_35
; %bb.34:                               ;   in Loop: Header=BB120_18 Depth=2
	s_waitcnt vmcnt(0)
	v_add_u32_e32 v24, s43, v94
	ds_read_b128 v[24:27], v24
.LBB120_35:                             ;   in Loop: Header=BB120_18 Depth=2
	s_or_b64 exec, exec, s[6:7]
	s_mov_b32 s27, s26
	v_cmp_gt_u32_e32 vcc, s8, v78
	v_mov_b32_e32 v43, 0
	v_mov_b64_e32 v[46:47], s[26:27]
	v_mov_b32_e32 v42, 0
	v_mov_b32_e32 v41, 0
	;; [unrolled: 1-line block ×3, first 2 shown]
	v_mov_b64_e32 v[44:45], s[26:27]
	v_mov_b64_e32 v[50:51], s[26:27]
	;; [unrolled: 1-line block ×5, first 2 shown]
	s_and_saveexec_b64 s[6:7], vcc
	s_cbranch_execz .LBB120_16
; %bb.36:                               ;   in Loop: Header=BB120_18 Depth=2
	v_cmp_lt_u32_e32 vcc, s10, v78
                                        ; implicit-def: $vgpr54_vgpr55
	s_and_saveexec_b64 s[28:29], vcc
	s_xor_b64 s[28:29], exec, s[28:29]
	s_cbranch_execz .LBB120_38
; %bb.37:                               ;   in Loop: Header=BB120_18 Depth=2
	v_mov_b32_e32 v79, v65
	v_lshl_add_u64 v[40:41], v[78:79], 1, s[12:13]
	global_load_dwordx4 v[52:55], v[40:41], off
.LBB120_38:                             ;   in Loop: Header=BB120_18 Depth=2
	s_andn2_saveexec_b64 s[28:29], s[28:29]
	s_cbranch_execz .LBB120_40
; %bb.39:                               ;   in Loop: Header=BB120_18 Depth=2
	s_waitcnt vmcnt(0)
	ds_read_b128 v[52:55], v94 offset:1024
.LBB120_40:                             ;   in Loop: Header=BB120_18 Depth=2
	s_or_b64 exec, exec, s[28:29]
	v_add_u32_e32 v64, 0x200, v64
	v_cmp_lt_u32_e32 vcc, s10, v64
                                        ; implicit-def: $vgpr50_vgpr51
	s_and_saveexec_b64 s[28:29], vcc
	s_xor_b64 s[28:29], exec, s[28:29]
	s_cbranch_execz .LBB120_42
; %bb.41:                               ;   in Loop: Header=BB120_18 Depth=2
	v_lshl_add_u64 v[40:41], v[64:65], 1, s[12:13]
	global_load_dwordx4 v[48:51], v[40:41], off
.LBB120_42:                             ;   in Loop: Header=BB120_18 Depth=2
	s_andn2_saveexec_b64 s[28:29], s[28:29]
	s_cbranch_execz .LBB120_44
; %bb.43:                               ;   in Loop: Header=BB120_18 Depth=2
	v_add_u32_e32 v40, s42, v94
	s_waitcnt vmcnt(0)
	ds_read_b128 v[48:51], v40 offset:1024
.LBB120_44:                             ;   in Loop: Header=BB120_18 Depth=2
	s_or_b64 exec, exec, s[28:29]
	v_add_u32_e32 v64, 0x200, v82
	v_cmp_lt_u32_e32 vcc, s10, v64
                                        ; implicit-def: $vgpr46_vgpr47
	s_and_saveexec_b64 s[28:29], vcc
	s_xor_b64 s[28:29], exec, s[28:29]
	s_cbranch_execz .LBB120_46
; %bb.45:                               ;   in Loop: Header=BB120_18 Depth=2
	v_lshl_add_u64 v[40:41], v[64:65], 1, s[12:13]
	global_load_dwordx4 v[44:47], v[40:41], off
.LBB120_46:                             ;   in Loop: Header=BB120_18 Depth=2
	s_andn2_saveexec_b64 s[28:29], s[28:29]
	s_cbranch_execz .LBB120_48
; %bb.47:                               ;   in Loop: Header=BB120_18 Depth=2
	v_add_u32_e32 v40, s33, v94
	v_add_u32_e32 v41, 0x400, v40
	;; [unrolled: 1-line block ×3, first 2 shown]
	s_waitcnt vmcnt(0)
	ds_read2_b32 v[44:45], v41 offset1:1
	ds_read2_b32 v[46:47], v40 offset1:1
.LBB120_48:                             ;   in Loop: Header=BB120_18 Depth=2
	s_or_b64 exec, exec, s[28:29]
	v_add_u32_e32 v64, 0x200, v80
	v_cmp_lt_u32_e32 vcc, s10, v64
                                        ; implicit-def: $vgpr43
	s_and_saveexec_b64 s[28:29], vcc
	s_xor_b64 s[28:29], exec, s[28:29]
	s_cbranch_execz .LBB120_50
; %bb.49:                               ;   in Loop: Header=BB120_18 Depth=2
	v_lshl_add_u64 v[40:41], v[64:65], 1, s[12:13]
	global_load_dwordx4 v[40:43], v[40:41], off
.LBB120_50:                             ;   in Loop: Header=BB120_18 Depth=2
	s_andn2_saveexec_b64 s[28:29], s[28:29]
	s_cbranch_execz .LBB120_15
; %bb.51:                               ;   in Loop: Header=BB120_18 Depth=2
	s_waitcnt vmcnt(0)
	v_add_u32_e32 v40, s43, v94
	ds_read_b128 v[40:43], v40 offset:1024
	s_branch .LBB120_15
.LBB120_52:                             ;   in Loop: Header=BB120_13 Depth=1
	v_cvt_i32_f32_e32 v0, v93
	v_cvt_i32_f32_e32 v1, v92
	;; [unrolled: 1-line block ×4, first 2 shown]
	v_cvt_f32_i32_dpp v0, v0 row_shr:8 row_mask:0xf bank_mask:0xf bound_ctrl:1
	v_cvt_f32_i32_dpp v1, v1 row_shr:8 row_mask:0xf bank_mask:0xf bound_ctrl:1
	;; [unrolled: 1-line block ×4, first 2 shown]
	v_add_f32_e32 v0, v93, v0
	v_cvt_i32_f32_e32 v5, v0
	v_add_f32_e32 v1, v92, v1
	v_cvt_i32_f32_e32 v6, v1
	v_add_f32_e32 v7, v90, v3
	v_cvt_f32_i32_dpp v5, v5 row_shr:4 row_mask:0xf bank_mask:0xf bound_ctrl:1
	v_add_f32_e32 v2, v91, v2
	v_cvt_f32_i32_dpp v3, v6 row_shr:4 row_mask:0xf bank_mask:0xf bound_ctrl:1
	v_cvt_i32_f32_e32 v6, v2
	v_add_f32_e32 v0, v0, v5
	v_cvt_i32_f32_e32 v5, v0
	v_add_f32_e32 v1, v1, v3
	v_cvt_i32_f32_e32 v3, v1
	v_cvt_f32_i32_dpp v6, v6 row_shr:4 row_mask:0xf bank_mask:0xf bound_ctrl:1
	v_cvt_f32_i32_dpp v5, v5 row_shr:2 row_mask:0xf bank_mask:0xf bound_ctrl:1
	v_cvt_i32_f32_e32 v8, v7
	v_cvt_f32_i32_dpp v3, v3 row_shr:2 row_mask:0xf bank_mask:0xf bound_ctrl:1
	v_add_f32_e32 v2, v2, v6
	v_add_f32_e32 v0, v0, v5
	v_cvt_i32_f32_e32 v5, v0
	v_add_f32_e32 v1, v1, v3
	v_cvt_i32_f32_e32 v3, v1
	v_cvt_i32_f32_e32 v6, v2
	v_cvt_f32_i32_dpp v5, v5 row_shr:1 row_mask:0xf bank_mask:0xf bound_ctrl:1
	v_cvt_f32_i32_dpp v8, v8 row_shr:4 row_mask:0xf bank_mask:0xf bound_ctrl:1
	;; [unrolled: 1-line block ×4, first 2 shown]
	v_add_f32_e32 v0, v0, v5
	v_cvt_i32_f32_e32 v5, v0
	v_add_f32_e32 v1, v1, v3
	v_cvt_i32_f32_e32 v3, v1
	v_add_f32_e32 v2, v2, v6
	v_cvt_f32_i32_dpp v5, v5 row_bcast:15 row_mask:0xf bank_mask:0xf bound_ctrl:1
	v_cvt_i32_f32_e32 v4, v89
	v_cvt_f32_i32_dpp v9, v3 row_bcast:15 row_mask:0xf bank_mask:0xf bound_ctrl:1
	v_cvt_i32_f32_e32 v6, v2
	v_add_f32_e32 v3, v0, v5
	v_cvt_i32_f32_e32 v0, v3
	v_add_f32_e32 v7, v7, v8
	v_cvt_f32_i32_dpp v6, v6 row_shr:1 row_mask:0xf bank_mask:0xf bound_ctrl:1
	v_cvt_f32_i32_dpp v4, v4 row_shr:8 row_mask:0xf bank_mask:0xf bound_ctrl:1
	v_mov_b32_dpp v5, v0 row_bcast:31 row_mask:0xf bank_mask:0xf bound_ctrl:1
	v_cvt_i32_f32_e32 v0, v7
	v_add_f32_e32 v1, v1, v9
	v_add_f32_e32 v2, v2, v6
	;; [unrolled: 1-line block ×3, first 2 shown]
	v_cvt_f32_i32_dpp v0, v0 row_shr:2 row_mask:0xf bank_mask:0xf bound_ctrl:1
	v_cvt_i32_f32_e32 v6, v2
	v_cvt_i32_f32_e32 v4, v9
	;; [unrolled: 1-line block ×3, first 2 shown]
	v_add_f32_e32 v7, v7, v0
	v_cvt_i32_f32_e32 v0, v7
	v_cvt_f32_i32_dpp v6, v6 row_bcast:15 row_mask:0xf bank_mask:0xf bound_ctrl:1
	v_cvt_f32_i32_dpp v10, v4 row_shr:4 row_mask:0xf bank_mask:0xf bound_ctrl:1
	v_mov_b32_dpp v4, v8 row_bcast:31 row_mask:0xf bank_mask:0xf bound_ctrl:1
	v_cvt_f32_i32_dpp v8, v0 row_shr:1 row_mask:0xf bank_mask:0xf bound_ctrl:1
	v_add_f32_e32 v0, v2, v6
	v_add_f32_e32 v2, v9, v10
	v_cvt_i32_f32_e32 v6, v2
	v_add_f32_e32 v7, v7, v8
	v_cvt_i32_f32_e32 v8, v88
	v_cvt_i32_f32_e32 v9, v7
	v_cvt_f32_i32_dpp v6, v6 row_shr:2 row_mask:0xf bank_mask:0xf bound_ctrl:1
	v_cvt_i32_f32_e32 v10, v0
	v_cvt_f32_i32_dpp v8, v8 row_shr:8 row_mask:0xf bank_mask:0xf bound_ctrl:1
	v_cvt_f32_i32_dpp v9, v9 row_bcast:15 row_mask:0xf bank_mask:0xf bound_ctrl:1
	v_add_f32_e32 v11, v2, v6
	v_cvt_i32_f32_e32 v2, v11
	v_add_f32_e32 v8, v88, v8
	v_cvt_i32_f32_e32 v12, v8
	v_mov_b32_dpp v6, v10 row_bcast:31 row_mask:0xf bank_mask:0xf bound_ctrl:1
	v_cvt_f32_i32_dpp v10, v2 row_shr:1 row_mask:0xf bank_mask:0xf bound_ctrl:1
	v_add_f32_e32 v2, v7, v9
	v_cvt_f32_i32_dpp v7, v12 row_shr:4 row_mask:0xf bank_mask:0xf bound_ctrl:1
	v_cvt_i32_f32_e32 v9, v2
	v_add_f32_e32 v10, v11, v10
	v_cvt_i32_f32_e32 v11, v87
	v_add_f32_e32 v8, v8, v7
	v_cvt_i32_f32_e32 v12, v8
	v_cvt_i32_f32_e32 v13, v10
	v_cvt_f32_i32_dpp v11, v11 row_shr:8 row_mask:0xf bank_mask:0xf bound_ctrl:1
	v_mov_b32_dpp v7, v9 row_bcast:31 row_mask:0xf bank_mask:0xf bound_ctrl:1
	v_cvt_f32_i32_dpp v9, v12 row_shr:2 row_mask:0xf bank_mask:0xf bound_ctrl:1
	v_cvt_f32_i32_dpp v12, v13 row_bcast:15 row_mask:0xf bank_mask:0xf bound_ctrl:1
	v_add_f32_e32 v11, v87, v11
	v_cvt_i32_f32_e32 v13, v11
	v_cvt_i32_f32_e32 v14, v86
	v_add_f32_e32 v9, v8, v9
	v_add_f32_e32 v8, v10, v12
	v_cvt_f32_i32_dpp v13, v13 row_shr:4 row_mask:0xf bank_mask:0xf bound_ctrl:1
	v_cvt_f32_i32_dpp v10, v14 row_shr:8 row_mask:0xf bank_mask:0xf bound_ctrl:1
	v_cvt_i32_f32_e32 v15, v9
	v_add_f32_e32 v11, v11, v13
	v_cvt_i32_f32_e32 v13, v11
	v_add_f32_e32 v10, v86, v10
	v_cvt_f32_i32_dpp v12, v15 row_shr:1 row_mask:0xf bank_mask:0xf bound_ctrl:1
	v_cvt_i32_f32_e32 v14, v10
	v_cvt_f32_i32_dpp v13, v13 row_shr:2 row_mask:0xf bank_mask:0xf bound_ctrl:1
	v_cvt_i32_f32_e32 v15, v8
	v_add_f32_e32 v9, v9, v12
	v_cvt_f32_i32_dpp v12, v14 row_shr:4 row_mask:0xf bank_mask:0xf bound_ctrl:1
	v_add_f32_e32 v11, v11, v13
	v_cvt_i32_f32_e32 v13, v11
	v_cvt_i32_f32_e32 v14, v9
	v_add_f32_e32 v10, v10, v12
	v_cvt_i32_f32_e32 v12, v10
	v_cvt_f32_i32_dpp v13, v13 row_shr:1 row_mask:0xf bank_mask:0xf bound_ctrl:1
	v_cvt_f32_i32_dpp v16, v14 row_bcast:15 row_mask:0xf bank_mask:0xf bound_ctrl:1
	v_mov_b32_dpp v14, v15 row_bcast:31 row_mask:0xf bank_mask:0xf bound_ctrl:1
	v_cvt_f32_i32_dpp v12, v12 row_shr:2 row_mask:0xf bank_mask:0xf bound_ctrl:1
	v_add_f32_e32 v11, v11, v13
	v_cvt_i32_f32_e32 v13, v85
	v_cvt_i32_f32_e32 v15, v11
	v_add_f32_e32 v10, v10, v12
	v_cvt_i32_f32_e32 v12, v10
	v_cvt_f32_i32_dpp v13, v13 row_shr:8 row_mask:0xf bank_mask:0xf bound_ctrl:1
	v_cvt_f32_i32_dpp v15, v15 row_bcast:15 row_mask:0xf bank_mask:0xf bound_ctrl:1
	v_add_f32_e32 v9, v9, v16
	v_cvt_f32_i32_dpp v12, v12 row_shr:1 row_mask:0xf bank_mask:0xf bound_ctrl:1
	v_add_f32_e32 v13, v85, v13
	v_cvt_i32_f32_e32 v17, v13
	v_cvt_i32_f32_e32 v16, v9
	v_add_f32_e32 v12, v10, v12
	v_cvt_i32_f32_e32 v18, v12
	v_cvt_f32_i32_dpp v17, v17 row_shr:4 row_mask:0xf bank_mask:0xf bound_ctrl:1
	v_add_f32_e32 v10, v11, v15
	v_cvt_i32_f32_e32 v15, v71
	v_cvt_f32_i32_dpp v11, v18 row_bcast:15 row_mask:0xf bank_mask:0xf bound_ctrl:1
	v_add_f32_e32 v13, v13, v17
	v_cvt_i32_f32_e32 v17, v13
	v_cvt_f32_i32_dpp v15, v15 row_shr:8 row_mask:0xf bank_mask:0xf bound_ctrl:1
	v_add_f32_e32 v11, v12, v11
	v_cvt_i32_f32_e32 v18, v10
	v_cvt_f32_i32_dpp v12, v17 row_shr:2 row_mask:0xf bank_mask:0xf bound_ctrl:1
	v_add_f32_e32 v15, v71, v15
	v_cvt_i32_f32_e32 v19, v15
	v_cvt_i32_f32_e32 v17, v11
	v_add_f32_e32 v12, v13, v12
	v_cvt_i32_f32_e32 v20, v12
	v_cvt_f32_i32_dpp v19, v19 row_shr:4 row_mask:0xf bank_mask:0xf bound_ctrl:1
	v_mov_b32_dpp v13, v17 row_bcast:31 row_mask:0xf bank_mask:0xf bound_ctrl:1
	v_mov_b32_dpp v16, v16 row_bcast:31 row_mask:0xf bank_mask:0xf bound_ctrl:1
	v_cvt_f32_i32_dpp v17, v20 row_shr:1 row_mask:0xf bank_mask:0xf bound_ctrl:1
	v_cvt_i32_f32_e32 v20, v69
	v_add_f32_e32 v15, v15, v19
	v_cvt_i32_f32_e32 v19, v61
	v_add_f32_e32 v12, v12, v17
	v_cvt_f32_i32_dpp v20, v20 row_shr:8 row_mask:0xf bank_mask:0xf bound_ctrl:1
	v_cvt_i32_f32_e32 v21, v15
	v_cvt_f32_i32_dpp v17, v19 row_shr:8 row_mask:0xf bank_mask:0xf bound_ctrl:1
	v_cvt_i32_f32_e32 v23, v12
	v_add_f32_e32 v20, v69, v20
	v_cvt_f32_i32_dpp v19, v21 row_shr:2 row_mask:0xf bank_mask:0xf bound_ctrl:1
	v_add_f32_e32 v17, v61, v17
	v_cvt_i32_f32_e32 v21, v20
	v_cvt_i32_f32_e32 v22, v17
	v_add_f32_e32 v15, v15, v19
	v_cvt_f32_i32_dpp v23, v23 row_bcast:15 row_mask:0xf bank_mask:0xf bound_ctrl:1
	v_cvt_f32_i32_dpp v21, v21 row_shr:4 row_mask:0xf bank_mask:0xf bound_ctrl:1
	v_cvt_f32_i32_dpp v19, v22 row_shr:4 row_mask:0xf bank_mask:0xf bound_ctrl:1
	v_cvt_i32_f32_e32 v22, v15
	v_mov_b32_dpp v18, v18 row_bcast:31 row_mask:0xf bank_mask:0xf bound_ctrl:1
	v_add_f32_e32 v20, v20, v21
	v_add_f32_e32 v17, v17, v19
	v_cvt_i32_f32_e32 v21, v20
	v_cvt_i32_f32_e32 v19, v17
	v_cvt_f32_i32_dpp v22, v22 row_shr:1 row_mask:0xf bank_mask:0xf bound_ctrl:1
	v_cvt_f32_i32_dpp v21, v21 row_shr:2 row_mask:0xf bank_mask:0xf bound_ctrl:1
	;; [unrolled: 1-line block ×3, first 2 shown]
	v_add_f32_e32 v15, v15, v22
	v_cvt_i32_f32_e32 v22, v15
	v_add_f32_e32 v20, v20, v21
	v_add_f32_e32 v17, v17, v19
	v_cvt_i32_f32_e32 v21, v20
	v_cvt_i32_f32_e32 v19, v17
	s_waitcnt vmcnt(0)
	v_cvt_f32_i32_dpp v24, v21 row_shr:1 row_mask:0xf bank_mask:0xf bound_ctrl:1
	v_add_f32_e32 v21, v12, v23
	v_cvt_f32_i32_dpp v12, v19 row_shr:1 row_mask:0xf bank_mask:0xf bound_ctrl:1
	v_cvt_f32_i32_dpp v19, v22 row_bcast:15 row_mask:0xf bank_mask:0xf bound_ctrl:1
	v_add_f32_e32 v22, v20, v24
	v_cvt_i32_f32_e32 v20, v22
	v_add_f32_e32 v12, v17, v12
	v_cvt_i32_f32_e32 v17, v12
	v_cvt_i32_f32_e32 v23, v21
	v_cvt_f32_i32_dpp v24, v20 row_bcast:15 row_mask:0xf bank_mask:0xf bound_ctrl:1
	v_add_f32_e32 v20, v15, v19
	v_cvt_f32_i32_dpp v15, v17 row_bcast:15 row_mask:0xf bank_mask:0xf bound_ctrl:1
	v_cvt_i32_f32_e32 v19, v20
	v_add_f32_e32 v17, v22, v24
	v_cvt_i32_f32_e32 v24, v17
	v_add_f32_e32 v12, v12, v15
	v_cvt_i32_f32_e32 v15, v12
	v_mov_b32_dpp v23, v23 row_bcast:31 row_mask:0xf bank_mask:0xf bound_ctrl:1
	v_mov_b32_dpp v22, v19 row_bcast:31 row_mask:0xf bank_mask:0xf bound_ctrl:1
	;; [unrolled: 1-line block ×4, first 2 shown]
	s_and_saveexec_b64 s[28:29], s[0:1]
	s_cbranch_execz .LBB120_68
; %bb.53:                               ;   in Loop: Header=BB120_13 Depth=1
	s_andn2_b64 vcc, exec, s[24:25]
	v_mov_b32_e32 v35, 0
	v_mov_b32_e32 v34, 0
	;; [unrolled: 1-line block ×12, first 2 shown]
	s_cbranch_vccnz .LBB120_55
; %bb.54:                               ;   in Loop: Header=BB120_13 Depth=1
	v_mul_hi_u32 v24, v60, v59
	v_mul_lo_u32 v24, v24, s16
	v_sub_u32_e32 v24, v60, v24
	v_subrev_u32_e32 v25, s16, v24
	v_cmp_le_u32_e32 vcc, s16, v24
	v_mul_hi_u32 v26, v70, v59
	v_mul_lo_u32 v26, v26, s16
	v_cndmask_b32_e32 v24, v24, v25, vcc
	v_subrev_u32_e32 v25, s16, v24
	v_cmp_le_u32_e32 vcc, s16, v24
	v_sub_u32_e32 v26, v70, v26
	v_subrev_u32_e32 v27, s16, v26
	v_cndmask_b32_e32 v64, v24, v25, vcc
	v_cmp_le_u32_e32 vcc, s16, v26
	v_add_u32_e32 v30, s39, v64
	v_mov_b32_e32 v31, v65
	v_cndmask_b32_e32 v26, v26, v27, vcc
	v_subrev_u32_e32 v27, s16, v26
	v_cmp_le_u32_e32 vcc, s16, v26
	v_lshl_add_u64 v[40:41], v[30:31], 1, s[14:15]
	v_lshl_add_u64 v[24:25], v[64:65], 1, s[14:15]
	v_cndmask_b32_e32 v26, v26, v27, vcc
	v_mov_b32_e32 v27, v65
	v_lshl_add_u64 v[36:37], v[26:27], 1, s[14:15]
	v_mul_hi_u32 v27, v68, v59
	v_mul_lo_u32 v27, v27, s16
	v_sub_u32_e32 v27, v68, v27
	v_subrev_u32_e32 v28, s16, v27
	v_cmp_le_u32_e32 vcc, s16, v27
	v_add_u32_e32 v30, s39, v26
	v_lshl_add_u64 v[42:43], v[30:31], 1, s[14:15]
	v_cndmask_b32_e32 v27, v27, v28, vcc
	v_subrev_u32_e32 v28, s16, v27
	v_cmp_le_u32_e32 vcc, s16, v27
	v_mov_b32_e32 v29, v65
	s_nop 0
	v_cndmask_b32_e32 v28, v27, v28, vcc
	v_add_u32_e32 v30, s39, v28
	v_lshl_add_u64 v[44:45], v[30:31], 1, s[14:15]
	v_add_u32_e32 v30, s40, v64
	v_lshl_add_u64 v[46:47], v[30:31], 1, s[14:15]
	;; [unrolled: 2-line block ×3, first 2 shown]
	v_lshl_add_u64 v[48:49], v[30:31], 1, s[14:15]
	global_load_ushort v35, v[24:25], off
	global_load_ushort v34, v[36:37], off
	;; [unrolled: 1-line block ×8, first 2 shown]
	v_add_u32_e32 v64, s41, v64
	v_add_u32_e32 v24, s40, v28
	v_mov_b32_e32 v25, v65
	v_lshl_add_u64 v[38:39], v[64:65], 1, s[14:15]
	v_add_u32_e32 v64, s41, v26
	v_lshl_add_u64 v[36:37], v[24:25], 1, s[14:15]
	v_lshl_add_u64 v[40:41], v[64:65], 1, s[14:15]
	v_add_u32_e32 v64, s41, v28
	v_lshl_add_u64 v[42:43], v[64:65], 1, s[14:15]
	global_load_ushort v28, v[36:37], off
	global_load_ushort v26, v[38:39], off
	;; [unrolled: 1-line block ×4, first 2 shown]
.LBB120_55:                             ;   in Loop: Header=BB120_13 Depth=1
	v_cmp_ne_u32_e32 vcc, 0, v56
	s_and_saveexec_b64 s[4:5], vcc
	s_cbranch_execnz .LBB120_73
; %bb.56:                               ;   in Loop: Header=BB120_13 Depth=1
	s_or_b64 exec, exec, s[4:5]
	v_cmp_ne_u32_e64 s[4:5], 0, v57
	s_and_saveexec_b64 s[6:7], s[4:5]
	s_cbranch_execnz .LBB120_74
.LBB120_57:                             ;   in Loop: Header=BB120_13 Depth=1
	s_or_b64 exec, exec, s[6:7]
	v_cmp_ne_u32_e64 s[6:7], 0, v58
	s_and_saveexec_b64 s[30:31], s[6:7]
	s_cbranch_execnz .LBB120_75
.LBB120_58:                             ;   in Loop: Header=BB120_13 Depth=1
	s_or_b64 exec, exec, s[30:31]
	v_add_u32_e32 v64, s11, v60
	s_and_saveexec_b64 s[30:31], vcc
	s_cbranch_execnz .LBB120_76
.LBB120_59:                             ;   in Loop: Header=BB120_13 Depth=1
	s_or_b64 exec, exec, s[30:31]
	s_and_saveexec_b64 s[30:31], s[4:5]
	s_cbranch_execnz .LBB120_77
.LBB120_60:                             ;   in Loop: Header=BB120_13 Depth=1
	s_or_b64 exec, exec, s[30:31]
	s_and_saveexec_b64 s[30:31], s[6:7]
	s_cbranch_execnz .LBB120_78
.LBB120_61:                             ;   in Loop: Header=BB120_13 Depth=1
	s_or_b64 exec, exec, s[30:31]
	v_add_u32_e32 v64, s11, v64
	s_and_saveexec_b64 s[30:31], vcc
	s_cbranch_execnz .LBB120_79
.LBB120_62:                             ;   in Loop: Header=BB120_13 Depth=1
	s_or_b64 exec, exec, s[30:31]
	s_and_saveexec_b64 s[30:31], s[4:5]
	s_cbranch_execnz .LBB120_80
.LBB120_63:                             ;   in Loop: Header=BB120_13 Depth=1
	s_or_b64 exec, exec, s[30:31]
	s_and_saveexec_b64 s[30:31], s[6:7]
	s_cbranch_execnz .LBB120_81
.LBB120_64:                             ;   in Loop: Header=BB120_13 Depth=1
	s_or_b64 exec, exec, s[30:31]
	v_add_u32_e32 v64, s11, v64
	s_and_saveexec_b64 s[30:31], vcc
	s_cbranch_execnz .LBB120_82
.LBB120_65:                             ;   in Loop: Header=BB120_13 Depth=1
	s_or_b64 exec, exec, s[30:31]
	s_and_saveexec_b64 s[30:31], s[4:5]
	s_cbranch_execnz .LBB120_83
.LBB120_66:                             ;   in Loop: Header=BB120_13 Depth=1
	s_or_b64 exec, exec, s[30:31]
	s_and_b64 exec, exec, s[6:7]
	s_cbranch_execz .LBB120_68
.LBB120_67:                             ;   in Loop: Header=BB120_13 Depth=1
	v_cvt_f32_i32_e32 v0, v15
	s_waitcnt vmcnt(0)
	v_cvt_f32_f16_e32 v1, v24
	v_add_u32_e32 v64, 2, v64
	v_add_f32_e32 v0, v12, v0
	v_add_f32_e32 v0, v0, v1
	v_cvt_f16_f32_e32 v2, v0
	s_waitcnt lgkmcnt(0)
	v_lshl_add_u64 v[0:1], v[64:65], 1, s[20:21]
	global_store_short v[0:1], v2, off
.LBB120_68:                             ;   in Loop: Header=BB120_13 Depth=1
	s_or_b64 exec, exec, s[28:29]
	v_add_u32_e32 v60, s38, v60
	v_add_u32_e32 v0, 3, v60
	v_cmp_gt_u32_e32 vcc, s11, v60
	v_cmp_le_u32_e64 s[4:5], s11, v0
	s_and_b64 s[4:5], vcc, s[4:5]
	s_and_saveexec_b64 s[6:7], s[4:5]
	s_cbranch_execz .LBB120_12
; %bb.69:                               ;   in Loop: Header=BB120_13 Depth=1
	v_cmp_ne_u32_e32 vcc, s17, v60
	s_and_saveexec_b64 s[28:29], vcc
	s_cbranch_execz .LBB120_11
; %bb.70:                               ;   in Loop: Header=BB120_13 Depth=1
	v_subrev_u32_e32 v0, s17, v60
	v_cmp_lt_u32_e32 vcc, 1, v0
	s_mov_b64 s[30:31], 0
	s_mov_b64 s[34:35], 0
	v_cndmask_b32_e32 v0, 1, v0, vcc
.LBB120_71:                             ;   Parent Loop BB120_13 Depth=1
                                        ; =>  This Inner Loop Header: Depth=2
	s_cmp_lg_u32 s34, 2
	s_cselect_b64 vcc, -1, 0
	s_cmp_lg_u32 s34, 1
	v_cndmask_b32_e32 v58, 0, v58, vcc
	s_cselect_b64 vcc, -1, 0
	s_cmp_lg_u32 s34, 0
	v_cndmask_b32_e32 v57, 0, v57, vcc
	s_cselect_b64 vcc, -1, 0
	s_add_u32 s34, s34, 1
	s_addc_u32 s35, s35, 0
	v_cmp_eq_u32_e64 s[4:5], s34, v0
	s_or_b64 s[30:31], s[4:5], s[30:31]
	v_cndmask_b32_e32 v56, 0, v56, vcc
	s_andn2_b64 exec, exec, s[30:31]
	s_cbranch_execnz .LBB120_71
; %bb.72:                               ;   in Loop: Header=BB120_13 Depth=1
	s_or_b64 exec, exec, s[30:31]
	s_branch .LBB120_11
.LBB120_73:                             ;   in Loop: Header=BB120_13 Depth=1
	v_cvt_f32_i32_e32 v5, v5
	s_waitcnt vmcnt(11)
	v_cvt_f32_f16_e32 v35, v35
	v_mov_b32_e32 v61, v65
	s_waitcnt lgkmcnt(0)
	v_lshl_add_u64 v[36:37], v[60:61], 1, s[20:21]
	v_add_f32_e32 v3, v3, v5
	v_add_f32_e32 v3, v3, v35
	v_cvt_f16_f32_e32 v3, v3
	global_store_short v[36:37], v3, off
	s_or_b64 exec, exec, s[4:5]
	v_cmp_ne_u32_e64 s[4:5], 0, v57
	s_and_saveexec_b64 s[6:7], s[4:5]
	s_cbranch_execz .LBB120_57
.LBB120_74:                             ;   in Loop: Header=BB120_13 Depth=1
	v_cvt_f32_i32_e32 v3, v4
	s_waitcnt vmcnt(10)
	v_cvt_f32_f16_e32 v4, v34
	v_mov_b32_e32 v71, v65
	v_add_f32_e32 v1, v1, v3
	v_add_f32_e32 v1, v1, v4
	v_cvt_f16_f32_e32 v1, v1
	s_waitcnt lgkmcnt(0)
	v_lshl_add_u64 v[4:5], v[70:71], 1, s[20:21]
	global_store_short v[4:5], v1, off
	s_or_b64 exec, exec, s[6:7]
	v_cmp_ne_u32_e64 s[6:7], 0, v58
	s_and_saveexec_b64 s[30:31], s[6:7]
	s_cbranch_execz .LBB120_58
.LBB120_75:                             ;   in Loop: Header=BB120_13 Depth=1
	v_cvt_f32_i32_e32 v1, v6
	s_waitcnt vmcnt(9)
	v_cvt_f32_f16_e32 v3, v33
	v_mov_b32_e32 v69, v65
	v_add_f32_e32 v0, v0, v1
	v_add_f32_e32 v0, v0, v3
	v_cvt_f16_f32_e32 v3, v0
	s_waitcnt lgkmcnt(0)
	v_lshl_add_u64 v[0:1], v[68:69], 1, s[20:21]
	global_store_short v[0:1], v3, off
	s_or_b64 exec, exec, s[30:31]
	v_add_u32_e32 v64, s11, v60
	s_and_saveexec_b64 s[30:31], vcc
	s_cbranch_execz .LBB120_59
.LBB120_76:                             ;   in Loop: Header=BB120_13 Depth=1
	v_cvt_f32_i32_e32 v0, v7
	s_waitcnt vmcnt(8)
	v_cvt_f32_f16_e32 v1, v32
	v_add_f32_e32 v0, v2, v0
	v_add_f32_e32 v0, v0, v1
	v_cvt_f16_f32_e32 v2, v0
	s_waitcnt lgkmcnt(0)
	v_lshl_add_u64 v[0:1], v[64:65], 1, s[20:21]
	global_store_short v[0:1], v2, off
	s_or_b64 exec, exec, s[30:31]
	s_and_saveexec_b64 s[30:31], s[4:5]
	s_cbranch_execz .LBB120_60
.LBB120_77:                             ;   in Loop: Header=BB120_13 Depth=1
	v_cvt_f32_i32_e32 v0, v14
	s_waitcnt vmcnt(7)
	v_cvt_f32_f16_e32 v1, v31
	v_add_f32_e32 v0, v8, v0
	v_add_f32_e32 v0, v0, v1
	v_cvt_f16_f32_e32 v2, v0
	v_add_u32_e32 v0, 1, v64
	v_mov_b32_e32 v1, v65
	s_waitcnt lgkmcnt(0)
	v_lshl_add_u64 v[0:1], v[0:1], 1, s[20:21]
	global_store_short v[0:1], v2, off
	s_or_b64 exec, exec, s[30:31]
	s_and_saveexec_b64 s[30:31], s[6:7]
	s_cbranch_execz .LBB120_61
.LBB120_78:                             ;   in Loop: Header=BB120_13 Depth=1
	v_cvt_f32_i32_e32 v0, v16
	s_waitcnt vmcnt(6)
	v_cvt_f32_f16_e32 v1, v30
	v_add_f32_e32 v0, v9, v0
	v_add_f32_e32 v0, v0, v1
	v_cvt_f16_f32_e32 v2, v0
	v_add_u32_e32 v0, 2, v64
	v_mov_b32_e32 v1, v65
	s_waitcnt lgkmcnt(0)
	v_lshl_add_u64 v[0:1], v[0:1], 1, s[20:21]
	global_store_short v[0:1], v2, off
	s_or_b64 exec, exec, s[30:31]
	v_add_u32_e32 v64, s11, v64
	s_and_saveexec_b64 s[30:31], vcc
	s_cbranch_execz .LBB120_62
.LBB120_79:                             ;   in Loop: Header=BB120_13 Depth=1
	v_cvt_f32_i32_e32 v0, v18
	s_waitcnt vmcnt(5)
	v_cvt_f32_f16_e32 v1, v29
	v_add_f32_e32 v0, v10, v0
	v_add_f32_e32 v0, v0, v1
	v_cvt_f16_f32_e32 v2, v0
	s_waitcnt lgkmcnt(0)
	v_lshl_add_u64 v[0:1], v[64:65], 1, s[20:21]
	global_store_short v[0:1], v2, off
	s_or_b64 exec, exec, s[30:31]
	s_and_saveexec_b64 s[30:31], s[4:5]
	s_cbranch_execz .LBB120_63
.LBB120_80:                             ;   in Loop: Header=BB120_13 Depth=1
	v_cvt_f32_i32_e32 v0, v13
	s_waitcnt vmcnt(4)
	v_cvt_f32_f16_e32 v1, v27
	v_add_f32_e32 v0, v11, v0
	v_add_f32_e32 v0, v0, v1
	v_cvt_f16_f32_e32 v2, v0
	v_add_u32_e32 v0, 1, v64
	v_mov_b32_e32 v1, v65
	s_waitcnt lgkmcnt(0)
	v_lshl_add_u64 v[0:1], v[0:1], 1, s[20:21]
	global_store_short v[0:1], v2, off
	s_or_b64 exec, exec, s[30:31]
	s_and_saveexec_b64 s[30:31], s[6:7]
	s_cbranch_execz .LBB120_64
.LBB120_81:                             ;   in Loop: Header=BB120_13 Depth=1
	v_cvt_f32_i32_e32 v0, v23
	s_waitcnt vmcnt(3)
	v_cvt_f32_f16_e32 v1, v28
	v_add_f32_e32 v0, v21, v0
	v_add_f32_e32 v0, v0, v1
	v_cvt_f16_f32_e32 v2, v0
	v_add_u32_e32 v0, 2, v64
	v_mov_b32_e32 v1, v65
	s_waitcnt lgkmcnt(0)
	v_lshl_add_u64 v[0:1], v[0:1], 1, s[20:21]
	global_store_short v[0:1], v2, off
	s_or_b64 exec, exec, s[30:31]
	v_add_u32_e32 v64, s11, v64
	s_and_saveexec_b64 s[30:31], vcc
	s_cbranch_execz .LBB120_65
.LBB120_82:                             ;   in Loop: Header=BB120_13 Depth=1
	v_cvt_f32_i32_e32 v0, v22
	s_waitcnt vmcnt(2)
	v_cvt_f32_f16_e32 v1, v26
	v_add_f32_e32 v0, v20, v0
	v_add_f32_e32 v0, v0, v1
	v_cvt_f16_f32_e32 v2, v0
	s_waitcnt lgkmcnt(0)
	v_lshl_add_u64 v[0:1], v[64:65], 1, s[20:21]
	global_store_short v[0:1], v2, off
	s_or_b64 exec, exec, s[30:31]
	s_and_saveexec_b64 s[30:31], s[4:5]
	s_cbranch_execz .LBB120_66
.LBB120_83:                             ;   in Loop: Header=BB120_13 Depth=1
	v_cvt_f32_i32_e32 v0, v19
	s_waitcnt vmcnt(1)
	v_cvt_f32_f16_e32 v1, v25
	v_add_f32_e32 v0, v17, v0
	v_add_f32_e32 v0, v0, v1
	v_cvt_f16_f32_e32 v2, v0
	v_add_u32_e32 v0, 1, v64
	v_mov_b32_e32 v1, v65
	s_waitcnt lgkmcnt(0)
	v_lshl_add_u64 v[0:1], v[0:1], 1, s[20:21]
	global_store_short v[0:1], v2, off
	s_or_b64 exec, exec, s[30:31]
	s_and_b64 exec, exec, s[6:7]
	s_cbranch_execnz .LBB120_67
	s_branch .LBB120_68
.LBB120_84:
	s_endpgm
	.section	.rodata,"a",@progbits
	.p2align	6, 0x0
	.amdhsa_kernel _Z12wvSplitK_hf_I6__halfLi64ELi3ELi16ELi8ELi2ELi4EEviiiiiiPKT_S3_S3_PS1_ii
		.amdhsa_group_segment_fixed_size 65536
		.amdhsa_private_segment_fixed_size 0
		.amdhsa_kernarg_size 64
		.amdhsa_user_sgpr_count 2
		.amdhsa_user_sgpr_dispatch_ptr 0
		.amdhsa_user_sgpr_queue_ptr 0
		.amdhsa_user_sgpr_kernarg_segment_ptr 1
		.amdhsa_user_sgpr_dispatch_id 0
		.amdhsa_user_sgpr_kernarg_preload_length 0
		.amdhsa_user_sgpr_kernarg_preload_offset 0
		.amdhsa_user_sgpr_private_segment_size 0
		.amdhsa_uses_dynamic_stack 0
		.amdhsa_enable_private_segment 0
		.amdhsa_system_sgpr_workgroup_id_x 1
		.amdhsa_system_sgpr_workgroup_id_y 0
		.amdhsa_system_sgpr_workgroup_id_z 0
		.amdhsa_system_sgpr_workgroup_info 0
		.amdhsa_system_vgpr_workitem_id 1
		.amdhsa_next_free_vgpr 95
		.amdhsa_next_free_sgpr 44
		.amdhsa_accum_offset 96
		.amdhsa_reserve_vcc 1
		.amdhsa_float_round_mode_32 0
		.amdhsa_float_round_mode_16_64 0
		.amdhsa_float_denorm_mode_32 3
		.amdhsa_float_denorm_mode_16_64 3
		.amdhsa_dx10_clamp 1
		.amdhsa_ieee_mode 1
		.amdhsa_fp16_overflow 0
		.amdhsa_tg_split 0
		.amdhsa_exception_fp_ieee_invalid_op 0
		.amdhsa_exception_fp_denorm_src 0
		.amdhsa_exception_fp_ieee_div_zero 0
		.amdhsa_exception_fp_ieee_overflow 0
		.amdhsa_exception_fp_ieee_underflow 0
		.amdhsa_exception_fp_ieee_inexact 0
		.amdhsa_exception_int_div_zero 0
	.end_amdhsa_kernel
	.section	.text._Z12wvSplitK_hf_I6__halfLi64ELi3ELi16ELi8ELi2ELi4EEviiiiiiPKT_S3_S3_PS1_ii,"axG",@progbits,_Z12wvSplitK_hf_I6__halfLi64ELi3ELi16ELi8ELi2ELi4EEviiiiiiPKT_S3_S3_PS1_ii,comdat
.Lfunc_end120:
	.size	_Z12wvSplitK_hf_I6__halfLi64ELi3ELi16ELi8ELi2ELi4EEviiiiiiPKT_S3_S3_PS1_ii, .Lfunc_end120-_Z12wvSplitK_hf_I6__halfLi64ELi3ELi16ELi8ELi2ELi4EEviiiiiiPKT_S3_S3_PS1_ii
                                        ; -- End function
	.section	.AMDGPU.csdata,"",@progbits
; Kernel info:
; codeLenInByte = 5256
; NumSgprs: 50
; NumVgprs: 95
; NumAgprs: 0
; TotalNumVgprs: 95
; ScratchSize: 0
; MemoryBound: 1
; FloatMode: 240
; IeeeMode: 1
; LDSByteSize: 65536 bytes/workgroup (compile time only)
; SGPRBlocks: 6
; VGPRBlocks: 11
; NumSGPRsForWavesPerEU: 50
; NumVGPRsForWavesPerEU: 95
; AccumOffset: 96
; Occupancy: 4
; WaveLimiterHint : 0
; COMPUTE_PGM_RSRC2:SCRATCH_EN: 0
; COMPUTE_PGM_RSRC2:USER_SGPR: 2
; COMPUTE_PGM_RSRC2:TRAP_HANDLER: 0
; COMPUTE_PGM_RSRC2:TGID_X_EN: 1
; COMPUTE_PGM_RSRC2:TGID_Y_EN: 0
; COMPUTE_PGM_RSRC2:TGID_Z_EN: 0
; COMPUTE_PGM_RSRC2:TIDIG_COMP_CNT: 1
; COMPUTE_PGM_RSRC3_GFX90A:ACCUM_OFFSET: 23
; COMPUTE_PGM_RSRC3_GFX90A:TG_SPLIT: 0
	.section	.text._Z16wvSplitK_hf_big_I6__halfLi64ELi3ELi16ELi8ELi2ELi4EEviiiiiiPKT_S3_S3_PS1_ii,"axG",@progbits,_Z16wvSplitK_hf_big_I6__halfLi64ELi3ELi16ELi8ELi2ELi4EEviiiiiiPKT_S3_S3_PS1_ii,comdat
	.protected	_Z16wvSplitK_hf_big_I6__halfLi64ELi3ELi16ELi8ELi2ELi4EEviiiiiiPKT_S3_S3_PS1_ii ; -- Begin function _Z16wvSplitK_hf_big_I6__halfLi64ELi3ELi16ELi8ELi2ELi4EEviiiiiiPKT_S3_S3_PS1_ii
	.globl	_Z16wvSplitK_hf_big_I6__halfLi64ELi3ELi16ELi8ELi2ELi4EEviiiiiiPKT_S3_S3_PS1_ii
	.p2align	8
	.type	_Z16wvSplitK_hf_big_I6__halfLi64ELi3ELi16ELi8ELi2ELi4EEviiiiiiPKT_S3_S3_PS1_ii,@function
_Z16wvSplitK_hf_big_I6__halfLi64ELi3ELi16ELi8ELi2ELi4EEviiiiiiPKT_S3_S3_PS1_ii: ; @_Z16wvSplitK_hf_big_I6__halfLi64ELi3ELi16ELi8ELi2ELi4EEviiiiiiPKT_S3_S3_PS1_ii
; %bb.0:
	s_load_dwordx2 s[8:9], s[0:1], 0x38
	v_bfe_u32 v1, v0, 10, 10
	s_waitcnt lgkmcnt(0)
	v_cmp_gt_u32_e32 vcc, s8, v1
	s_and_saveexec_b64 s[4:5], vcc
	s_cbranch_execz .LBB121_64
; %bb.1:
	s_load_dwordx4 s[20:23], s[0:1], 0x0
	s_mul_i32 s2, s2, s8
	v_add_u32_e32 v2, s2, v1
	v_lshl_add_u32 v60, v2, 1, v2
	s_mov_b32 s4, 1
	v_add_u32_e32 v2, 3, v60
	s_mov_b32 s6, s4
	s_waitcnt lgkmcnt(0)
	v_cmp_gt_u32_e32 vcc, s23, v60
	v_cmp_le_u32_e64 s[2:3], s23, v2
	s_mov_b32 s5, s4
	v_mov_b32_e32 v58, s6
	s_and_b64 s[10:11], vcc, s[2:3]
	v_mov_b32_e32 v57, s5
	v_mov_b32_e32 v56, s4
	s_and_saveexec_b64 s[2:3], s[10:11]
	s_cbranch_execz .LBB121_7
; %bb.2:
	s_add_i32 s7, s23, -3
	v_mov_b32_e32 v58, s6
	v_cmp_ne_u32_e32 vcc, s7, v60
	v_mov_b32_e32 v57, s5
	v_mov_b32_e32 v56, s4
	s_and_saveexec_b64 s[10:11], vcc
	s_cbranch_execz .LBB121_6
; %bb.3:
	v_subrev_u32_e32 v2, s7, v60
	v_cmp_lt_u32_e32 vcc, 1, v2
	s_mov_b64 s[12:13], 0
	s_mov_b64 s[14:15], 0
	v_cndmask_b32_e32 v2, 1, v2, vcc
	s_mov_b32 s5, s4
	s_mov_b32 s6, s4
.LBB121_4:                              ; =>This Inner Loop Header: Depth=1
	s_cmp_lg_u32 s14, 2
	s_cselect_b32 s6, s6, 0
	s_cmp_lg_u32 s14, 1
	s_cselect_b32 s5, s5, 0
	s_cmp_lg_u32 s14, 0
	s_cselect_b32 s4, s4, 0
	s_add_u32 s14, s14, 1
	s_addc_u32 s15, s15, 0
	v_cmp_eq_u32_e32 vcc, s14, v2
	v_mov_b32_e32 v58, s6
	s_or_b64 s[12:13], vcc, s[12:13]
	v_mov_b32_e32 v57, s5
	v_mov_b32_e32 v56, s4
	s_andn2_b64 exec, exec, s[12:13]
	s_cbranch_execnz .LBB121_4
; %bb.5:
	s_or_b64 exec, exec, s[12:13]
	v_mov_b32_e32 v60, s7
.LBB121_6:
	s_or_b64 exec, exec, s[10:11]
.LBB121_7:
	s_or_b64 exec, exec, s[2:3]
	s_mul_i32 s44, s8, 3
	s_abs_i32 s2, s44
	v_cvt_f32_u32_e32 v2, s2
	s_sub_i32 s5, 0, s2
	s_abs_i32 s4, s23
	s_ashr_i32 s3, s23, 31
	v_rcp_iflag_f32_e32 v2, v2
	s_nop 0
	v_mul_f32_e32 v2, 0x4f7ffffe, v2
	v_cvt_u32_f32_e32 v2, v2
	s_nop 0
	v_readfirstlane_b32 s6, v2
	s_mul_i32 s5, s5, s6
	s_mul_hi_u32 s5, s6, s5
	s_add_i32 s6, s6, s5
	s_mul_hi_u32 s5, s4, s6
	s_mul_i32 s5, s5, s2
	s_sub_i32 s4, s4, s5
	s_sub_i32 s5, s4, s2
	s_cmp_ge_u32 s4, s2
	s_cselect_b32 s4, s5, s4
	s_sub_i32 s5, s4, s2
	s_cmp_ge_u32 s4, s2
	s_cselect_b32 s2, s5, s4
	s_xor_b32 s2, s2, s3
	s_sub_i32 s2, s2, s3
	s_add_i32 s3, s44, s23
	s_sub_i32 s3, s3, s2
	s_cmp_eq_u32 s2, 0
	s_cselect_b32 s33, s23, s3
	v_cmp_gt_u32_e32 vcc, s33, v60
	s_and_b64 exec, exec, vcc
	s_cbranch_execz .LBB121_64
; %bb.8:
	s_load_dwordx8 s[12:19], s[0:1], 0x10
	s_min_u32 s40, s22, 0x2000
	s_cmp_lg_u32 s20, 0
	s_cselect_b64 s[2:3], -1, 0
	s_cmp_lg_u32 s22, 0
	s_cselect_b64 s[4:5], -1, 0
	s_lshl_b32 s41, s8, 9
	s_add_i32 s42, s20, -8
	s_add_i32 s43, s23, -1
	s_waitcnt lgkmcnt(0)
	s_cmp_lg_u64 s[18:19], 0
	s_cselect_b64 s[26:27], -1, 0
	s_abs_i32 s6, s13
	v_cvt_f32_u32_e32 v2, s12
	v_cvt_f32_u32_e32 v3, s6
	s_sub_i32 s7, 0, s12
	s_mul_i32 s44, s44, s9
	v_rcp_iflag_f32_e32 v2, v2
	v_rcp_iflag_f32_e32 v3, v3
	s_add_i32 s13, s23, -3
	s_load_dwordx2 s[10:11], s[0:1], 0x30
	v_mul_f32_e32 v2, 0x4f7ffffe, v2
	v_mul_f32_e32 v3, 0x4f7ffffe, v3
	v_cvt_u32_f32_e32 v2, v2
	v_cvt_u32_f32_e32 v3, v3
	v_and_b32_e32 v0, 0x3ff, v0
	v_lshlrev_b32_e32 v59, 3, v0
	v_mul_lo_u32 v4, s7, v2
	s_sub_i32 s7, 0, s6
	v_readfirstlane_b32 s9, v3
	s_mul_i32 s7, s7, s9
	s_mul_hi_u32 s7, s9, s7
	s_add_i32 s9, s9, s7
	s_sub_i32 s7, 1, s6
	s_cmp_lt_u32 s6, 2
	s_cselect_b32 s7, s7, 1
	s_sub_i32 s28, s7, s6
	s_cmp_ge_u32 s7, s6
	s_cselect_b32 s45, s28, s7
	s_lshr_b32 s7, s9, 31
	s_mul_i32 s7, s7, s6
	s_sub_i32 s7, 2, s7
	s_sub_i32 s28, s7, s6
	s_cmp_ge_u32 s7, s6
	s_cselect_b32 s7, s28, s7
	s_sub_i32 s28, s7, s6
	s_cmp_ge_u32 s7, s6
	s_cselect_b32 s46, s28, s7
	s_mul_hi_u32 s7, s9, 3
	s_mul_i32 s7, s7, s6
	s_sub_i32 s7, 3, s7
	s_sub_i32 s9, s7, s6
	s_cmp_ge_u32 s7, s6
	s_cselect_b32 s7, s9, s7
	v_cmp_eq_u32_e64 s[0:1], 63, v0
	v_mul_hi_u32 v4, v2, v4
	s_sub_i32 s9, s7, s6
	v_lshlrev_b32_e32 v0, 4, v0
	v_add_u32_e32 v65, v2, v4
	s_cmp_ge_u32 s7, s6
	v_lshl_add_u32 v74, v1, 10, v0
	v_lshl_add_u32 v64, v1, 9, v59
	v_cndmask_b32_e64 v0, 0, 1, s[2:3]
	s_cselect_b32 s47, s9, s7
	s_waitcnt lgkmcnt(0)
	s_add_u32 s28, s10, 2
	v_mad_u64_u32 v[66:67], s[6:7], s22, 3, v[64:65]
	v_cmp_ne_u32_e64 s[2:3], 1, v0
	v_cndmask_b32_e64 v0, 0, 1, s[4:5]
	s_mov_b64 s[24:25], 0
	v_mov_b32_e32 v63, 0
	s_mul_i32 s45, s45, s12
	s_mul_i32 s46, s46, s12
	;; [unrolled: 1-line block ×3, first 2 shown]
	s_addc_u32 s29, s11, 0
	s_mul_i32 s48, s40, 6
	s_lshl_b32 s49, s8, 10
	s_lshl_b32 s50, s40, 2
	;; [unrolled: 1-line block ×3, first 2 shown]
	v_lshl_add_u32 v75, s22, 1, v64
	v_add_u32_e32 v67, s22, v64
	v_cmp_ne_u32_e64 s[4:5], 1, v0
	s_branch .LBB121_12
.LBB121_9:                              ;   in Loop: Header=BB121_12 Depth=1
	s_or_b64 exec, exec, s[34:35]
	v_mov_b32_e32 v60, s13
.LBB121_10:                             ;   in Loop: Header=BB121_12 Depth=1
	s_or_b64 exec, exec, s[8:9]
.LBB121_11:                             ;   in Loop: Header=BB121_12 Depth=1
	s_or_b64 exec, exec, s[30:31]
	v_cmp_le_u32_e32 vcc, s33, v60
	s_or_b64 s[24:25], vcc, s[24:25]
	s_andn2_b64 exec, exec, s[24:25]
	s_cbranch_execz .LBB121_64
.LBB121_12:                             ; =>This Loop Header: Depth=1
                                        ;     Child Loop BB121_17 Depth 2
                                        ;       Child Loop BB121_22 Depth 3
                                        ;     Child Loop BB121_51 Depth 2
	s_mov_b32 s36, 0
	s_and_b64 vcc, exec, s[2:3]
	v_mov_b32_e32 v86, v63
	v_mov_b32_e32 v85, v63
	;; [unrolled: 1-line block ×12, first 2 shown]
	s_cbranch_vccnz .LBB121_29
; %bb.13:                               ;   in Loop: Header=BB121_12 Depth=1
	v_min_u32_e32 v0, s43, v60
	v_mul_lo_u32 v62, v0, s21
	v_add_u32_e32 v0, 1, v60
	v_add_u32_e32 v2, 2, v60
	v_min_u32_e32 v0, s43, v0
	v_min_u32_e32 v2, s43, v2
	v_mul_lo_u32 v0, v0, s21
	v_mov_b32_e32 v1, v63
	v_mul_lo_u32 v2, v2, s21
	v_mov_b32_e32 v3, v63
	v_cmp_gt_u32_e64 s[6:7], s23, v60
	v_mov_b32_e32 v80, 0
	v_lshlrev_b64 v[68:69], 1, v[62:63]
	v_lshlrev_b64 v[70:71], 1, v[0:1]
	;; [unrolled: 1-line block ×3, first 2 shown]
	v_mov_b32_e32 v79, 0
	v_mov_b32_e32 v78, 0
	;; [unrolled: 1-line block ×11, first 2 shown]
	s_mov_b32 s37, 0
	s_branch .LBB121_17
.LBB121_14:                             ;   in Loop: Header=BB121_17 Depth=2
	s_or_b64 exec, exec, s[34:35]
.LBB121_15:                             ;   in Loop: Header=BB121_17 Depth=2
	s_or_b64 exec, exec, s[30:31]
	s_waitcnt vmcnt(5) lgkmcnt(3)
	;;#ASMSTART
	v_dot2c_f32_f16 v86, v52, v36
	;;#ASMEND
	s_waitcnt vmcnt(4)
	;;#ASMSTART
	v_dot2c_f32_f16 v85, v52, v28
	;;#ASMEND
	s_waitcnt vmcnt(3)
	;;#ASMSTART
	v_dot2c_f32_f16 v84, v52, v24
	;;#ASMEND
	s_waitcnt lgkmcnt(2)
	;;#ASMSTART
	v_dot2c_f32_f16 v83, v48, v36
	;;#ASMEND
	;;#ASMSTART
	v_dot2c_f32_f16 v82, v48, v28
	;;#ASMEND
	;;#ASMSTART
	v_dot2c_f32_f16 v81, v48, v24
	;;#ASMEND
	s_waitcnt lgkmcnt(1)
	;;#ASMSTART
	v_dot2c_f32_f16 v80, v44, v36
	;;#ASMEND
	;;#ASMSTART
	v_dot2c_f32_f16 v79, v44, v28
	;;#ASMEND
	;; [unrolled: 10-line block ×3, first 2 shown]
	;;#ASMSTART
	v_dot2c_f32_f16 v61, v40, v24
	;;#ASMEND
	;;#ASMSTART
	v_dot2c_f32_f16 v86, v53, v37
	;;#ASMEND
	;;#ASMSTART
	v_dot2c_f32_f16 v85, v53, v29
	;;#ASMEND
	;;#ASMSTART
	v_dot2c_f32_f16 v84, v53, v25
	;;#ASMEND
	;;#ASMSTART
	v_dot2c_f32_f16 v83, v49, v37
	;;#ASMEND
	;;#ASMSTART
	v_dot2c_f32_f16 v82, v49, v29
	;;#ASMEND
	;;#ASMSTART
	v_dot2c_f32_f16 v81, v49, v25
	;;#ASMEND
	;;#ASMSTART
	v_dot2c_f32_f16 v80, v45, v37
	;;#ASMEND
	;;#ASMSTART
	v_dot2c_f32_f16 v79, v45, v29
	;;#ASMEND
	;;#ASMSTART
	v_dot2c_f32_f16 v78, v45, v25
	;;#ASMEND
	s_nop 0
	;;#ASMSTART
	v_dot2c_f32_f16 v77, v41, v37
	;;#ASMEND
	;;#ASMSTART
	v_dot2c_f32_f16 v76, v41, v29
	;;#ASMEND
	;;#ASMSTART
	v_dot2c_f32_f16 v61, v41, v25
	;;#ASMEND
	;;#ASMSTART
	v_dot2c_f32_f16 v86, v54, v38
	;;#ASMEND
	;;#ASMSTART
	v_dot2c_f32_f16 v85, v54, v30
	;;#ASMEND
	;;#ASMSTART
	v_dot2c_f32_f16 v84, v54, v26
	;;#ASMEND
	;;#ASMSTART
	v_dot2c_f32_f16 v83, v50, v38
	;;#ASMEND
	;;#ASMSTART
	v_dot2c_f32_f16 v82, v50, v30
	;;#ASMEND
	;;#ASMSTART
	v_dot2c_f32_f16 v81, v50, v26
	;;#ASMEND
	;;#ASMSTART
	v_dot2c_f32_f16 v80, v46, v38
	;;#ASMEND
	;;#ASMSTART
	v_dot2c_f32_f16 v79, v46, v30
	;;#ASMEND
	;;#ASMSTART
	v_dot2c_f32_f16 v78, v46, v26
	;;#ASMEND
	s_nop 0
	;;#ASMSTART
	v_dot2c_f32_f16 v77, v42, v38
	;;#ASMEND
	;;#ASMSTART
	v_dot2c_f32_f16 v76, v42, v30
	;;#ASMEND
	;; [unrolled: 37-line block ×3, first 2 shown]
	;;#ASMSTART
	v_dot2c_f32_f16 v61, v43, v27
	;;#ASMEND
	s_waitcnt vmcnt(2)
	;;#ASMSTART
	v_dot2c_f32_f16 v86, v32, v8
	;;#ASMEND
	s_waitcnt vmcnt(1)
	;;#ASMSTART
	v_dot2c_f32_f16 v85, v32, v4
	;;#ASMEND
	s_waitcnt vmcnt(0)
	;;#ASMSTART
	v_dot2c_f32_f16 v84, v32, v0
	;;#ASMEND
	;;#ASMSTART
	v_dot2c_f32_f16 v83, v20, v8
	;;#ASMEND
	;;#ASMSTART
	v_dot2c_f32_f16 v82, v20, v4
	;;#ASMEND
	;;#ASMSTART
	v_dot2c_f32_f16 v81, v20, v0
	;;#ASMEND
	;;#ASMSTART
	v_dot2c_f32_f16 v80, v16, v8
	;;#ASMEND
	;;#ASMSTART
	v_dot2c_f32_f16 v79, v16, v4
	;;#ASMEND
	;;#ASMSTART
	v_dot2c_f32_f16 v78, v16, v0
	;;#ASMEND
	;;#ASMSTART
	v_dot2c_f32_f16 v77, v12, v8
	;;#ASMEND
	;;#ASMSTART
	v_dot2c_f32_f16 v76, v12, v4
	;;#ASMEND
	;;#ASMSTART
	v_dot2c_f32_f16 v61, v12, v0
	;;#ASMEND
	;;#ASMSTART
	v_dot2c_f32_f16 v86, v33, v9
	;;#ASMEND
	;;#ASMSTART
	v_dot2c_f32_f16 v85, v33, v5
	;;#ASMEND
	s_nop 0
	;;#ASMSTART
	v_dot2c_f32_f16 v84, v33, v1
	;;#ASMEND
	;;#ASMSTART
	v_dot2c_f32_f16 v83, v21, v9
	;;#ASMEND
	;;#ASMSTART
	v_dot2c_f32_f16 v82, v21, v5
	;;#ASMEND
	;;#ASMSTART
	v_dot2c_f32_f16 v81, v21, v1
	;;#ASMEND
	;;#ASMSTART
	v_dot2c_f32_f16 v80, v17, v9
	;;#ASMEND
	;;#ASMSTART
	v_dot2c_f32_f16 v79, v17, v5
	;;#ASMEND
	;;#ASMSTART
	v_dot2c_f32_f16 v78, v17, v1
	;;#ASMEND
	;;#ASMSTART
	v_dot2c_f32_f16 v77, v13, v9
	;;#ASMEND
	;;#ASMSTART
	v_dot2c_f32_f16 v76, v13, v5
	;;#ASMEND
	;;#ASMSTART
	v_dot2c_f32_f16 v61, v13, v1
	;;#ASMEND
	;;#ASMSTART
	v_dot2c_f32_f16 v86, v34, v10
	;;#ASMEND
	;;#ASMSTART
	v_dot2c_f32_f16 v85, v34, v6
	;;#ASMEND
	s_nop 0
	;; [unrolled: 37-line block ×3, first 2 shown]
	;;#ASMSTART
	v_dot2c_f32_f16 v84, v35, v3
	;;#ASMEND
	;;#ASMSTART
	v_dot2c_f32_f16 v83, v23, v11
	;;#ASMEND
	;; [unrolled: 3-line block ×10, first 2 shown]
.LBB121_16:                             ;   in Loop: Header=BB121_17 Depth=2
	s_or_b64 exec, exec, s[8:9]
	s_addk_i32 s37, 0x400
	s_cmp_ge_u32 s37, s20
	s_cbranch_scc1 .LBB121_29
.LBB121_17:                             ;   Parent Loop BB121_12 Depth=1
                                        ; =>  This Loop Header: Depth=2
                                        ;       Child Loop BB121_22 Depth 3
	s_cmp_eq_u32 s37, 0
	s_cselect_b64 s[8:9], -1, 0
	s_add_i32 s30, s36, s40
	s_cmp_eq_u32 s37, s30
	s_cselect_b64 s[34:35], -1, 0
	s_or_b64 s[34:35], s[8:9], s[34:35]
	s_andn2_b64 vcc, exec, s[34:35]
	s_cbranch_vccz .LBB121_19
; %bb.18:                               ;   in Loop: Header=BB121_17 Depth=2
	s_and_saveexec_b64 s[8:9], s[6:7]
	s_cbranch_execz .LBB121_16
	s_branch .LBB121_26
.LBB121_19:                             ;   in Loop: Header=BB121_17 Depth=2
	s_and_b64 s[8:9], s[8:9], exec
	s_cselect_b32 s36, s36, s30
	s_and_b64 vcc, exec, s[4:5]
	s_barrier
	s_cbranch_vccnz .LBB121_25
; %bb.20:                               ;   in Loop: Header=BB121_17 Depth=2
	v_add_u32_e32 v0, s36, v75
	v_add_u32_e32 v1, s36, v66
	;; [unrolled: 1-line block ×4, first 2 shown]
	s_mov_b32 s38, 0
	s_mov_b64 s[30:31], 0
	v_mov_b32_e32 v4, v74
                                        ; implicit-def: $sgpr34_sgpr35
	s_branch .LBB121_22
.LBB121_21:                             ;   in Loop: Header=BB121_22 Depth=3
	s_or_b64 exec, exec, s[8:9]
	s_and_b64 s[8:9], exec, s[34:35]
	s_or_b64 s[30:31], s[8:9], s[30:31]
	s_andn2_b64 exec, exec, s[30:31]
	s_cbranch_execz .LBB121_24
.LBB121_22:                             ;   Parent Loop BB121_12 Depth=1
                                        ;     Parent Loop BB121_17 Depth=2
                                        ; =>    This Inner Loop Header: Depth=3
	v_add_u32_e32 v5, s38, v64
	v_add_u32_e32 v62, s38, v3
	v_cmp_gt_u32_e32 vcc, s22, v62
	v_cmp_gt_u32_e64 s[8:9], s40, v5
	s_and_b64 s[52:53], s[8:9], vcc
	s_or_b64 s[34:35], s[34:35], exec
	s_and_saveexec_b64 s[8:9], s[52:53]
	s_cbranch_execz .LBB121_21
; %bb.23:                               ;   in Loop: Header=BB121_22 Depth=3
	v_lshl_add_u64 v[6:7], v[62:63], 1, s[16:17]
	v_add_u32_e32 v62, s38, v2
	v_lshl_add_u64 v[10:11], v[62:63], 1, s[16:17]
	v_add_u32_e32 v62, s38, v0
	global_load_dwordx4 v[6:9], v[6:7], off
	s_nop 0
	global_load_dwordx4 v[10:13], v[10:11], off
	v_lshl_add_u64 v[14:15], v[62:63], 1, s[16:17]
	v_add_u32_e32 v62, s38, v1
	global_load_dwordx4 v[14:17], v[14:15], off
	v_lshl_add_u64 v[18:19], v[62:63], 1, s[16:17]
	global_load_dwordx4 v[18:21], v[18:19], off
	s_add_i32 s38, s38, s41
	s_cmp_ge_u32 s38, s40
	s_cselect_b64 s[52:53], -1, 0
	s_andn2_b64 s[34:35], s[34:35], exec
	s_and_b64 s[52:53], s[52:53], exec
	v_add_u32_e32 v5, s51, v4
	v_add_u32_e32 v22, s50, v4
	;; [unrolled: 1-line block ×3, first 2 shown]
	s_or_b64 s[34:35], s[34:35], s[52:53]
	s_waitcnt vmcnt(3)
	ds_write_b128 v4, v[6:9]
	v_add_u32_e32 v4, s49, v4
	s_waitcnt vmcnt(2)
	ds_write2_b64 v5, v[10:11], v[12:13] offset1:1
	s_waitcnt vmcnt(1)
	ds_write2_b32 v22, v14, v15 offset1:1
	ds_write2_b32 v22, v16, v17 offset0:2 offset1:3
	s_waitcnt vmcnt(0)
	ds_write2_b64 v23, v[18:19], v[20:21] offset1:1
	s_branch .LBB121_21
.LBB121_24:                             ;   in Loop: Header=BB121_17 Depth=2
	s_or_b64 exec, exec, s[30:31]
.LBB121_25:                             ;   in Loop: Header=BB121_17 Depth=2
	s_waitcnt lgkmcnt(0)
	s_barrier
	s_and_saveexec_b64 s[8:9], s[6:7]
	s_cbranch_execz .LBB121_16
.LBB121_26:                             ;   in Loop: Header=BB121_17 Depth=2
	v_add_u32_e32 v87, s37, v59
	v_min_u32_e32 v62, s42, v87
	v_lshl_add_u64 v[0:1], v[62:63], 1, s[14:15]
	v_add_u32_e32 v88, 0x200, v87
	v_lshl_add_u64 v[2:3], v[0:1], 0, v[68:69]
	v_min_u32_e32 v62, s42, v88
	v_lshl_add_u64 v[4:5], v[0:1], 0, v[70:71]
	global_load_dwordx4 v[36:39], v[2:3], off nt
	global_load_dwordx4 v[28:31], v[4:5], off nt
	v_lshl_add_u64 v[2:3], v[62:63], 1, s[14:15]
	v_lshl_add_u64 v[0:1], v[0:1], 0, v[72:73]
	;; [unrolled: 1-line block ×4, first 2 shown]
	global_load_dwordx4 v[24:27], v[0:1], off nt
	global_load_dwordx4 v[8:11], v[4:5], off nt
	v_lshl_add_u64 v[14:15], v[2:3], 0, v[72:73]
	global_load_dwordx4 v[4:7], v[12:13], off nt
	global_load_dwordx4 v[0:3], v[14:15], off nt
	v_cmp_gt_u32_e32 vcc, s20, v87
	v_mov_b32_e32 v52, 0
	v_mov_b32_e32 v53, 0
	;; [unrolled: 1-line block ×16, first 2 shown]
	s_waitcnt vmcnt(13)
	v_mov_b32_e32 v32, 0
	v_mov_b32_e32 v33, 0
	;; [unrolled: 1-line block ×16, first 2 shown]
	s_and_saveexec_b64 s[30:31], vcc
	s_cbranch_execz .LBB121_15
; %bb.27:                               ;   in Loop: Header=BB121_17 Depth=2
	v_subrev_u32_e32 v12, s36, v87
	v_lshlrev_b32_e32 v90, 1, v12
	v_add_u32_e32 v89, s51, v90
	v_add_u32_e32 v87, s51, v89
	ds_read_b128 v[52:55], v90
	ds_read_b128 v[48:51], v89
	v_add_u32_e32 v62, s51, v87
	ds_read_b128 v[44:47], v87
	ds_read_b128 v[40:43], v62
	v_cmp_gt_u32_e32 vcc, s20, v88
	v_mov_b32_e32 v15, 0
	v_mov_b32_e32 v14, 0
	;; [unrolled: 1-line block ×16, first 2 shown]
	s_and_saveexec_b64 s[34:35], vcc
	s_cbranch_execz .LBB121_14
; %bb.28:                               ;   in Loop: Header=BB121_17 Depth=2
	ds_read_b128 v[32:35], v90 offset:1024
	ds_read_b128 v[20:23], v89 offset:1024
	;; [unrolled: 1-line block ×4, first 2 shown]
	s_branch .LBB121_14
.LBB121_29:                             ;   in Loop: Header=BB121_12 Depth=1
	v_cmp_le_u32_e32 vcc, s23, v60
	s_and_saveexec_b64 s[6:7], vcc
	s_xor_b64 s[6:7], exec, s[6:7]
; %bb.30:                               ;   in Loop: Header=BB121_12 Depth=1
	v_add_u32_e32 v60, s44, v60
                                        ; implicit-def: $vgpr86
                                        ; implicit-def: $vgpr85
                                        ; implicit-def: $vgpr84
                                        ; implicit-def: $vgpr83
                                        ; implicit-def: $vgpr82
                                        ; implicit-def: $vgpr81
                                        ; implicit-def: $vgpr61
                                        ; implicit-def: $vgpr76
                                        ; implicit-def: $vgpr77
                                        ; implicit-def: $vgpr78
                                        ; implicit-def: $vgpr79
                                        ; implicit-def: $vgpr80
; %bb.31:                               ;   in Loop: Header=BB121_12 Depth=1
	s_andn2_saveexec_b64 s[30:31], s[6:7]
	s_cbranch_execz .LBB121_11
; %bb.32:                               ;   in Loop: Header=BB121_12 Depth=1
	v_cvt_i32_f32_e32 v0, v86
	v_cvt_i32_f32_e32 v1, v85
	;; [unrolled: 1-line block ×4, first 2 shown]
	v_cvt_f32_i32_dpp v0, v0 row_shr:8 row_mask:0xf bank_mask:0xf bound_ctrl:1
	v_cvt_f32_i32_dpp v1, v1 row_shr:8 row_mask:0xf bank_mask:0xf bound_ctrl:1
	v_cvt_f32_i32_dpp v2, v2 row_shr:8 row_mask:0xf bank_mask:0xf bound_ctrl:1
	v_cvt_f32_i32_dpp v3, v3 row_shr:8 row_mask:0xf bank_mask:0xf bound_ctrl:1
	v_add_f32_e32 v0, v86, v0
	v_cvt_i32_f32_e32 v4, v0
	v_add_f32_e32 v1, v85, v1
	v_cvt_i32_f32_e32 v6, v1
	v_add_f32_e32 v2, v84, v2
	v_cvt_f32_i32_dpp v4, v4 row_shr:4 row_mask:0xf bank_mask:0xf bound_ctrl:1
	v_cvt_i32_f32_e32 v7, v2
	v_cvt_f32_i32_dpp v6, v6 row_shr:4 row_mask:0xf bank_mask:0xf bound_ctrl:1
	v_add_f32_e32 v3, v83, v3
	v_add_f32_e32 v0, v0, v4
	v_cvt_i32_f32_e32 v4, v0
	v_add_f32_e32 v1, v1, v6
	v_cvt_i32_f32_e32 v6, v1
	v_cvt_f32_i32_dpp v7, v7 row_shr:4 row_mask:0xf bank_mask:0xf bound_ctrl:1
	v_cvt_f32_i32_dpp v4, v4 row_shr:2 row_mask:0xf bank_mask:0xf bound_ctrl:1
	v_cvt_i32_f32_e32 v8, v3
	v_cvt_f32_i32_dpp v6, v6 row_shr:2 row_mask:0xf bank_mask:0xf bound_ctrl:1
	v_add_f32_e32 v2, v2, v7
	v_add_f32_e32 v0, v0, v4
	v_cvt_i32_f32_e32 v4, v0
	v_add_f32_e32 v1, v1, v6
	v_cvt_i32_f32_e32 v6, v1
	v_cvt_i32_f32_e32 v7, v2
	v_cvt_f32_i32_dpp v4, v4 row_shr:1 row_mask:0xf bank_mask:0xf bound_ctrl:1
	v_cvt_f32_i32_dpp v8, v8 row_shr:4 row_mask:0xf bank_mask:0xf bound_ctrl:1
	;; [unrolled: 1-line block ×4, first 2 shown]
	v_add_f32_e32 v0, v0, v4
	v_cvt_i32_f32_e32 v4, v0
	v_add_f32_e32 v1, v1, v6
	v_cvt_i32_f32_e32 v6, v1
	v_add_f32_e32 v7, v2, v7
	v_cvt_f32_i32_dpp v4, v4 row_bcast:15 row_mask:0xf bank_mask:0xf bound_ctrl:1
	v_cvt_i32_f32_e32 v5, v82
	v_cvt_i32_f32_e32 v2, v7
	v_cvt_f32_i32_dpp v6, v6 row_bcast:15 row_mask:0xf bank_mask:0xf bound_ctrl:1
	v_add_f32_e32 v4, v0, v4
	v_cvt_i32_f32_e32 v0, v4
	v_add_f32_e32 v3, v3, v8
	v_cvt_f32_i32_dpp v8, v2 row_shr:1 row_mask:0xf bank_mask:0xf bound_ctrl:1
	v_add_f32_e32 v2, v1, v6
	v_mov_b32_dpp v6, v0 row_bcast:31 row_mask:0xf bank_mask:0xf bound_ctrl:1
	v_cvt_i32_f32_e32 v0, v3
	v_cvt_f32_i32_dpp v5, v5 row_shr:8 row_mask:0xf bank_mask:0xf bound_ctrl:1
	v_add_f32_e32 v7, v7, v8
	v_cvt_i32_f32_e32 v8, v7
	v_cvt_f32_i32_dpp v0, v0 row_shr:2 row_mask:0xf bank_mask:0xf bound_ctrl:1
	v_add_f32_e32 v9, v82, v5
	v_cvt_i32_f32_e32 v5, v9
	v_cvt_i32_f32_e32 v1, v2
	v_add_f32_e32 v0, v3, v0
	v_cvt_i32_f32_e32 v3, v0
	v_cvt_f32_i32_dpp v8, v8 row_bcast:15 row_mask:0xf bank_mask:0xf bound_ctrl:1
	v_cvt_f32_i32_dpp v10, v5 row_shr:4 row_mask:0xf bank_mask:0xf bound_ctrl:1
	v_mov_b32_dpp v5, v1 row_bcast:31 row_mask:0xf bank_mask:0xf bound_ctrl:1
	v_cvt_f32_i32_dpp v3, v3 row_shr:1 row_mask:0xf bank_mask:0xf bound_ctrl:1
	v_add_f32_e32 v1, v7, v8
	v_add_f32_e32 v7, v9, v10
	v_cvt_i32_f32_e32 v8, v7
	v_add_f32_e32 v0, v0, v3
	v_cvt_i32_f32_e32 v3, v81
	v_cvt_i32_f32_e32 v9, v0
	v_cvt_f32_i32_dpp v8, v8 row_shr:2 row_mask:0xf bank_mask:0xf bound_ctrl:1
	v_cvt_i32_f32_e32 v10, v1
	v_cvt_f32_i32_dpp v3, v3 row_shr:8 row_mask:0xf bank_mask:0xf bound_ctrl:1
	v_cvt_f32_i32_dpp v9, v9 row_bcast:15 row_mask:0xf bank_mask:0xf bound_ctrl:1
	v_add_f32_e32 v8, v7, v8
	v_cvt_i32_f32_e32 v11, v8
	v_add_f32_e32 v12, v81, v3
	v_cvt_i32_f32_e32 v13, v12
	v_mov_b32_dpp v7, v10 row_bcast:31 row_mask:0xf bank_mask:0xf bound_ctrl:1
	v_cvt_f32_i32_dpp v10, v11 row_shr:1 row_mask:0xf bank_mask:0xf bound_ctrl:1
	v_add_f32_e32 v3, v0, v9
	v_cvt_f32_i32_dpp v0, v13 row_shr:4 row_mask:0xf bank_mask:0xf bound_ctrl:1
	v_cvt_i32_f32_e32 v9, v3
	v_add_f32_e32 v10, v8, v10
	v_cvt_i32_f32_e32 v8, v80
	v_add_f32_e32 v0, v12, v0
	v_cvt_i32_f32_e32 v11, v0
	v_cvt_i32_f32_e32 v12, v10
	v_cvt_f32_i32_dpp v13, v8 row_shr:8 row_mask:0xf bank_mask:0xf bound_ctrl:1
	v_mov_b32_dpp v8, v9 row_bcast:31 row_mask:0xf bank_mask:0xf bound_ctrl:1
	v_cvt_f32_i32_dpp v9, v11 row_shr:2 row_mask:0xf bank_mask:0xf bound_ctrl:1
	v_cvt_f32_i32_dpp v11, v12 row_bcast:15 row_mask:0xf bank_mask:0xf bound_ctrl:1
	v_add_f32_e32 v12, v80, v13
	v_cvt_i32_f32_e32 v13, v12
	v_cvt_i32_f32_e32 v14, v79
	v_add_f32_e32 v0, v0, v9
	v_add_f32_e32 v9, v10, v11
	v_cvt_f32_i32_dpp v13, v13 row_shr:4 row_mask:0xf bank_mask:0xf bound_ctrl:1
	v_cvt_f32_i32_dpp v10, v14 row_shr:8 row_mask:0xf bank_mask:0xf bound_ctrl:1
	v_cvt_i32_f32_e32 v15, v0
	v_add_f32_e32 v12, v12, v13
	v_cvt_i32_f32_e32 v13, v12
	v_add_f32_e32 v10, v79, v10
	v_cvt_f32_i32_dpp v11, v15 row_shr:1 row_mask:0xf bank_mask:0xf bound_ctrl:1
	v_cvt_i32_f32_e32 v14, v10
	v_cvt_f32_i32_dpp v13, v13 row_shr:2 row_mask:0xf bank_mask:0xf bound_ctrl:1
	v_cvt_i32_f32_e32 v15, v9
	v_add_f32_e32 v0, v0, v11
	v_cvt_f32_i32_dpp v11, v14 row_shr:4 row_mask:0xf bank_mask:0xf bound_ctrl:1
	v_add_f32_e32 v12, v12, v13
	v_cvt_i32_f32_e32 v14, v0
	v_cvt_i32_f32_e32 v13, v12
	v_add_f32_e32 v11, v10, v11
	v_cvt_i32_f32_e32 v10, v11
	v_cvt_f32_i32_dpp v14, v14 row_bcast:15 row_mask:0xf bank_mask:0xf bound_ctrl:1
	v_cvt_f32_i32_dpp v13, v13 row_shr:1 row_mask:0xf bank_mask:0xf bound_ctrl:1
	v_mov_b32_dpp v15, v15 row_bcast:31 row_mask:0xf bank_mask:0xf bound_ctrl:1
	v_cvt_f32_i32_dpp v16, v10 row_shr:2 row_mask:0xf bank_mask:0xf bound_ctrl:1
	v_add_f32_e32 v10, v0, v14
	v_add_f32_e32 v0, v12, v13
	v_cvt_i32_f32_e32 v12, v78
	v_add_f32_e32 v11, v11, v16
	v_cvt_i32_f32_e32 v13, v11
	v_cvt_i32_f32_e32 v14, v0
	v_cvt_f32_i32_dpp v12, v12 row_shr:8 row_mask:0xf bank_mask:0xf bound_ctrl:1
	v_cvt_i32_f32_e32 v16, v10
	v_cvt_f32_i32_dpp v13, v13 row_shr:1 row_mask:0xf bank_mask:0xf bound_ctrl:1
	v_cvt_f32_i32_dpp v14, v14 row_bcast:15 row_mask:0xf bank_mask:0xf bound_ctrl:1
	v_add_f32_e32 v12, v78, v12
	v_cvt_i32_f32_e32 v18, v12
	v_add_f32_e32 v13, v11, v13
	v_mov_b32_dpp v17, v16 row_bcast:31 row_mask:0xf bank_mask:0xf bound_ctrl:1
	v_cvt_i32_f32_e32 v19, v13
	v_cvt_f32_i32_dpp v16, v18 row_shr:4 row_mask:0xf bank_mask:0xf bound_ctrl:1
	v_add_f32_e32 v11, v0, v14
	v_cvt_i32_f32_e32 v14, v77
	v_cvt_f32_i32_dpp v0, v19 row_bcast:15 row_mask:0xf bank_mask:0xf bound_ctrl:1
	v_add_f32_e32 v16, v12, v16
	v_cvt_i32_f32_e32 v18, v16
	v_cvt_f32_i32_dpp v14, v14 row_shr:8 row_mask:0xf bank_mask:0xf bound_ctrl:1
	v_add_f32_e32 v12, v13, v0
	v_cvt_i32_f32_e32 v13, v12
	v_cvt_f32_i32_dpp v0, v18 row_shr:2 row_mask:0xf bank_mask:0xf bound_ctrl:1
	v_add_f32_e32 v18, v77, v14
	v_cvt_i32_f32_e32 v14, v18
	v_cvt_i32_f32_e32 v19, v11
	v_add_f32_e32 v0, v16, v0
	v_cvt_i32_f32_e32 v16, v0
	v_cvt_f32_i32_dpp v20, v14 row_shr:4 row_mask:0xf bank_mask:0xf bound_ctrl:1
	v_mov_b32_dpp v14, v13 row_bcast:31 row_mask:0xf bank_mask:0xf bound_ctrl:1
	v_mov_b32_dpp v19, v19 row_bcast:31 row_mask:0xf bank_mask:0xf bound_ctrl:1
	v_cvt_f32_i32_dpp v13, v16 row_shr:1 row_mask:0xf bank_mask:0xf bound_ctrl:1
	v_cvt_i32_f32_e32 v16, v76
	v_add_f32_e32 v18, v18, v20
	v_cvt_i32_f32_e32 v20, v61
	v_add_f32_e32 v0, v0, v13
	v_cvt_f32_i32_dpp v16, v16 row_shr:8 row_mask:0xf bank_mask:0xf bound_ctrl:1
	v_cvt_i32_f32_e32 v21, v18
	v_cvt_f32_i32_dpp v13, v20 row_shr:8 row_mask:0xf bank_mask:0xf bound_ctrl:1
	v_cvt_i32_f32_e32 v23, v0
	v_add_f32_e32 v16, v76, v16
	v_cvt_f32_i32_dpp v20, v21 row_shr:2 row_mask:0xf bank_mask:0xf bound_ctrl:1
	v_add_f32_e32 v13, v61, v13
	v_cvt_i32_f32_e32 v21, v16
	v_cvt_i32_f32_e32 v22, v13
	v_add_f32_e32 v18, v18, v20
	v_cvt_f32_i32_dpp v23, v23 row_bcast:15 row_mask:0xf bank_mask:0xf bound_ctrl:1
	v_cvt_f32_i32_dpp v21, v21 row_shr:4 row_mask:0xf bank_mask:0xf bound_ctrl:1
	v_cvt_f32_i32_dpp v20, v22 row_shr:4 row_mask:0xf bank_mask:0xf bound_ctrl:1
	v_cvt_i32_f32_e32 v22, v18
	v_add_f32_e32 v16, v16, v21
	v_add_f32_e32 v13, v13, v20
	v_cvt_i32_f32_e32 v21, v16
	v_cvt_i32_f32_e32 v20, v13
	v_cvt_f32_i32_dpp v22, v22 row_shr:1 row_mask:0xf bank_mask:0xf bound_ctrl:1
	v_cvt_f32_i32_dpp v21, v21 row_shr:2 row_mask:0xf bank_mask:0xf bound_ctrl:1
	;; [unrolled: 1-line block ×3, first 2 shown]
	v_add_f32_e32 v18, v18, v22
	v_add_f32_e32 v22, v0, v23
	;; [unrolled: 1-line block ×4, first 2 shown]
	v_cvt_i32_f32_e32 v21, v16
	v_cvt_i32_f32_e32 v20, v13
	v_cvt_i32_f32_e32 v24, v18
	v_cvt_i32_f32_e32 v23, v22
	v_cvt_f32_i32_dpp v21, v21 row_shr:1 row_mask:0xf bank_mask:0xf bound_ctrl:1
	v_cvt_f32_i32_dpp v0, v20 row_shr:1 row_mask:0xf bank_mask:0xf bound_ctrl:1
	v_cvt_f32_i32_dpp v20, v24 row_bcast:15 row_mask:0xf bank_mask:0xf bound_ctrl:1
	v_add_f32_e32 v16, v16, v21
	v_add_f32_e32 v0, v13, v0
	v_cvt_i32_f32_e32 v21, v16
	v_cvt_i32_f32_e32 v13, v0
	s_nop 0
	v_cvt_f32_i32_dpp v24, v21 row_bcast:15 row_mask:0xf bank_mask:0xf bound_ctrl:1
	v_cvt_f32_i32_dpp v13, v13 row_bcast:15 row_mask:0xf bank_mask:0xf bound_ctrl:1
	v_add_f32_e32 v21, v18, v20
	v_cvt_i32_f32_e32 v20, v21
	v_add_f32_e32 v18, v16, v24
	v_add_f32_e32 v13, v0, v13
	v_cvt_i32_f32_e32 v16, v18
	v_cvt_i32_f32_e32 v0, v13
	v_mov_b32_dpp v24, v23 row_bcast:31 row_mask:0xf bank_mask:0xf bound_ctrl:1
	v_mov_b32_dpp v23, v20 row_bcast:31 row_mask:0xf bank_mask:0xf bound_ctrl:1
	;; [unrolled: 1-line block ×4, first 2 shown]
	s_and_saveexec_b64 s[34:35], s[0:1]
	s_cbranch_execz .LBB121_48
; %bb.33:                               ;   in Loop: Header=BB121_12 Depth=1
	s_andn2_b64 vcc, exec, s[26:27]
	s_waitcnt vmcnt(11)
	v_mov_b32_e32 v36, 0
	v_add_u32_e32 v0, 2, v60
	s_waitcnt vmcnt(10)
	v_mov_b32_e32 v35, 0
	s_waitcnt vmcnt(9)
	v_mov_b32_e32 v34, 0
	;; [unrolled: 2-line block ×11, first 2 shown]
	s_cbranch_vccnz .LBB121_35
; %bb.34:                               ;   in Loop: Header=BB121_12 Depth=1
	v_mul_hi_u32 v25, v60, v65
	v_mul_lo_u32 v25, v25, s12
	v_sub_u32_e32 v25, v60, v25
	v_subrev_u32_e32 v26, s12, v25
	v_cmp_le_u32_e32 vcc, s12, v25
	v_mov_b32_e32 v29, v63
	v_mov_b32_e32 v39, v63
	v_cndmask_b32_e32 v25, v25, v26, vcc
	v_subrev_u32_e32 v26, s12, v25
	v_cmp_le_u32_e32 vcc, s12, v25
	v_mov_b32_e32 v43, v63
	s_nop 0
	v_cndmask_b32_e32 v62, v25, v26, vcc
	v_add_u32_e32 v25, 1, v60
	v_mul_hi_u32 v28, v25, v65
	v_mul_lo_u32 v28, v28, s12
	v_sub_u32_e32 v25, v25, v28
	v_subrev_u32_e32 v28, s12, v25
	v_cmp_le_u32_e32 vcc, s12, v25
	v_lshl_add_u64 v[26:27], v[62:63], 1, s[18:19]
	s_nop 0
	v_cndmask_b32_e32 v25, v25, v28, vcc
	v_subrev_u32_e32 v28, s12, v25
	v_cmp_le_u32_e32 vcc, s12, v25
	s_nop 1
	v_cndmask_b32_e32 v38, v25, v28, vcc
	v_mul_hi_u32 v25, v0, v65
	v_mul_lo_u32 v25, v25, s12
	v_sub_u32_e32 v25, v0, v25
	v_subrev_u32_e32 v28, s12, v25
	v_cmp_le_u32_e32 vcc, s12, v25
	v_lshl_add_u64 v[40:41], v[38:39], 1, s[18:19]
	s_nop 0
	v_cndmask_b32_e32 v25, v25, v28, vcc
	v_subrev_u32_e32 v28, s12, v25
	v_cmp_le_u32_e32 vcc, s12, v25
	s_nop 1
	v_cndmask_b32_e32 v42, v25, v28, vcc
	v_add_u32_e32 v28, s45, v62
	v_lshl_add_u64 v[46:47], v[28:29], 1, s[18:19]
	v_add_u32_e32 v28, s45, v38
	v_lshl_add_u64 v[48:49], v[28:29], 1, s[18:19]
	;; [unrolled: 2-line block ×5, first 2 shown]
	v_lshl_add_u64 v[54:55], v[28:29], 1, s[18:19]
	global_load_ushort v36, v[26:27], off
	global_load_ushort v35, v[40:41], off
	;; [unrolled: 1-line block ×8, first 2 shown]
	v_add_u32_e32 v62, s47, v62
	v_add_u32_e32 v26, s46, v42
	v_mov_b32_e32 v27, v63
	v_lshl_add_u64 v[44:45], v[62:63], 1, s[18:19]
	v_add_u32_e32 v62, s47, v38
	v_lshl_add_u64 v[40:41], v[26:27], 1, s[18:19]
	v_lshl_add_u64 v[38:39], v[62:63], 1, s[18:19]
	v_add_u32_e32 v62, s47, v42
	v_lshl_add_u64 v[42:43], v[62:63], 1, s[18:19]
	global_load_ushort v29, v[40:41], off
	global_load_ushort v27, v[44:45], off
	;; [unrolled: 1-line block ×4, first 2 shown]
.LBB121_35:                             ;   in Loop: Header=BB121_12 Depth=1
	v_cmp_ne_u32_e32 vcc, 0, v56
	s_and_saveexec_b64 s[6:7], vcc
	s_cbranch_execnz .LBB121_53
; %bb.36:                               ;   in Loop: Header=BB121_12 Depth=1
	s_or_b64 exec, exec, s[6:7]
	v_cmp_ne_u32_e64 s[6:7], 0, v57
	s_and_saveexec_b64 s[8:9], s[6:7]
	s_cbranch_execnz .LBB121_54
.LBB121_37:                             ;   in Loop: Header=BB121_12 Depth=1
	s_or_b64 exec, exec, s[8:9]
	v_cmp_ne_u32_e64 s[8:9], 0, v58
	s_and_saveexec_b64 s[36:37], s[8:9]
	s_cbranch_execnz .LBB121_55
.LBB121_38:                             ;   in Loop: Header=BB121_12 Depth=1
	s_or_b64 exec, exec, s[36:37]
	v_add_u32_e32 v62, s23, v60
	s_and_saveexec_b64 s[36:37], vcc
	s_cbranch_execnz .LBB121_56
.LBB121_39:                             ;   in Loop: Header=BB121_12 Depth=1
	s_or_b64 exec, exec, s[36:37]
	s_and_saveexec_b64 s[36:37], s[6:7]
	s_cbranch_execnz .LBB121_57
.LBB121_40:                             ;   in Loop: Header=BB121_12 Depth=1
	s_or_b64 exec, exec, s[36:37]
	s_and_saveexec_b64 s[36:37], s[8:9]
	s_cbranch_execnz .LBB121_58
.LBB121_41:                             ;   in Loop: Header=BB121_12 Depth=1
	s_or_b64 exec, exec, s[36:37]
	v_add_u32_e32 v62, s23, v62
	s_and_saveexec_b64 s[36:37], vcc
	s_cbranch_execnz .LBB121_59
.LBB121_42:                             ;   in Loop: Header=BB121_12 Depth=1
	s_or_b64 exec, exec, s[36:37]
	s_and_saveexec_b64 s[36:37], s[6:7]
	s_cbranch_execnz .LBB121_60
.LBB121_43:                             ;   in Loop: Header=BB121_12 Depth=1
	s_or_b64 exec, exec, s[36:37]
	s_and_saveexec_b64 s[36:37], s[8:9]
	s_cbranch_execnz .LBB121_61
.LBB121_44:                             ;   in Loop: Header=BB121_12 Depth=1
	s_or_b64 exec, exec, s[36:37]
	v_add_u32_e32 v62, s23, v62
	s_and_saveexec_b64 s[36:37], vcc
	s_cbranch_execnz .LBB121_62
.LBB121_45:                             ;   in Loop: Header=BB121_12 Depth=1
	s_or_b64 exec, exec, s[36:37]
	s_and_saveexec_b64 s[36:37], s[6:7]
	s_cbranch_execnz .LBB121_63
.LBB121_46:                             ;   in Loop: Header=BB121_12 Depth=1
	s_or_b64 exec, exec, s[36:37]
	s_and_b64 exec, exec, s[8:9]
	s_cbranch_execz .LBB121_48
.LBB121_47:                             ;   in Loop: Header=BB121_12 Depth=1
	v_cvt_f32_i32_e32 v0, v16
	s_waitcnt vmcnt(0)
	v_cvt_f32_f16_e32 v1, v25
	v_add_u32_e32 v62, 2, v62
	v_add_f32_e32 v0, v13, v0
	v_add_f32_e32 v0, v0, v1
	v_cvt_f16_f32_e32 v2, v0
	v_lshl_add_u64 v[0:1], v[62:63], 1, s[10:11]
	global_store_short v[0:1], v2, off
.LBB121_48:                             ;   in Loop: Header=BB121_12 Depth=1
	s_or_b64 exec, exec, s[34:35]
	v_add_u32_e32 v60, s44, v60
	v_add_u32_e32 v0, 3, v60
	v_cmp_gt_u32_e32 vcc, s23, v60
	v_cmp_le_u32_e64 s[6:7], s23, v0
	s_and_b64 s[6:7], vcc, s[6:7]
	s_and_saveexec_b64 s[8:9], s[6:7]
	s_cbranch_execz .LBB121_10
; %bb.49:                               ;   in Loop: Header=BB121_12 Depth=1
	v_cmp_ne_u32_e32 vcc, s13, v60
	s_and_saveexec_b64 s[34:35], vcc
	s_cbranch_execz .LBB121_9
; %bb.50:                               ;   in Loop: Header=BB121_12 Depth=1
	v_subrev_u32_e32 v0, s13, v60
	v_cmp_lt_u32_e32 vcc, 1, v0
	s_mov_b64 s[36:37], 0
	s_mov_b64 s[38:39], 0
	v_cndmask_b32_e32 v0, 1, v0, vcc
.LBB121_51:                             ;   Parent Loop BB121_12 Depth=1
                                        ; =>  This Inner Loop Header: Depth=2
	s_cmp_lg_u32 s38, 2
	s_cselect_b64 vcc, -1, 0
	s_cmp_lg_u32 s38, 1
	v_cndmask_b32_e32 v58, 0, v58, vcc
	s_cselect_b64 vcc, -1, 0
	s_cmp_lg_u32 s38, 0
	v_cndmask_b32_e32 v57, 0, v57, vcc
	s_cselect_b64 vcc, -1, 0
	s_add_u32 s38, s38, 1
	s_addc_u32 s39, s39, 0
	v_cmp_eq_u32_e64 s[6:7], s38, v0
	s_or_b64 s[36:37], s[6:7], s[36:37]
	v_cndmask_b32_e32 v56, 0, v56, vcc
	s_andn2_b64 exec, exec, s[36:37]
	s_cbranch_execnz .LBB121_51
; %bb.52:                               ;   in Loop: Header=BB121_12 Depth=1
	s_or_b64 exec, exec, s[36:37]
	s_branch .LBB121_9
.LBB121_53:                             ;   in Loop: Header=BB121_12 Depth=1
	v_cvt_f32_i32_e32 v6, v6
	s_waitcnt vmcnt(11)
	v_cvt_f32_f16_e32 v36, v36
	v_mov_b32_e32 v61, v63
	v_add_f32_e32 v4, v4, v6
	v_add_f32_e32 v4, v4, v36
	v_cvt_f16_f32_e32 v4, v4
	v_lshl_add_u64 v[36:37], v[60:61], 1, s[10:11]
	global_store_short v[36:37], v4, off
	s_or_b64 exec, exec, s[6:7]
	v_cmp_ne_u32_e64 s[6:7], 0, v57
	s_and_saveexec_b64 s[8:9], s[6:7]
	s_cbranch_execz .LBB121_37
.LBB121_54:                             ;   in Loop: Header=BB121_12 Depth=1
	v_cvt_f32_i32_e32 v4, v5
	s_waitcnt vmcnt(10)
	v_cvt_f32_f16_e32 v5, v35
	v_mov_b32_e32 v61, v63
	v_add_f32_e32 v2, v2, v4
	v_add_f32_e32 v2, v2, v5
	v_cvt_f16_f32_e32 v2, v2
	v_lshl_add_u64 v[4:5], v[60:61], 1, s[28:29]
	global_store_short v[4:5], v2, off
	s_or_b64 exec, exec, s[8:9]
	v_cmp_ne_u32_e64 s[8:9], 0, v58
	s_and_saveexec_b64 s[36:37], s[8:9]
	s_cbranch_execz .LBB121_38
.LBB121_55:                             ;   in Loop: Header=BB121_12 Depth=1
	v_cvt_f32_i32_e32 v2, v7
	s_waitcnt vmcnt(9)
	v_cvt_f32_f16_e32 v4, v34
	v_add_f32_e32 v1, v1, v2
	v_add_f32_e32 v1, v1, v4
	v_cvt_f16_f32_e32 v2, v1
	v_mov_b32_e32 v1, v63
	v_lshl_add_u64 v[0:1], v[0:1], 1, s[10:11]
	global_store_short v[0:1], v2, off
	s_or_b64 exec, exec, s[36:37]
	v_add_u32_e32 v62, s23, v60
	s_and_saveexec_b64 s[36:37], vcc
	s_cbranch_execz .LBB121_39
.LBB121_56:                             ;   in Loop: Header=BB121_12 Depth=1
	v_cvt_f32_i32_e32 v0, v8
	s_waitcnt vmcnt(8)
	v_cvt_f32_f16_e32 v1, v33
	v_add_f32_e32 v0, v3, v0
	v_add_f32_e32 v0, v0, v1
	v_cvt_f16_f32_e32 v2, v0
	v_lshl_add_u64 v[0:1], v[62:63], 1, s[10:11]
	global_store_short v[0:1], v2, off
	s_or_b64 exec, exec, s[36:37]
	s_and_saveexec_b64 s[36:37], s[6:7]
	s_cbranch_execz .LBB121_40
.LBB121_57:                             ;   in Loop: Header=BB121_12 Depth=1
	v_cvt_f32_i32_e32 v0, v15
	s_waitcnt vmcnt(7)
	v_cvt_f32_f16_e32 v1, v32
	v_add_f32_e32 v0, v9, v0
	v_add_f32_e32 v0, v0, v1
	v_cvt_f16_f32_e32 v2, v0
	v_add_u32_e32 v0, 1, v62
	v_mov_b32_e32 v1, v63
	v_lshl_add_u64 v[0:1], v[0:1], 1, s[10:11]
	global_store_short v[0:1], v2, off
	s_or_b64 exec, exec, s[36:37]
	s_and_saveexec_b64 s[36:37], s[8:9]
	s_cbranch_execz .LBB121_41
.LBB121_58:                             ;   in Loop: Header=BB121_12 Depth=1
	v_cvt_f32_i32_e32 v0, v17
	s_waitcnt vmcnt(6)
	v_cvt_f32_f16_e32 v1, v31
	v_add_f32_e32 v0, v10, v0
	v_add_f32_e32 v0, v0, v1
	v_cvt_f16_f32_e32 v2, v0
	v_add_u32_e32 v0, 2, v62
	v_mov_b32_e32 v1, v63
	v_lshl_add_u64 v[0:1], v[0:1], 1, s[10:11]
	global_store_short v[0:1], v2, off
	s_or_b64 exec, exec, s[36:37]
	v_add_u32_e32 v62, s23, v62
	s_and_saveexec_b64 s[36:37], vcc
	s_cbranch_execz .LBB121_42
.LBB121_59:                             ;   in Loop: Header=BB121_12 Depth=1
	v_cvt_f32_i32_e32 v0, v19
	s_waitcnt vmcnt(5)
	v_cvt_f32_f16_e32 v1, v30
	v_add_f32_e32 v0, v11, v0
	v_add_f32_e32 v0, v0, v1
	v_cvt_f16_f32_e32 v2, v0
	v_lshl_add_u64 v[0:1], v[62:63], 1, s[10:11]
	global_store_short v[0:1], v2, off
	s_or_b64 exec, exec, s[36:37]
	s_and_saveexec_b64 s[36:37], s[6:7]
	s_cbranch_execz .LBB121_43
.LBB121_60:                             ;   in Loop: Header=BB121_12 Depth=1
	v_cvt_f32_i32_e32 v0, v14
	s_waitcnt vmcnt(4)
	v_cvt_f32_f16_e32 v1, v28
	v_add_f32_e32 v0, v12, v0
	v_add_f32_e32 v0, v0, v1
	v_cvt_f16_f32_e32 v2, v0
	v_add_u32_e32 v0, 1, v62
	v_mov_b32_e32 v1, v63
	v_lshl_add_u64 v[0:1], v[0:1], 1, s[10:11]
	global_store_short v[0:1], v2, off
	s_or_b64 exec, exec, s[36:37]
	s_and_saveexec_b64 s[36:37], s[8:9]
	s_cbranch_execz .LBB121_44
.LBB121_61:                             ;   in Loop: Header=BB121_12 Depth=1
	v_cvt_f32_i32_e32 v0, v24
	s_waitcnt vmcnt(3)
	v_cvt_f32_f16_e32 v1, v29
	v_add_f32_e32 v0, v22, v0
	v_add_f32_e32 v0, v0, v1
	v_cvt_f16_f32_e32 v2, v0
	v_add_u32_e32 v0, 2, v62
	v_mov_b32_e32 v1, v63
	v_lshl_add_u64 v[0:1], v[0:1], 1, s[10:11]
	global_store_short v[0:1], v2, off
	s_or_b64 exec, exec, s[36:37]
	v_add_u32_e32 v62, s23, v62
	s_and_saveexec_b64 s[36:37], vcc
	s_cbranch_execz .LBB121_45
.LBB121_62:                             ;   in Loop: Header=BB121_12 Depth=1
	v_cvt_f32_i32_e32 v0, v23
	s_waitcnt vmcnt(2)
	v_cvt_f32_f16_e32 v1, v27
	v_add_f32_e32 v0, v21, v0
	v_add_f32_e32 v0, v0, v1
	v_cvt_f16_f32_e32 v2, v0
	v_lshl_add_u64 v[0:1], v[62:63], 1, s[10:11]
	global_store_short v[0:1], v2, off
	s_or_b64 exec, exec, s[36:37]
	s_and_saveexec_b64 s[36:37], s[6:7]
	s_cbranch_execz .LBB121_46
.LBB121_63:                             ;   in Loop: Header=BB121_12 Depth=1
	v_cvt_f32_i32_e32 v0, v20
	s_waitcnt vmcnt(1)
	v_cvt_f32_f16_e32 v1, v26
	v_add_f32_e32 v0, v18, v0
	v_add_f32_e32 v0, v0, v1
	v_cvt_f16_f32_e32 v2, v0
	v_add_u32_e32 v0, 1, v62
	v_mov_b32_e32 v1, v63
	v_lshl_add_u64 v[0:1], v[0:1], 1, s[10:11]
	global_store_short v[0:1], v2, off
	s_or_b64 exec, exec, s[36:37]
	s_and_b64 exec, exec, s[8:9]
	s_cbranch_execnz .LBB121_47
	s_branch .LBB121_48
.LBB121_64:
	s_endpgm
	.section	.rodata,"a",@progbits
	.p2align	6, 0x0
	.amdhsa_kernel _Z16wvSplitK_hf_big_I6__halfLi64ELi3ELi16ELi8ELi2ELi4EEviiiiiiPKT_S3_S3_PS1_ii
		.amdhsa_group_segment_fixed_size 65536
		.amdhsa_private_segment_fixed_size 0
		.amdhsa_kernarg_size 64
		.amdhsa_user_sgpr_count 2
		.amdhsa_user_sgpr_dispatch_ptr 0
		.amdhsa_user_sgpr_queue_ptr 0
		.amdhsa_user_sgpr_kernarg_segment_ptr 1
		.amdhsa_user_sgpr_dispatch_id 0
		.amdhsa_user_sgpr_kernarg_preload_length 0
		.amdhsa_user_sgpr_kernarg_preload_offset 0
		.amdhsa_user_sgpr_private_segment_size 0
		.amdhsa_uses_dynamic_stack 0
		.amdhsa_enable_private_segment 0
		.amdhsa_system_sgpr_workgroup_id_x 1
		.amdhsa_system_sgpr_workgroup_id_y 0
		.amdhsa_system_sgpr_workgroup_id_z 0
		.amdhsa_system_sgpr_workgroup_info 0
		.amdhsa_system_vgpr_workitem_id 1
		.amdhsa_next_free_vgpr 91
		.amdhsa_next_free_sgpr 54
		.amdhsa_accum_offset 92
		.amdhsa_reserve_vcc 1
		.amdhsa_float_round_mode_32 0
		.amdhsa_float_round_mode_16_64 0
		.amdhsa_float_denorm_mode_32 3
		.amdhsa_float_denorm_mode_16_64 3
		.amdhsa_dx10_clamp 1
		.amdhsa_ieee_mode 1
		.amdhsa_fp16_overflow 0
		.amdhsa_tg_split 0
		.amdhsa_exception_fp_ieee_invalid_op 0
		.amdhsa_exception_fp_denorm_src 0
		.amdhsa_exception_fp_ieee_div_zero 0
		.amdhsa_exception_fp_ieee_overflow 0
		.amdhsa_exception_fp_ieee_underflow 0
		.amdhsa_exception_fp_ieee_inexact 0
		.amdhsa_exception_int_div_zero 0
	.end_amdhsa_kernel
	.section	.text._Z16wvSplitK_hf_big_I6__halfLi64ELi3ELi16ELi8ELi2ELi4EEviiiiiiPKT_S3_S3_PS1_ii,"axG",@progbits,_Z16wvSplitK_hf_big_I6__halfLi64ELi3ELi16ELi8ELi2ELi4EEviiiiiiPKT_S3_S3_PS1_ii,comdat
.Lfunc_end121:
	.size	_Z16wvSplitK_hf_big_I6__halfLi64ELi3ELi16ELi8ELi2ELi4EEviiiiiiPKT_S3_S3_PS1_ii, .Lfunc_end121-_Z16wvSplitK_hf_big_I6__halfLi64ELi3ELi16ELi8ELi2ELi4EEviiiiiiPKT_S3_S3_PS1_ii
                                        ; -- End function
	.section	.AMDGPU.csdata,"",@progbits
; Kernel info:
; codeLenInByte = 5320
; NumSgprs: 60
; NumVgprs: 91
; NumAgprs: 0
; TotalNumVgprs: 91
; ScratchSize: 0
; MemoryBound: 0
; FloatMode: 240
; IeeeMode: 1
; LDSByteSize: 65536 bytes/workgroup (compile time only)
; SGPRBlocks: 7
; VGPRBlocks: 11
; NumSGPRsForWavesPerEU: 60
; NumVGPRsForWavesPerEU: 91
; AccumOffset: 92
; Occupancy: 4
; WaveLimiterHint : 0
; COMPUTE_PGM_RSRC2:SCRATCH_EN: 0
; COMPUTE_PGM_RSRC2:USER_SGPR: 2
; COMPUTE_PGM_RSRC2:TRAP_HANDLER: 0
; COMPUTE_PGM_RSRC2:TGID_X_EN: 1
; COMPUTE_PGM_RSRC2:TGID_Y_EN: 0
; COMPUTE_PGM_RSRC2:TGID_Z_EN: 0
; COMPUTE_PGM_RSRC2:TIDIG_COMP_CNT: 1
; COMPUTE_PGM_RSRC3_GFX90A:ACCUM_OFFSET: 22
; COMPUTE_PGM_RSRC3_GFX90A:TG_SPLIT: 0
	.section	.text._Z16wvSplitK_hf_sml_I6__halfLi64ELi4ELi16ELi8ELi1ELi4EEviiiiiiPKT_S3_S3_PS1_ii,"axG",@progbits,_Z16wvSplitK_hf_sml_I6__halfLi64ELi4ELi16ELi8ELi1ELi4EEviiiiiiPKT_S3_S3_PS1_ii,comdat
	.protected	_Z16wvSplitK_hf_sml_I6__halfLi64ELi4ELi16ELi8ELi1ELi4EEviiiiiiPKT_S3_S3_PS1_ii ; -- Begin function _Z16wvSplitK_hf_sml_I6__halfLi64ELi4ELi16ELi8ELi1ELi4EEviiiiiiPKT_S3_S3_PS1_ii
	.globl	_Z16wvSplitK_hf_sml_I6__halfLi64ELi4ELi16ELi8ELi1ELi4EEviiiiiiPKT_S3_S3_PS1_ii
	.p2align	8
	.type	_Z16wvSplitK_hf_sml_I6__halfLi64ELi4ELi16ELi8ELi1ELi4EEviiiiiiPKT_S3_S3_PS1_ii,@function
_Z16wvSplitK_hf_sml_I6__halfLi64ELi4ELi16ELi8ELi1ELi4EEviiiiiiPKT_S3_S3_PS1_ii: ; @_Z16wvSplitK_hf_sml_I6__halfLi64ELi4ELi16ELi8ELi1ELi4EEviiiiiiPKT_S3_S3_PS1_ii
; %bb.0:
	s_load_dwordx4 s[4:7], s[0:1], 0x0
	s_load_dwordx2 s[8:9], s[0:1], 0x10
	s_load_dwordx2 s[10:11], s[0:1], 0x28
	v_and_b32_e32 v2, 0x3ff, v0
	v_bfe_u32 v3, v0, 10, 10
	v_lshlrev_b32_e32 v44, 3, v2
	s_waitcnt lgkmcnt(0)
	s_lshl_b32 s24, s6, 2
	v_lshl_add_u32 v4, v3, 9, v44
	s_min_u32 s3, s24, 0x8000
	v_cmp_gt_u32_e32 vcc, s3, v4
	s_and_saveexec_b64 s[12:13], vcc
	s_cbranch_execz .LBB122_3
; %bb.1:
	s_load_dwordx2 s[14:15], s[0:1], 0x20
	v_mov_b32_e32 v7, 0
	v_lshlrev_b32_e32 v6, 10, v3
	v_lshlrev_b32_e32 v8, 4, v2
	v_mov_b32_e32 v9, v7
	v_lshl_add_u64 v[0:1], v[6:7], 0, v[8:9]
	s_waitcnt lgkmcnt(0)
	v_lshl_add_u64 v[0:1], s[14:15], 0, v[0:1]
	v_add_u32_e32 v5, v6, v8
	s_mov_b64 s[14:15], 0
	s_mov_b64 s[16:17], 0x4000
.LBB122_2:                              ; =>This Inner Loop Header: Depth=1
	global_load_dwordx4 v[6:9], v[0:1], off
	v_add_u32_e32 v4, 0x2000, v4
	v_cmp_le_u32_e32 vcc, s3, v4
	v_lshl_add_u64 v[0:1], v[0:1], 0, s[16:17]
	s_or_b64 s[14:15], vcc, s[14:15]
	s_waitcnt vmcnt(0)
	ds_write_b128 v5, v[6:9]
	v_add_u32_e32 v5, 0x4000, v5
	s_andn2_b64 exec, exec, s[14:15]
	s_cbranch_execnz .LBB122_2
.LBB122_3:
	s_or_b64 exec, exec, s[12:13]
	s_load_dwordx2 s[16:17], s[0:1], 0x38
	s_waitcnt lgkmcnt(0)
	s_barrier
	v_cmp_gt_u32_e32 vcc, s16, v3
	s_and_saveexec_b64 s[12:13], vcc
	s_cbranch_execz .LBB122_18
; %bb.4:
	s_mul_i32 s2, s2, s16
	v_add_lshl_u32 v28, s2, v3, 2
	v_cmp_gt_u32_e32 vcc, s7, v28
	s_and_b64 exec, exec, vcc
	s_cbranch_execz .LBB122_18
; %bb.5:
	s_cmp_lg_u32 s4, 0
	s_cselect_b64 s[2:3], -1, 0
	s_add_i32 s25, s4, -8
	s_add_i32 s26, s7, -1
	s_cmp_lg_u64 s[10:11], 0
	s_cselect_b64 s[18:19], -1, 0
	s_abs_i32 s21, s9
	v_cvt_f32_u32_e32 v0, s8
	v_cvt_f32_u32_e32 v1, s21
	s_mul_i32 s20, s16, s17
	s_lshl_b32 s9, s20, 2
	v_rcp_iflag_f32_e32 v0, v0
	v_rcp_iflag_f32_e32 v1, v1
	s_sub_i32 s20, 0, s8
	s_load_dwordx2 s[12:13], s[0:1], 0x18
	s_load_dwordx2 s[14:15], s[0:1], 0x30
	v_mul_f32_e32 v0, 0x4f7ffffe, v0
	v_mul_f32_e32 v1, 0x4f7ffffe, v1
	v_cvt_u32_f32_e32 v0, v0
	v_cvt_u32_f32_e32 v1, v1
	v_cmp_eq_u32_e64 s[0:1], 63, v2
	s_mov_b64 s[16:17], 0
	v_mul_lo_u32 v3, s20, v0
	s_sub_i32 s20, 0, s21
	v_readfirstlane_b32 s22, v1
	s_mul_i32 s20, s20, s22
	s_mul_hi_u32 s20, s22, s20
	s_add_i32 s22, s22, s20
	s_sub_i32 s20, 1, s21
	s_cmp_lt_u32 s21, 2
	s_cselect_b32 s20, s20, 1
	s_sub_i32 s23, s20, s21
	s_cmp_ge_u32 s20, s21
	s_cselect_b32 s27, s23, s20
	s_lshr_b32 s20, s22, 31
	s_mul_i32 s20, s20, s21
	s_sub_i32 s20, 2, s20
	s_sub_i32 s23, s20, s21
	s_cmp_ge_u32 s20, s21
	s_cselect_b32 s20, s23, s20
	s_sub_i32 s23, s20, s21
	s_cmp_ge_u32 s20, s21
	s_cselect_b32 s28, s23, s20
	s_mul_hi_u32 s20, s22, 3
	s_mul_i32 s20, s20, s21
	s_sub_i32 s20, 3, s20
	s_sub_i32 s22, s20, s21
	s_cmp_ge_u32 s20, s21
	s_cselect_b32 s20, s22, s20
	s_sub_i32 s22, s20, s21
	v_mul_hi_u32 v3, v0, v3
	s_cmp_ge_u32 s20, s21
	v_add_u32_e32 v45, v0, v3
	s_cselect_b32 s29, s22, s20
	v_cndmask_b32_e64 v0, 0, 1, s[2:3]
	v_mov_b32_e32 v31, 0
	s_mul_i32 s27, s27, s8
	s_mul_i32 s28, s28, s8
	;; [unrolled: 1-line block ×4, first 2 shown]
	v_lshlrev_b32_e32 v46, 4, v2
	s_lshl_b32 s6, s6, 1
	v_cmp_ne_u32_e64 s[2:3], 1, v0
	s_branch .LBB122_8
.LBB122_6:                              ;   in Loop: Header=BB122_8 Depth=1
	v_cvt_f32_i32_e32 v2, v2
	v_cvt_f32_i32_e32 v4, v4
	;; [unrolled: 1-line block ×4, first 2 shown]
	v_add_f32_e32 v0, v0, v2
	v_cvt_f32_i32_e32 v2, v10
	v_add_f32_e32 v1, v1, v4
	v_add_f32_e32 v4, v5, v8
	v_cvt_f32_i32_e32 v8, v18
	v_add_f32_e32 v5, v7, v2
	v_cvt_f32_i32_e32 v2, v12
	v_cvt_f32_i32_e32 v7, v15
	v_add_f32_e32 v8, v16, v8
	s_waitcnt vmcnt(15)
	v_cvt_f32_f16_e32 v16, v54
	v_add_f32_e32 v9, v9, v2
	v_cvt_f32_i32_e32 v2, v20
	v_add_f32_e32 v7, v13, v7
	v_add_f32_e32 v0, v0, v16
	s_waitcnt vmcnt(13)
	v_cvt_f32_f16_e32 v16, v52
	v_add_f32_e32 v13, v17, v2
	v_cvt_f32_i32_e32 v2, v34
	v_cvt_f16_f32_e32 v18, v0
	s_waitcnt vmcnt(12)
	v_cvt_f32_f16_e32 v0, v51
	v_add_f32_e32 v3, v3, v6
	v_add_f32_e32 v17, v25, v2
	v_cvt_f32_f16_e32 v2, v53
	v_add_f32_e32 v0, v4, v0
	v_add_u32_e32 v30, s7, v28
	v_cvt_f32_i32_e32 v6, v14
	v_add_f32_e32 v1, v1, v2
	v_add_f32_e32 v2, v3, v16
	v_cvt_f16_f32_e32 v2, v2
	v_cvt_f16_f32_e32 v3, v0
	;; [unrolled: 1-line block ×3, first 2 shown]
	s_waitcnt vmcnt(11)
	v_cvt_f32_f16_e32 v16, v48
	s_waitcnt lgkmcnt(0)
	v_lshl_add_u64 v[0:1], v[28:29], 1, s[14:15]
	v_pack_b32_f16 v3, v2, v3
	v_pack_b32_f16 v2, v18, v4
	global_store_dwordx2 v[0:1], v[2:3], off
	v_add_f32_e32 v0, v5, v16
	v_cvt_f16_f32_e32 v2, v0
	s_waitcnt vmcnt(11)
	v_cvt_f32_f16_e32 v3, v43
	v_lshl_add_u64 v[0:1], v[30:31], 1, s[14:15]
	v_add_f32_e32 v6, v11, v6
	global_store_short v[0:1], v2, off
	v_add_f32_e32 v0, v9, v3
	v_cvt_f16_f32_e32 v2, v0
	s_waitcnt vmcnt(11)
	v_cvt_f32_f16_e32 v3, v41
	v_add_u32_e32 v0, 1, v30
	v_mov_b32_e32 v1, v31
	v_lshl_add_u64 v[0:1], v[0:1], 1, s[14:15]
	global_store_short v[0:1], v2, off
	v_add_f32_e32 v0, v6, v3
	v_cvt_f16_f32_e32 v2, v0
	s_waitcnt vmcnt(11)
	v_cvt_f32_f16_e32 v3, v40
	v_add_u32_e32 v0, 2, v30
	v_mov_b32_e32 v1, v31
	v_lshl_add_u64 v[0:1], v[0:1], 1, s[14:15]
	global_store_short v[0:1], v2, off
	v_add_f32_e32 v0, v7, v3
	v_cvt_f16_f32_e32 v2, v0
	s_waitcnt vmcnt(11)
	v_cvt_f32_f16_e32 v3, v50
	s_waitcnt vmcnt(10)
	v_cvt_f32_f16_e32 v4, v49
	v_add_u32_e32 v0, 3, v30
	v_mov_b32_e32 v1, v31
	v_lshl_add_u64 v[0:1], v[0:1], 1, s[14:15]
	global_store_short v[0:1], v2, off
	v_add_f32_e32 v0, v8, v3
	v_cvt_f16_f32_e32 v2, v0
	v_add_f32_e32 v0, v13, v4
	v_cvt_f32_i32_e32 v10, v22
	v_cvt_f16_f32_e32 v3, v0
	s_waitcnt vmcnt(10)
	v_cvt_f32_f16_e32 v4, v47
	v_add_u32_e32 v30, s7, v30
	v_add_f32_e32 v10, v19, v10
	v_lshl_add_u64 v[0:1], v[30:31], 1, s[14:15]
	v_pack_b32_f16 v2, v2, v3
	v_cvt_f32_i32_e32 v11, v23
	global_store_dword v[0:1], v2, off
	v_add_f32_e32 v0, v10, v4
	v_cvt_f16_f32_e32 v2, v0
	s_waitcnt vmcnt(10)
	v_cvt_f32_f16_e32 v3, v42
	v_add_u32_e32 v0, 2, v30
	v_mov_b32_e32 v1, v31
	v_add_f32_e32 v11, v21, v11
	v_lshl_add_u64 v[0:1], v[0:1], 1, s[14:15]
	v_cvt_f32_i32_e32 v12, v35
	global_store_short v[0:1], v2, off
	v_add_f32_e32 v0, v11, v3
	v_cvt_f16_f32_e32 v2, v0
	s_waitcnt vmcnt(10)
	v_cvt_f32_f16_e32 v3, v39
	v_add_u32_e32 v0, 3, v30
	v_mov_b32_e32 v1, v31
	v_add_f32_e32 v12, v24, v12
	v_lshl_add_u64 v[0:1], v[0:1], 1, s[14:15]
	global_store_short v[0:1], v2, off
	v_add_f32_e32 v0, v12, v3
	v_cvt_f16_f32_e32 v2, v0
	s_waitcnt vmcnt(10)
	v_cvt_f32_f16_e32 v3, v38
	v_add_u32_e32 v30, s7, v30
	v_lshl_add_u64 v[0:1], v[30:31], 1, s[14:15]
	v_cvt_f32_i32_e32 v14, v33
	global_store_short v[0:1], v2, off
	v_add_f32_e32 v0, v17, v3
	v_cvt_f16_f32_e32 v2, v0
	s_waitcnt vmcnt(10)
	v_cvt_f32_f16_e32 v3, v37
	v_add_u32_e32 v0, 1, v30
	v_mov_b32_e32 v1, v31
	v_cvt_f32_i32_e32 v15, v32
	v_add_f32_e32 v14, v26, v14
	v_lshl_add_u64 v[0:1], v[0:1], 1, s[14:15]
	global_store_short v[0:1], v2, off
	v_add_f32_e32 v0, v14, v3
	s_waitcnt vmcnt(10)
	v_cvt_f32_f16_e32 v3, v36
	v_add_f32_e32 v15, v27, v15
	v_cvt_f16_f32_e32 v2, v0
	v_add_u32_e32 v0, 2, v30
	v_add_f32_e32 v3, v15, v3
	v_cvt_f16_f32_e32 v3, v3
	v_mov_b32_e32 v1, v31
	v_lshl_add_u64 v[0:1], v[0:1], 1, s[14:15]
	v_add_u32_e32 v30, 3, v30
	global_store_short v[0:1], v2, off
	v_lshl_add_u64 v[0:1], v[30:31], 1, s[14:15]
	global_store_short v[0:1], v3, off
.LBB122_7:                              ;   in Loop: Header=BB122_8 Depth=1
	s_or_b64 exec, exec, s[20:21]
	v_add_u32_e32 v28, s9, v28
	v_cmp_le_u32_e32 vcc, s7, v28
	s_or_b64 s[16:17], vcc, s[16:17]
	s_andn2_b64 exec, exec, s[16:17]
	s_cbranch_execz .LBB122_18
.LBB122_8:                              ; =>This Loop Header: Depth=1
                                        ;     Child Loop BB122_11 Depth 2
	s_mov_b32 s22, 0
	s_and_b64 vcc, exec, s[2:3]
	v_mov_b32_e32 v61, v31
	v_mov_b32_e32 v60, v31
	;; [unrolled: 1-line block ×16, first 2 shown]
	s_cbranch_vccnz .LBB122_13
; %bb.9:                                ;   in Loop: Header=BB122_8 Depth=1
	v_min_u32_e32 v0, s26, v28
	v_mul_lo_u32 v32, v0, s5
	v_or_b32_e32 v0, 1, v28
	v_min_u32_e32 v0, s26, v0
	v_mul_lo_u32 v34, v0, s5
	v_or_b32_e32 v0, 2, v28
	;; [unrolled: 3-line block ×3, first 2 shown]
	v_min_u32_e32 v0, s26, v0
	v_mov_b32_e32 v33, v31
	v_mov_b32_e32 v35, v31
	;; [unrolled: 1-line block ×3, first 2 shown]
	v_mul_lo_u32 v38, v0, s5
	v_mov_b32_e32 v39, v31
	v_mov_b32_e32 v57, 0
	;; [unrolled: 1-line block ×18, first 2 shown]
	s_branch .LBB122_11
.LBB122_10:                             ;   in Loop: Header=BB122_11 Depth=2
	s_or_b64 exec, exec, s[20:21]
	s_waitcnt vmcnt(3) lgkmcnt(4)
	;;#ASMSTART
	v_dot2c_f32_f16 v61, v24, v12
	;;#ASMEND
	s_waitcnt vmcnt(2)
	;;#ASMSTART
	v_dot2c_f32_f16 v60, v24, v8
	;;#ASMEND
	s_waitcnt vmcnt(1)
	;;#ASMSTART
	v_dot2c_f32_f16 v59, v24, v4
	;;#ASMEND
	s_waitcnt vmcnt(0)
	;;#ASMSTART
	v_dot2c_f32_f16 v58, v24, v0
	;;#ASMEND
	s_waitcnt lgkmcnt(3)
	;;#ASMSTART
	v_dot2c_f32_f16 v57, v20, v12
	;;#ASMEND
	;;#ASMSTART
	v_dot2c_f32_f16 v56, v20, v8
	;;#ASMEND
	;;#ASMSTART
	v_dot2c_f32_f16 v55, v20, v4
	;;#ASMEND
	;;#ASMSTART
	v_dot2c_f32_f16 v54, v20, v0
	;;#ASMEND
	s_waitcnt lgkmcnt(2)
	;;#ASMSTART
	v_dot2c_f32_f16 v53, v40, v12
	;;#ASMEND
	;;#ASMSTART
	v_dot2c_f32_f16 v52, v40, v8
	;;#ASMEND
	;;#ASMSTART
	v_dot2c_f32_f16 v51, v40, v4
	;;#ASMEND
	;; [unrolled: 13-line block ×3, first 2 shown]
	;;#ASMSTART
	v_dot2c_f32_f16 v29, v16, v0
	;;#ASMEND
	;;#ASMSTART
	v_dot2c_f32_f16 v61, v25, v13
	;;#ASMEND
	;; [unrolled: 3-line block ×13, first 2 shown]
	s_nop 0
	;;#ASMSTART
	v_dot2c_f32_f16 v49, v17, v13
	;;#ASMEND
	;;#ASMSTART
	v_dot2c_f32_f16 v48, v17, v9
	;;#ASMEND
	;; [unrolled: 3-line block ×4, first 2 shown]
	s_addk_i32 s22, 0x200
	;;#ASMSTART
	v_dot2c_f32_f16 v61, v26, v14
	;;#ASMEND
	;;#ASMSTART
	v_dot2c_f32_f16 v60, v26, v10
	;;#ASMEND
	;; [unrolled: 3-line block ×16, first 2 shown]
	s_cmp_ge_u32 s22, s4
	v_add_u32_e32 v62, 0x400, v62
	;;#ASMSTART
	v_dot2c_f32_f16 v61, v27, v15
	;;#ASMEND
	;;#ASMSTART
	v_dot2c_f32_f16 v60, v27, v11
	;;#ASMEND
	;; [unrolled: 3-line block ×16, first 2 shown]
	s_cbranch_scc1 .LBB122_13
.LBB122_11:                             ;   Parent Loop BB122_8 Depth=1
                                        ; =>  This Inner Loop Header: Depth=2
	v_add_u32_e32 v20, s22, v44
	v_min_u32_e32 v30, s25, v20
	s_waitcnt lgkmcnt(0)
	v_lshl_add_u64 v[0:1], v[30:31], 1, s[12:13]
	v_lshl_add_u64 v[2:3], v[32:33], 1, v[0:1]
	;; [unrolled: 1-line block ×4, first 2 shown]
	global_load_dwordx4 v[12:15], v[2:3], off nt
	global_load_dwordx4 v[8:11], v[4:5], off nt
	v_lshl_add_u64 v[18:19], v[38:39], 1, v[0:1]
	global_load_dwordx4 v[4:7], v[16:17], off nt
	global_load_dwordx4 v[0:3], v[18:19], off nt
	v_cmp_gt_u32_e32 vcc, s4, v20
	v_mov_b32_e32 v24, 0
	v_mov_b32_e32 v25, 0
	;; [unrolled: 1-line block ×16, first 2 shown]
	s_and_saveexec_b64 s[20:21], vcc
	s_cbranch_execz .LBB122_10
; %bb.12:                               ;   in Loop: Header=BB122_11 Depth=2
	v_add_u32_e32 v16, s6, v62
	ds_read_b128 v[24:27], v62
	v_add_u32_e32 v17, s24, v62
	ds_read_b128 v[20:23], v16
	ds_read2_b32 v[40:41], v17 offset1:1
	v_add_u32_e32 v16, s30, v62
	ds_read2_b32 v[42:43], v17 offset0:2 offset1:3
	ds_read_b128 v[16:19], v16
	s_branch .LBB122_10
.LBB122_13:                             ;   in Loop: Header=BB122_8 Depth=1
	; sched_barrier mask(0x00000000)
	v_cvt_i32_f32_e32 v0, v61
	v_cvt_i32_f32_e32 v1, v60
	;; [unrolled: 1-line block ×4, first 2 shown]
	v_cvt_f32_i32_dpp v0, v0 row_shr:8 row_mask:0xf bank_mask:0xf bound_ctrl:1
	v_cvt_f32_i32_dpp v1, v1 row_shr:8 row_mask:0xf bank_mask:0xf bound_ctrl:1
	;; [unrolled: 1-line block ×4, first 2 shown]
	v_add_f32_e32 v0, v61, v0
	v_cvt_i32_f32_e32 v4, v0
	v_add_f32_e32 v1, v60, v1
	v_cvt_i32_f32_e32 v5, v1
	v_add_f32_e32 v2, v59, v2
	v_cvt_f32_i32_dpp v4, v4 row_shr:4 row_mask:0xf bank_mask:0xf bound_ctrl:1
	v_cvt_i32_f32_e32 v6, v2
	v_cvt_f32_i32_dpp v5, v5 row_shr:4 row_mask:0xf bank_mask:0xf bound_ctrl:1
	v_add_f32_e32 v3, v58, v3
	v_add_f32_e32 v0, v0, v4
	v_cvt_i32_f32_e32 v4, v0
	v_add_f32_e32 v1, v1, v5
	v_cvt_i32_f32_e32 v5, v1
	v_cvt_f32_i32_dpp v6, v6 row_shr:4 row_mask:0xf bank_mask:0xf bound_ctrl:1
	v_cvt_f32_i32_dpp v4, v4 row_shr:2 row_mask:0xf bank_mask:0xf bound_ctrl:1
	v_cvt_i32_f32_e32 v7, v3
	v_cvt_f32_i32_dpp v5, v5 row_shr:2 row_mask:0xf bank_mask:0xf bound_ctrl:1
	v_add_f32_e32 v2, v2, v6
	v_add_f32_e32 v0, v0, v4
	v_cvt_i32_f32_e32 v4, v0
	v_add_f32_e32 v1, v1, v5
	v_cvt_i32_f32_e32 v5, v1
	v_cvt_i32_f32_e32 v6, v2
	v_cvt_f32_i32_dpp v4, v4 row_shr:1 row_mask:0xf bank_mask:0xf bound_ctrl:1
	v_cvt_f32_i32_dpp v7, v7 row_shr:4 row_mask:0xf bank_mask:0xf bound_ctrl:1
	;; [unrolled: 1-line block ×4, first 2 shown]
	v_add_f32_e32 v0, v0, v4
	v_cvt_i32_f32_e32 v4, v0
	v_add_f32_e32 v1, v1, v5
	v_cvt_i32_f32_e32 v5, v1
	v_add_f32_e32 v6, v2, v6
	v_cvt_f32_i32_dpp v4, v4 row_bcast:15 row_mask:0xf bank_mask:0xf bound_ctrl:1
	v_cvt_i32_f32_e32 v2, v6
	v_cvt_f32_i32_dpp v5, v5 row_bcast:15 row_mask:0xf bank_mask:0xf bound_ctrl:1
	v_add_f32_e32 v3, v3, v7
	v_add_f32_e32 v0, v0, v4
	v_cvt_i32_f32_e32 v4, v0
	v_cvt_f32_i32_dpp v7, v2 row_shr:1 row_mask:0xf bank_mask:0xf bound_ctrl:1
	v_add_f32_e32 v1, v1, v5
	v_cvt_i32_f32_e32 v5, v1
	v_mov_b32_dpp v2, v4 row_bcast:31 row_mask:0xf bank_mask:0xf bound_ctrl:1
	v_cvt_i32_f32_e32 v4, v3
	v_add_f32_e32 v6, v6, v7
	v_cvt_i32_f32_e32 v7, v57
	v_cvt_i32_f32_e32 v8, v6
	v_cvt_f32_i32_dpp v9, v4 row_shr:2 row_mask:0xf bank_mask:0xf bound_ctrl:1
	v_mov_b32_dpp v4, v5 row_bcast:31 row_mask:0xf bank_mask:0xf bound_ctrl:1
	v_cvt_f32_i32_dpp v5, v7 row_shr:8 row_mask:0xf bank_mask:0xf bound_ctrl:1
	v_cvt_f32_i32_dpp v7, v8 row_bcast:15 row_mask:0xf bank_mask:0xf bound_ctrl:1
	v_add_f32_e32 v8, v3, v9
	v_cvt_i32_f32_e32 v9, v8
	v_add_f32_e32 v5, v57, v5
	v_cvt_i32_f32_e32 v10, v5
	v_add_f32_e32 v3, v6, v7
	v_cvt_f32_i32_dpp v6, v9 row_shr:1 row_mask:0xf bank_mask:0xf bound_ctrl:1
	v_cvt_i32_f32_e32 v7, v56
	v_cvt_f32_i32_dpp v9, v10 row_shr:4 row_mask:0xf bank_mask:0xf bound_ctrl:1
	v_cvt_i32_f32_e32 v10, v3
	v_add_f32_e32 v8, v8, v6
	v_cvt_f32_i32_dpp v6, v7 row_shr:8 row_mask:0xf bank_mask:0xf bound_ctrl:1
	v_add_f32_e32 v5, v5, v9
	v_cvt_i32_f32_e32 v7, v5
	v_cvt_i32_f32_e32 v9, v8
	v_add_f32_e32 v11, v56, v6
	v_cvt_i32_f32_e32 v12, v11
	v_cvt_f32_i32_dpp v7, v7 row_shr:2 row_mask:0xf bank_mask:0xf bound_ctrl:1
	v_mov_b32_dpp v6, v10 row_bcast:31 row_mask:0xf bank_mask:0xf bound_ctrl:1
	v_cvt_f32_i32_dpp v9, v9 row_bcast:15 row_mask:0xf bank_mask:0xf bound_ctrl:1
	v_cvt_f32_i32_dpp v10, v12 row_shr:4 row_mask:0xf bank_mask:0xf bound_ctrl:1
	v_add_f32_e32 v7, v5, v7
	v_cvt_i32_f32_e32 v12, v7
	v_add_f32_e32 v5, v8, v9
	v_add_f32_e32 v8, v11, v10
	v_cvt_i32_f32_e32 v9, v8
	v_cvt_f32_i32_dpp v10, v12 row_shr:1 row_mask:0xf bank_mask:0xf bound_ctrl:1
	v_cvt_i32_f32_e32 v11, v55
	v_cvt_i32_f32_e32 v12, v5
	v_cvt_f32_i32_dpp v9, v9 row_shr:2 row_mask:0xf bank_mask:0xf bound_ctrl:1
	v_add_f32_e32 v7, v7, v10
	v_cvt_f32_i32_dpp v10, v11 row_shr:8 row_mask:0xf bank_mask:0xf bound_ctrl:1
	v_cvt_i32_f32_e32 v11, v7
	v_add_f32_e32 v9, v8, v9
	v_cvt_i32_f32_e32 v8, v9
	v_add_f32_e32 v10, v55, v10
	v_cvt_i32_f32_e32 v13, v10
	v_cvt_f32_i32_dpp v11, v11 row_bcast:15 row_mask:0xf bank_mask:0xf bound_ctrl:1
	v_cvt_f32_i32_dpp v14, v8 row_shr:1 row_mask:0xf bank_mask:0xf bound_ctrl:1
	v_mov_b32_dpp v8, v12 row_bcast:31 row_mask:0xf bank_mask:0xf bound_ctrl:1
	v_cvt_f32_i32_dpp v12, v13 row_shr:4 row_mask:0xf bank_mask:0xf bound_ctrl:1
	v_add_f32_e32 v7, v7, v11
	v_cvt_i32_f32_e32 v11, v54
	v_add_f32_e32 v9, v9, v14
	v_add_f32_e32 v10, v10, v12
	v_cvt_i32_f32_e32 v12, v10
	v_cvt_f32_i32_dpp v11, v11 row_shr:8 row_mask:0xf bank_mask:0xf bound_ctrl:1
	v_cvt_i32_f32_e32 v14, v7
	v_cvt_i32_f32_e32 v13, v9
	v_cvt_f32_i32_dpp v12, v12 row_shr:2 row_mask:0xf bank_mask:0xf bound_ctrl:1
	v_add_f32_e32 v11, v54, v11
	v_cvt_i32_f32_e32 v15, v11
	v_cvt_f32_i32_dpp v13, v13 row_bcast:15 row_mask:0xf bank_mask:0xf bound_ctrl:1
	v_add_f32_e32 v12, v10, v12
	v_mov_b32_dpp v10, v14 row_bcast:31 row_mask:0xf bank_mask:0xf bound_ctrl:1
	v_cvt_f32_i32_dpp v14, v15 row_shr:4 row_mask:0xf bank_mask:0xf bound_ctrl:1
	v_cvt_i32_f32_e32 v16, v12
	v_cvt_i32_f32_e32 v15, v53
	v_add_f32_e32 v9, v9, v13
	v_add_f32_e32 v11, v11, v14
	v_cvt_f32_i32_dpp v13, v16 row_shr:1 row_mask:0xf bank_mask:0xf bound_ctrl:1
	v_cvt_i32_f32_e32 v14, v11
	v_cvt_f32_i32_dpp v15, v15 row_shr:8 row_mask:0xf bank_mask:0xf bound_ctrl:1
	v_cvt_i32_f32_e32 v16, v9
	v_add_f32_e32 v13, v12, v13
	v_cvt_f32_i32_dpp v12, v14 row_shr:2 row_mask:0xf bank_mask:0xf bound_ctrl:1
	v_add_f32_e32 v15, v53, v15
	v_cvt_i32_f32_e32 v14, v13
	v_cvt_i32_f32_e32 v17, v15
	v_add_f32_e32 v18, v11, v12
	v_cvt_i32_f32_e32 v11, v18
	v_cvt_f32_i32_dpp v14, v14 row_bcast:15 row_mask:0xf bank_mask:0xf bound_ctrl:1
	v_cvt_f32_i32_dpp v17, v17 row_shr:4 row_mask:0xf bank_mask:0xf bound_ctrl:1
	v_mov_b32_dpp v12, v16 row_bcast:31 row_mask:0xf bank_mask:0xf bound_ctrl:1
	v_cvt_f32_i32_dpp v16, v11 row_shr:1 row_mask:0xf bank_mask:0xf bound_ctrl:1
	v_add_f32_e32 v11, v13, v14
	v_add_f32_e32 v13, v15, v17
	v_cvt_i32_f32_e32 v14, v13
	v_add_f32_e32 v15, v18, v16
	v_cvt_i32_f32_e32 v16, v52
	v_cvt_i32_f32_e32 v17, v15
	v_cvt_f32_i32_dpp v14, v14 row_shr:2 row_mask:0xf bank_mask:0xf bound_ctrl:1
	v_cvt_i32_f32_e32 v18, v11
	v_cvt_f32_i32_dpp v16, v16 row_shr:8 row_mask:0xf bank_mask:0xf bound_ctrl:1
	v_cvt_f32_i32_dpp v17, v17 row_bcast:15 row_mask:0xf bank_mask:0xf bound_ctrl:1
	v_add_f32_e32 v19, v13, v14
	v_cvt_i32_f32_e32 v13, v19
	v_add_f32_e32 v16, v52, v16
	v_cvt_i32_f32_e32 v20, v16
	v_mov_b32_dpp v14, v18 row_bcast:31 row_mask:0xf bank_mask:0xf bound_ctrl:1
	v_cvt_f32_i32_dpp v18, v13 row_shr:1 row_mask:0xf bank_mask:0xf bound_ctrl:1
	v_add_f32_e32 v13, v15, v17
	v_cvt_f32_i32_dpp v15, v20 row_shr:4 row_mask:0xf bank_mask:0xf bound_ctrl:1
	v_cvt_i32_f32_e32 v17, v13
	v_add_f32_e32 v18, v19, v18
	v_cvt_i32_f32_e32 v19, v51
	v_add_f32_e32 v16, v16, v15
	v_cvt_i32_f32_e32 v20, v16
	v_cvt_i32_f32_e32 v21, v18
	v_cvt_f32_i32_dpp v19, v19 row_shr:8 row_mask:0xf bank_mask:0xf bound_ctrl:1
	v_mov_b32_dpp v15, v17 row_bcast:31 row_mask:0xf bank_mask:0xf bound_ctrl:1
	v_cvt_f32_i32_dpp v17, v20 row_shr:2 row_mask:0xf bank_mask:0xf bound_ctrl:1
	v_cvt_f32_i32_dpp v20, v21 row_bcast:15 row_mask:0xf bank_mask:0xf bound_ctrl:1
	v_add_f32_e32 v19, v51, v19
	v_cvt_i32_f32_e32 v21, v19
	v_cvt_i32_f32_e32 v22, v50
	v_add_f32_e32 v17, v16, v17
	v_add_f32_e32 v16, v18, v20
	v_cvt_f32_i32_dpp v21, v21 row_shr:4 row_mask:0xf bank_mask:0xf bound_ctrl:1
	v_cvt_f32_i32_dpp v18, v22 row_shr:8 row_mask:0xf bank_mask:0xf bound_ctrl:1
	v_cvt_i32_f32_e32 v23, v17
	v_add_f32_e32 v19, v19, v21
	v_cvt_i32_f32_e32 v21, v19
	v_add_f32_e32 v18, v50, v18
	v_cvt_f32_i32_dpp v20, v23 row_shr:1 row_mask:0xf bank_mask:0xf bound_ctrl:1
	v_cvt_i32_f32_e32 v22, v18
	v_cvt_f32_i32_dpp v21, v21 row_shr:2 row_mask:0xf bank_mask:0xf bound_ctrl:1
	v_cvt_i32_f32_e32 v23, v16
	v_add_f32_e32 v17, v17, v20
	v_cvt_f32_i32_dpp v20, v22 row_shr:4 row_mask:0xf bank_mask:0xf bound_ctrl:1
	v_add_f32_e32 v19, v19, v21
	v_cvt_i32_f32_e32 v21, v19
	v_cvt_i32_f32_e32 v22, v17
	v_add_f32_e32 v20, v18, v20
	v_cvt_i32_f32_e32 v24, v20
	v_cvt_f32_i32_dpp v21, v21 row_shr:1 row_mask:0xf bank_mask:0xf bound_ctrl:1
	v_mov_b32_dpp v18, v23 row_bcast:31 row_mask:0xf bank_mask:0xf bound_ctrl:1
	v_cvt_f32_i32_dpp v22, v22 row_bcast:15 row_mask:0xf bank_mask:0xf bound_ctrl:1
	v_cvt_f32_i32_dpp v23, v24 row_shr:2 row_mask:0xf bank_mask:0xf bound_ctrl:1
	v_add_f32_e32 v19, v19, v21
	v_cvt_i32_f32_e32 v21, v49
	v_add_f32_e32 v17, v17, v22
	v_add_f32_e32 v20, v20, v23
	v_cvt_i32_f32_e32 v22, v20
	v_cvt_f32_i32_dpp v21, v21 row_shr:8 row_mask:0xf bank_mask:0xf bound_ctrl:1
	v_cvt_i32_f32_e32 v24, v17
	v_cvt_i32_f32_e32 v23, v19
	v_cvt_f32_i32_dpp v22, v22 row_shr:1 row_mask:0xf bank_mask:0xf bound_ctrl:1
	v_add_f32_e32 v21, v49, v21
	v_cvt_i32_f32_e32 v25, v21
	v_cvt_f32_i32_dpp v23, v23 row_bcast:15 row_mask:0xf bank_mask:0xf bound_ctrl:1
	v_add_f32_e32 v22, v20, v22
	v_mov_b32_dpp v20, v24 row_bcast:31 row_mask:0xf bank_mask:0xf bound_ctrl:1
	v_cvt_f32_i32_dpp v24, v25 row_shr:4 row_mask:0xf bank_mask:0xf bound_ctrl:1
	v_cvt_i32_f32_e32 v26, v22
	v_cvt_i32_f32_e32 v25, v48
	v_add_f32_e32 v19, v19, v23
	v_add_f32_e32 v24, v21, v24
	v_cvt_f32_i32_dpp v23, v26 row_bcast:15 row_mask:0xf bank_mask:0xf bound_ctrl:1
	v_cvt_i32_f32_e32 v26, v24
	v_cvt_f32_i32_dpp v25, v25 row_shr:8 row_mask:0xf bank_mask:0xf bound_ctrl:1
	v_cvt_i32_f32_e32 v27, v19
	v_add_f32_e32 v21, v22, v23
	v_cvt_f32_i32_dpp v22, v26 row_shr:2 row_mask:0xf bank_mask:0xf bound_ctrl:1
	v_add_f32_e32 v25, v48, v25
	v_cvt_i32_f32_e32 v26, v25
	v_cvt_i32_f32_e32 v23, v21
	v_add_f32_e32 v24, v24, v22
	v_cvt_i32_f32_e32 v30, v24
	v_cvt_f32_i32_dpp v26, v26 row_shr:4 row_mask:0xf bank_mask:0xf bound_ctrl:1
	v_mov_b32_dpp v22, v27 row_bcast:31 row_mask:0xf bank_mask:0xf bound_ctrl:1
	v_mov_b32_dpp v23, v23 row_bcast:31 row_mask:0xf bank_mask:0xf bound_ctrl:1
	v_cvt_f32_i32_dpp v27, v30 row_shr:1 row_mask:0xf bank_mask:0xf bound_ctrl:1
	v_cvt_i32_f32_e32 v30, v47
	v_add_f32_e32 v25, v25, v26
	v_cvt_i32_f32_e32 v26, v29
	v_cvt_i32_f32_e32 v32, v25
	v_cvt_f32_i32_dpp v30, v30 row_shr:8 row_mask:0xf bank_mask:0xf bound_ctrl:1
	v_add_f32_e32 v24, v24, v27
	v_cvt_f32_i32_dpp v26, v26 row_shr:8 row_mask:0xf bank_mask:0xf bound_ctrl:1
	v_cvt_f32_i32_dpp v27, v32 row_shr:2 row_mask:0xf bank_mask:0xf bound_ctrl:1
	v_add_f32_e32 v30, v47, v30
	v_cvt_i32_f32_e32 v32, v30
	v_add_f32_e32 v26, v29, v26
	v_cvt_i32_f32_e32 v29, v26
	v_add_f32_e32 v25, v25, v27
	v_cvt_f32_i32_dpp v32, v32 row_shr:4 row_mask:0xf bank_mask:0xf bound_ctrl:1
	v_cvt_i32_f32_e32 v33, v24
	v_cvt_f32_i32_dpp v27, v29 row_shr:4 row_mask:0xf bank_mask:0xf bound_ctrl:1
	v_cvt_i32_f32_e32 v29, v25
	v_add_f32_e32 v30, v30, v32
	v_cvt_i32_f32_e32 v32, v30
	v_add_f32_e32 v26, v26, v27
	v_cvt_i32_f32_e32 v27, v26
	v_cvt_f32_i32_dpp v29, v29 row_shr:1 row_mask:0xf bank_mask:0xf bound_ctrl:1
	v_cvt_f32_i32_dpp v32, v32 row_shr:2 row_mask:0xf bank_mask:0xf bound_ctrl:1
	v_cvt_f32_i32_dpp v33, v33 row_bcast:15 row_mask:0xf bank_mask:0xf bound_ctrl:1
	v_cvt_f32_i32_dpp v27, v27 row_shr:2 row_mask:0xf bank_mask:0xf bound_ctrl:1
	v_add_f32_e32 v25, v25, v29
	v_add_f32_e32 v29, v30, v32
	v_cvt_i32_f32_e32 v30, v29
	v_add_f32_e32 v26, v26, v27
	v_cvt_i32_f32_e32 v27, v26
	v_cvt_i32_f32_e32 v32, v25
	v_cvt_f32_i32_dpp v30, v30 row_shr:1 row_mask:0xf bank_mask:0xf bound_ctrl:1
	v_add_f32_e32 v24, v24, v33
	v_cvt_f32_i32_dpp v27, v27 row_shr:1 row_mask:0xf bank_mask:0xf bound_ctrl:1
	v_cvt_f32_i32_dpp v32, v32 row_bcast:15 row_mask:0xf bank_mask:0xf bound_ctrl:1
	v_add_f32_e32 v29, v29, v30
	v_cvt_i32_f32_e32 v30, v29
	v_add_f32_e32 v27, v26, v27
	v_cvt_i32_f32_e32 v26, v27
	v_add_f32_e32 v25, v25, v32
	v_cvt_f32_i32_dpp v30, v30 row_bcast:15 row_mask:0xf bank_mask:0xf bound_ctrl:1
	v_cvt_i32_f32_e32 v33, v24
	v_cvt_f32_i32_dpp v32, v26 row_bcast:15 row_mask:0xf bank_mask:0xf bound_ctrl:1
	v_cvt_i32_f32_e32 v34, v25
	v_add_f32_e32 v26, v29, v30
	v_cvt_i32_f32_e32 v29, v26
	v_add_f32_e32 v27, v27, v32
	v_cvt_i32_f32_e32 v30, v27
	v_mov_b32_dpp v35, v33 row_bcast:31 row_mask:0xf bank_mask:0xf bound_ctrl:1
	v_mov_b32_dpp v34, v34 row_bcast:31 row_mask:0xf bank_mask:0xf bound_ctrl:1
	;; [unrolled: 1-line block ×4, first 2 shown]
	s_and_saveexec_b64 s[20:21], s[0:1]
	s_cbranch_execz .LBB122_7
; %bb.14:                               ;   in Loop: Header=BB122_8 Depth=1
	s_and_b64 vcc, exec, s[18:19]
	s_cbranch_vccz .LBB122_16
; %bb.15:                               ;   in Loop: Header=BB122_8 Depth=1
	v_mul_hi_u32 v29, v28, v45
	v_mul_lo_u32 v29, v29, s8
	v_sub_u32_e32 v29, v28, v29
	v_subrev_u32_e32 v30, s8, v29
	v_cmp_le_u32_e32 vcc, s8, v29
	v_mov_b32_e32 v39, v31
	v_mov_b32_e32 v41, v31
	v_cndmask_b32_e32 v29, v29, v30, vcc
	v_subrev_u32_e32 v30, s8, v29
	v_cmp_le_u32_e32 vcc, s8, v29
	v_mov_b32_e32 v43, v31
	v_mov_b32_e32 v51, v31
	v_cndmask_b32_e32 v30, v29, v30, vcc
	v_or_b32_e32 v29, 1, v28
	v_mul_hi_u32 v38, v29, v45
	v_mul_lo_u32 v38, v38, s8
	v_sub_u32_e32 v29, v29, v38
	v_subrev_u32_e32 v38, s8, v29
	v_cmp_le_u32_e32 vcc, s8, v29
	v_add_u32_e32 v40, s27, v30
	v_lshl_add_u64 v[62:63], v[40:41], 1, s[10:11]
	v_cndmask_b32_e32 v29, v29, v38, vcc
	v_subrev_u32_e32 v38, s8, v29
	v_cmp_le_u32_e32 vcc, s8, v29
	v_lshl_add_u64 v[36:37], v[30:31], 1, s[10:11]
	s_nop 0
	v_cndmask_b32_e32 v38, v29, v38, vcc
	v_or_b32_e32 v29, 2, v28
	v_lshl_add_u64 v[56:57], v[38:39], 1, s[10:11]
	v_mul_hi_u32 v39, v29, v45
	v_mul_lo_u32 v39, v39, s8
	v_sub_u32_e32 v29, v29, v39
	v_subrev_u32_e32 v39, s8, v29
	v_cmp_le_u32_e32 vcc, s8, v29
	v_add_u32_e32 v40, s27, v38
	v_lshl_add_u64 v[64:65], v[40:41], 1, s[10:11]
	v_cndmask_b32_e32 v29, v29, v39, vcc
	v_subrev_u32_e32 v39, s8, v29
	v_cmp_le_u32_e32 vcc, s8, v29
	s_nop 1
	v_cndmask_b32_e32 v42, v29, v39, vcc
	v_or_b32_e32 v29, 3, v28
	v_mul_hi_u32 v39, v29, v45
	v_mul_lo_u32 v39, v39, s8
	v_sub_u32_e32 v29, v29, v39
	v_subrev_u32_e32 v39, s8, v29
	v_cmp_le_u32_e32 vcc, s8, v29
	v_add_u32_e32 v40, s27, v42
	v_lshl_add_u64 v[66:67], v[40:41], 1, s[10:11]
	v_cndmask_b32_e32 v29, v29, v39, vcc
	v_subrev_u32_e32 v39, s8, v29
	v_cmp_le_u32_e32 vcc, s8, v29
	v_lshl_add_u64 v[58:59], v[42:43], 1, s[10:11]
	s_nop 0
	v_cndmask_b32_e32 v50, v29, v39, vcc
	v_add_u32_e32 v40, s27, v50
	v_lshl_add_u64 v[60:61], v[50:51], 1, s[10:11]
	v_lshl_add_u64 v[68:69], v[40:41], 1, s[10:11]
	global_load_ushort v54, v[36:37], off
	global_load_ushort v53, v[56:57], off
	;; [unrolled: 1-line block ×7, first 2 shown]
                                        ; kill: killed $vgpr62_vgpr63
                                        ; kill: killed $vgpr64_vgpr65
                                        ; kill: killed $vgpr66_vgpr67
                                        ; kill: killed $vgpr56_vgpr57
                                        ; kill: killed $vgpr36_vgpr37
                                        ; kill: killed $vgpr58_vgpr59
                                        ; kill: killed $vgpr60_vgpr61
	global_load_ushort v40, v[68:69], off
	v_add_u32_e32 v36, s28, v30
	v_add_u32_e32 v30, s29, v30
	v_lshl_add_u64 v[62:63], v[30:31], 1, s[10:11]
	v_add_u32_e32 v30, s29, v38
	v_mov_b32_e32 v37, v31
	v_lshl_add_u64 v[64:65], v[30:31], 1, s[10:11]
	v_add_u32_e32 v30, s29, v42
	v_lshl_add_u64 v[36:37], v[36:37], 1, s[10:11]
	v_add_u32_e32 v56, s28, v38
	v_mov_b32_e32 v57, v31
	v_add_u32_e32 v58, s28, v42
	v_mov_b32_e32 v59, v31
	;; [unrolled: 2-line block ×3, first 2 shown]
	v_lshl_add_u64 v[66:67], v[30:31], 1, s[10:11]
	v_add_u32_e32 v30, s29, v50
	v_lshl_add_u64 v[56:57], v[56:57], 1, s[10:11]
	v_lshl_add_u64 v[58:59], v[58:59], 1, s[10:11]
	;; [unrolled: 1-line block ×4, first 2 shown]
	global_load_ushort v50, v[36:37], off
	global_load_ushort v49, v[56:57], off
	;; [unrolled: 1-line block ×3, first 2 shown]
                                        ; kill: killed $vgpr36_vgpr37
                                        ; kill: killed $vgpr56_vgpr57
                                        ; kill: killed $vgpr58_vgpr59
	global_load_ushort v42, v[60:61], off
	global_load_ushort v39, v[62:63], off
	;; [unrolled: 1-line block ×5, first 2 shown]
	v_mov_b32_e32 v29, v31
	s_cbranch_execnz .LBB122_6
	s_branch .LBB122_17
.LBB122_16:                             ;   in Loop: Header=BB122_8 Depth=1
                                        ; implicit-def: $vgpr36
                                        ; implicit-def: $vgpr37
                                        ; implicit-def: $vgpr38
                                        ; implicit-def: $vgpr39
                                        ; implicit-def: $vgpr42
                                        ; implicit-def: $vgpr47
                                        ; implicit-def: $vgpr49
                                        ; implicit-def: $vgpr50
                                        ; implicit-def: $vgpr40
                                        ; implicit-def: $vgpr41
                                        ; implicit-def: $vgpr43
                                        ; implicit-def: $vgpr48
                                        ; implicit-def: $vgpr51
                                        ; implicit-def: $vgpr52
                                        ; implicit-def: $vgpr53
                                        ; implicit-def: $vgpr54
.LBB122_17:                             ;   in Loop: Header=BB122_8 Depth=1
	v_mov_b32_e32 v29, v31
	s_waitcnt vmcnt(15)
	v_mov_b32_e32 v54, 0
	s_waitcnt vmcnt(14)
	;; [unrolled: 2-line block ×16, first 2 shown]
	v_mov_b32_e32 v36, 0
	s_branch .LBB122_6
.LBB122_18:
	s_endpgm
	.section	.rodata,"a",@progbits
	.p2align	6, 0x0
	.amdhsa_kernel _Z16wvSplitK_hf_sml_I6__halfLi64ELi4ELi16ELi8ELi1ELi4EEviiiiiiPKT_S3_S3_PS1_ii
		.amdhsa_group_segment_fixed_size 65536
		.amdhsa_private_segment_fixed_size 0
		.amdhsa_kernarg_size 64
		.amdhsa_user_sgpr_count 2
		.amdhsa_user_sgpr_dispatch_ptr 0
		.amdhsa_user_sgpr_queue_ptr 0
		.amdhsa_user_sgpr_kernarg_segment_ptr 1
		.amdhsa_user_sgpr_dispatch_id 0
		.amdhsa_user_sgpr_kernarg_preload_length 0
		.amdhsa_user_sgpr_kernarg_preload_offset 0
		.amdhsa_user_sgpr_private_segment_size 0
		.amdhsa_uses_dynamic_stack 0
		.amdhsa_enable_private_segment 0
		.amdhsa_system_sgpr_workgroup_id_x 1
		.amdhsa_system_sgpr_workgroup_id_y 0
		.amdhsa_system_sgpr_workgroup_id_z 0
		.amdhsa_system_sgpr_workgroup_info 0
		.amdhsa_system_vgpr_workitem_id 1
		.amdhsa_next_free_vgpr 70
		.amdhsa_next_free_sgpr 31
		.amdhsa_accum_offset 72
		.amdhsa_reserve_vcc 1
		.amdhsa_float_round_mode_32 0
		.amdhsa_float_round_mode_16_64 0
		.amdhsa_float_denorm_mode_32 3
		.amdhsa_float_denorm_mode_16_64 3
		.amdhsa_dx10_clamp 1
		.amdhsa_ieee_mode 1
		.amdhsa_fp16_overflow 0
		.amdhsa_tg_split 0
		.amdhsa_exception_fp_ieee_invalid_op 0
		.amdhsa_exception_fp_denorm_src 0
		.amdhsa_exception_fp_ieee_div_zero 0
		.amdhsa_exception_fp_ieee_overflow 0
		.amdhsa_exception_fp_ieee_underflow 0
		.amdhsa_exception_fp_ieee_inexact 0
		.amdhsa_exception_int_div_zero 0
	.end_amdhsa_kernel
	.section	.text._Z16wvSplitK_hf_sml_I6__halfLi64ELi4ELi16ELi8ELi1ELi4EEviiiiiiPKT_S3_S3_PS1_ii,"axG",@progbits,_Z16wvSplitK_hf_sml_I6__halfLi64ELi4ELi16ELi8ELi1ELi4EEviiiiiiPKT_S3_S3_PS1_ii,comdat
.Lfunc_end122:
	.size	_Z16wvSplitK_hf_sml_I6__halfLi64ELi4ELi16ELi8ELi1ELi4EEviiiiiiPKT_S3_S3_PS1_ii, .Lfunc_end122-_Z16wvSplitK_hf_sml_I6__halfLi64ELi4ELi16ELi8ELi1ELi4EEviiiiiiPKT_S3_S3_PS1_ii
                                        ; -- End function
	.section	.AMDGPU.csdata,"",@progbits
; Kernel info:
; codeLenInByte = 4428
; NumSgprs: 37
; NumVgprs: 70
; NumAgprs: 0
; TotalNumVgprs: 70
; ScratchSize: 0
; MemoryBound: 0
; FloatMode: 240
; IeeeMode: 1
; LDSByteSize: 65536 bytes/workgroup (compile time only)
; SGPRBlocks: 4
; VGPRBlocks: 8
; NumSGPRsForWavesPerEU: 37
; NumVGPRsForWavesPerEU: 70
; AccumOffset: 72
; Occupancy: 4
; WaveLimiterHint : 0
; COMPUTE_PGM_RSRC2:SCRATCH_EN: 0
; COMPUTE_PGM_RSRC2:USER_SGPR: 2
; COMPUTE_PGM_RSRC2:TRAP_HANDLER: 0
; COMPUTE_PGM_RSRC2:TGID_X_EN: 1
; COMPUTE_PGM_RSRC2:TGID_Y_EN: 0
; COMPUTE_PGM_RSRC2:TGID_Z_EN: 0
; COMPUTE_PGM_RSRC2:TIDIG_COMP_CNT: 1
; COMPUTE_PGM_RSRC3_GFX90A:ACCUM_OFFSET: 17
; COMPUTE_PGM_RSRC3_GFX90A:TG_SPLIT: 0
	.section	.text._Z12wvSplitK_hf_I6__halfLi64ELi4ELi16ELi8ELi1ELi4EEviiiiiiPKT_S3_S3_PS1_ii,"axG",@progbits,_Z12wvSplitK_hf_I6__halfLi64ELi4ELi16ELi8ELi1ELi4EEviiiiiiPKT_S3_S3_PS1_ii,comdat
	.protected	_Z12wvSplitK_hf_I6__halfLi64ELi4ELi16ELi8ELi1ELi4EEviiiiiiPKT_S3_S3_PS1_ii ; -- Begin function _Z12wvSplitK_hf_I6__halfLi64ELi4ELi16ELi8ELi1ELi4EEviiiiiiPKT_S3_S3_PS1_ii
	.globl	_Z12wvSplitK_hf_I6__halfLi64ELi4ELi16ELi8ELi1ELi4EEviiiiiiPKT_S3_S3_PS1_ii
	.p2align	8
	.type	_Z12wvSplitK_hf_I6__halfLi64ELi4ELi16ELi8ELi1ELi4EEviiiiiiPKT_S3_S3_PS1_ii,@function
_Z12wvSplitK_hf_I6__halfLi64ELi4ELi16ELi8ELi1ELi4EEviiiiiiPKT_S3_S3_PS1_ii: ; @_Z12wvSplitK_hf_I6__halfLi64ELi4ELi16ELi8ELi1ELi4EEviiiiiiPKT_S3_S3_PS1_ii
; %bb.0:
	s_load_dwordx2 s[8:9], s[0:1], 0x38
	s_load_dwordx4 s[12:15], s[0:1], 0x0
	s_load_dwordx2 s[10:11], s[0:1], 0x10
	v_bfe_u32 v1, v0, 10, 10
	s_mov_b32 s4, 1
	s_waitcnt lgkmcnt(0)
	s_mul_i32 s2, s2, s8
	v_add_lshl_u32 v38, s2, v1, 2
	v_add_u32_e32 v2, 4, v38
	s_mov_b32 s5, s4
	v_cmp_gt_u32_e32 vcc, s15, v38
	v_cmp_le_u32_e64 s[2:3], s15, v2
	s_mov_b32 s6, s4
	s_mov_b32 s7, s4
	v_mov_b64_e32 v[2:3], s[4:5]
	s_and_b64 s[16:17], vcc, s[2:3]
	v_mov_b64_e32 v[4:5], s[6:7]
	s_and_saveexec_b64 s[2:3], s[16:17]
	s_cbranch_execz .LBB123_6
; %bb.1:
	s_add_i32 s22, s15, -4
	v_mov_b64_e32 v[2:3], s[4:5]
	v_cmp_ne_u32_e32 vcc, s22, v38
	v_mov_b64_e32 v[4:5], s[6:7]
	s_and_saveexec_b64 s[16:17], vcc
	s_cbranch_execz .LBB123_5
; %bb.2:
	v_subrev_u32_e32 v2, s22, v38
	v_cmp_lt_u32_e32 vcc, 1, v2
	s_mov_b64 s[18:19], 0
	s_mov_b64 s[20:21], 0
	v_cndmask_b32_e32 v6, 1, v2, vcc
	s_mov_b32 s5, s4
	s_mov_b32 s6, s4
	;; [unrolled: 1-line block ×3, first 2 shown]
.LBB123_3:                              ; =>This Inner Loop Header: Depth=1
	s_cmp_lg_u32 s20, 3
	s_cselect_b32 s7, s7, 0
	s_cmp_lg_u32 s20, 2
	s_cselect_b32 s6, s6, 0
	;; [unrolled: 2-line block ×4, first 2 shown]
	s_add_u32 s20, s20, 1
	s_addc_u32 s21, s21, 0
	v_cmp_eq_u32_e32 vcc, s20, v6
	v_mov_b64_e32 v[2:3], s[4:5]
	s_or_b64 s[18:19], vcc, s[18:19]
	v_mov_b64_e32 v[4:5], s[6:7]
	s_andn2_b64 exec, exec, s[18:19]
	s_cbranch_execnz .LBB123_3
; %bb.4:
	s_or_b64 exec, exec, s[18:19]
	v_mov_b32_e32 v38, s22
.LBB123_5:
	s_or_b64 exec, exec, s[16:17]
.LBB123_6:
	s_or_b64 exec, exec, s[2:3]
	s_load_dwordx4 s[16:19], s[0:1], 0x20
	v_and_b32_e32 v8, 0x3ff, v0
	v_lshlrev_b32_e32 v0, 3, v8
	s_lshl_b32 s33, s14, 2
	v_lshl_add_u32 v9, v1, 9, v0
	s_min_u32 s20, s33, 0x8000
	v_cmp_gt_u32_e32 vcc, s20, v9
	s_and_saveexec_b64 s[2:3], vcc
	s_cbranch_execz .LBB123_9
; %bb.7:
	v_mov_b32_e32 v11, 0
	v_lshlrev_b32_e32 v10, 10, v1
	v_lshlrev_b32_e32 v12, 4, v8
	v_mov_b32_e32 v13, v11
	v_lshl_add_u64 v[6:7], v[10:11], 0, v[12:13]
	s_waitcnt lgkmcnt(0)
	v_lshl_add_u64 v[6:7], s[16:17], 0, v[6:7]
	v_add_u32_e32 v10, v10, v12
	s_mov_b64 s[4:5], 0
	s_mov_b64 s[6:7], 0x4000
.LBB123_8:                              ; =>This Inner Loop Header: Depth=1
	global_load_dwordx4 v[12:15], v[6:7], off
	v_add_u32_e32 v9, 0x2000, v9
	v_cmp_le_u32_e32 vcc, s20, v9
	v_lshl_add_u64 v[6:7], v[6:7], 0, s[6:7]
	s_or_b64 s[4:5], vcc, s[4:5]
	s_waitcnt vmcnt(0)
	ds_write_b128 v10, v[12:15]
	v_add_u32_e32 v10, 0x4000, v10
	s_andn2_b64 exec, exec, s[4:5]
	s_cbranch_execnz .LBB123_8
.LBB123_9:
	s_or_b64 exec, exec, s[2:3]
	v_cmp_gt_u32_e32 vcc, s8, v1
	v_cmp_gt_u32_e64 s[2:3], s15, v38
	s_and_b64 s[2:3], vcc, s[2:3]
	s_waitcnt lgkmcnt(0)
	s_barrier
	s_and_saveexec_b64 s[4:5], s[2:3]
	s_cbranch_execz .LBB123_74
; %bb.10:
	s_cmp_lg_u32 s12, 0
	s_cselect_b64 s[2:3], -1, 0
	s_add_i32 s36, s12, -8
	s_add_i32 s37, s15, -1
	s_mul_i32 s4, s8, s9
	s_cmp_lg_u64 s[18:19], 0
	s_cselect_b64 s[26:27], -1, 0
	s_lshl_b32 s38, s4, 2
	s_abs_i32 s4, s11
	v_cvt_f32_u32_e32 v1, s10
	v_cvt_f32_u32_e32 v6, s4
	s_sub_i32 s5, 0, s10
	s_add_i32 s11, s15, -4
	v_rcp_iflag_f32_e32 v1, v1
	v_rcp_iflag_f32_e32 v6, v6
	s_load_dwordx2 s[20:21], s[0:1], 0x18
	s_load_dwordx2 s[22:23], s[0:1], 0x30
	v_cmp_eq_u32_e64 s[0:1], 63, v8
	v_mul_f32_e32 v1, 0x4f7ffffe, v1
	v_mul_f32_e32 v6, 0x4f7ffffe, v6
	v_cvt_u32_f32_e32 v1, v1
	v_cvt_u32_f32_e32 v6, v6
	s_mov_b64 s[24:25], 0
	v_mov_b32_e32 v41, 0
	v_mul_lo_u32 v7, s5, v1
	s_sub_i32 s5, 0, s4
	v_readfirstlane_b32 s6, v6
	s_mul_i32 s5, s5, s6
	s_mul_hi_u32 s5, s6, s5
	s_add_i32 s6, s6, s5
	s_sub_i32 s5, 1, s4
	s_cmp_lt_u32 s4, 2
	s_cselect_b32 s5, s5, 1
	s_sub_i32 s7, s5, s4
	s_cmp_ge_u32 s5, s4
	s_cselect_b32 s39, s7, s5
	s_lshr_b32 s5, s6, 31
	s_mul_i32 s5, s5, s4
	s_sub_i32 s5, 2, s5
	s_sub_i32 s7, s5, s4
	s_cmp_ge_u32 s5, s4
	s_cselect_b32 s5, s7, s5
	s_sub_i32 s7, s5, s4
	s_cmp_ge_u32 s5, s4
	s_cselect_b32 s40, s7, s5
	s_mul_hi_u32 s5, s6, 3
	s_mul_i32 s5, s5, s4
	s_sub_i32 s5, 3, s5
	s_sub_i32 s6, s5, s4
	s_cmp_ge_u32 s5, s4
	s_cselect_b32 s5, s6, s5
	v_mul_hi_u32 v7, v1, v7
	s_sub_i32 s6, s5, s4
	v_add_u32_e32 v1, v1, v7
	s_cmp_ge_u32 s5, s4
	s_cselect_b32 s41, s6, s5
	s_lshl_b32 s42, s14, 1
	v_mad_u64_u32 v[42:43], s[4:5], s14, 3, v[0:1]
	v_cndmask_b32_e64 v6, 0, 1, s[2:3]
	s_mul_i32 s39, s39, s10
	s_mul_i32 s40, s40, s10
	;; [unrolled: 1-line block ×3, first 2 shown]
	v_lshlrev_b32_e32 v60, 4, v8
	v_add_u32_e32 v61, s42, v0
	s_mul_i32 s43, s14, 6
	v_add_u32_e32 v43, s14, v0
	v_cmp_ne_u32_e64 s[2:3], 1, v6
	s_movk_i32 s14, 0x7fff
	s_mov_b32 s28, 0
	s_branch .LBB123_13
.LBB123_11:                             ;   in Loop: Header=BB123_13 Depth=1
	s_or_b64 exec, exec, s[8:9]
	v_mov_b32_e32 v38, s11
.LBB123_12:                             ;   in Loop: Header=BB123_13 Depth=1
	s_or_b64 exec, exec, s[6:7]
	v_cmp_le_u32_e32 vcc, s15, v38
	s_or_b64 s[24:25], vcc, s[24:25]
	s_andn2_b64 exec, exec, s[24:25]
	s_cbranch_execz .LBB123_74
.LBB123_13:                             ; =>This Loop Header: Depth=1
                                        ;     Child Loop BB123_17 Depth 2
                                        ;     Child Loop BB123_57 Depth 2
	s_and_b64 vcc, exec, s[2:3]
	v_add_u32_e32 v48, 1, v38
	v_add_u32_e32 v46, 2, v38
	;; [unrolled: 1-line block ×3, first 2 shown]
	v_mov_b32_e32 v73, v41
	v_mov_b32_e32 v72, v41
	;; [unrolled: 1-line block ×4, first 2 shown]
	s_waitcnt vmcnt(15)
	v_mov_b32_e32 v39, v41
	s_waitcnt vmcnt(12)
	v_mov_b32_e32 v45, v41
	v_mov_b32_e32 v47, v41
	v_mov_b32_e32 v49, v41
	s_waitcnt vmcnt(10)
	v_mov_b32_e32 v62, v41
	v_mov_b32_e32 v63, v41
	;; [unrolled: 1-line block ×8, first 2 shown]
	s_cbranch_vccnz .LBB123_34
; %bb.14:                               ;   in Loop: Header=BB123_13 Depth=1
	v_min_u32_e32 v6, s37, v38
	s_waitcnt vmcnt(0)
	v_mul_lo_u32 v50, v6, s13
	v_min_u32_e32 v6, s37, v48
	v_mul_lo_u32 v52, v6, s13
	v_min_u32_e32 v6, s37, v46
	;; [unrolled: 2-line block ×3, first 2 shown]
	v_mov_b32_e32 v51, v41
	v_mov_b32_e32 v53, v41
	v_mov_b32_e32 v55, v41
	v_mul_lo_u32 v56, v6, s13
	v_mov_b32_e32 v57, v41
	v_mov_b32_e32 v69, 0
	;; [unrolled: 1-line block ×18, first 2 shown]
	s_mov_b32 s8, s28
	s_branch .LBB123_17
.LBB123_15:                             ;   in Loop: Header=BB123_17 Depth=2
	s_or_b64 exec, exec, s[6:7]
.LBB123_16:                             ;   in Loop: Header=BB123_17 Depth=2
	s_or_b64 exec, exec, s[4:5]
	s_waitcnt vmcnt(0) lgkmcnt(0)
	;;#ASMSTART
	v_dot2c_f32_f16 v73, v26, v18
	;;#ASMEND
	;;#ASMSTART
	v_dot2c_f32_f16 v72, v26, v14
	;;#ASMEND
	;; [unrolled: 3-line block ×16, first 2 shown]
	s_nop 0
	;;#ASMSTART
	v_dot2c_f32_f16 v73, v27, v19
	;;#ASMEND
	;;#ASMSTART
	v_dot2c_f32_f16 v72, v27, v15
	;;#ASMEND
	;; [unrolled: 3-line block ×16, first 2 shown]
	s_addk_i32 s8, 0x200
	;;#ASMSTART
	v_dot2c_f32_f16 v73, v28, v20
	;;#ASMEND
	;;#ASMSTART
	v_dot2c_f32_f16 v72, v28, v16
	;;#ASMEND
	;;#ASMSTART
	v_dot2c_f32_f16 v71, v28, v12
	;;#ASMEND
	;;#ASMSTART
	v_dot2c_f32_f16 v70, v28, v8
	;;#ASMEND
	;;#ASMSTART
	v_dot2c_f32_f16 v69, v24, v20
	;;#ASMEND
	;;#ASMSTART
	v_dot2c_f32_f16 v68, v24, v16
	;;#ASMEND
	;;#ASMSTART
	v_dot2c_f32_f16 v67, v24, v12
	;;#ASMEND
	;;#ASMSTART
	v_dot2c_f32_f16 v66, v24, v8
	;;#ASMEND
	;;#ASMSTART
	v_dot2c_f32_f16 v65, v32, v20
	;;#ASMEND
	;;#ASMSTART
	v_dot2c_f32_f16 v64, v32, v16
	;;#ASMEND
	;;#ASMSTART
	v_dot2c_f32_f16 v63, v32, v12
	;;#ASMEND
	;;#ASMSTART
	v_dot2c_f32_f16 v62, v32, v8
	;;#ASMEND
	;;#ASMSTART
	v_dot2c_f32_f16 v49, v36, v20
	;;#ASMEND
	;;#ASMSTART
	v_dot2c_f32_f16 v47, v36, v16
	;;#ASMEND
	;;#ASMSTART
	v_dot2c_f32_f16 v45, v36, v12
	;;#ASMEND
	;;#ASMSTART
	v_dot2c_f32_f16 v39, v36, v8
	;;#ASMEND
	s_cmp_ge_u32 s8, s12
	v_add_u32_e32 v74, 0x400, v74
	;;#ASMSTART
	v_dot2c_f32_f16 v73, v29, v21
	;;#ASMEND
	;;#ASMSTART
	v_dot2c_f32_f16 v72, v29, v17
	;;#ASMEND
	;; [unrolled: 3-line block ×16, first 2 shown]
	s_cbranch_scc1 .LBB123_34
.LBB123_17:                             ;   Parent Loop BB123_13 Depth=1
                                        ; =>  This Inner Loop Header: Depth=2
	v_add_u32_e32 v58, s8, v0
	v_min_u32_e32 v40, s36, v58
	s_waitcnt lgkmcnt(0)
	v_lshl_add_u64 v[6:7], v[40:41], 1, s[20:21]
	v_lshl_add_u64 v[8:9], v[50:51], 1, v[6:7]
	;; [unrolled: 1-line block ×4, first 2 shown]
	global_load_dwordx4 v[18:21], v[8:9], off nt
	global_load_dwordx4 v[14:17], v[10:11], off nt
	v_lshl_add_u64 v[24:25], v[56:57], 1, v[6:7]
	global_load_dwordx4 v[10:13], v[22:23], off nt
	global_load_dwordx4 v[6:9], v[24:25], off nt
	s_mov_b32 s29, s28
	v_cmp_gt_u32_e32 vcc, s12, v58
	v_mov_b64_e32 v[32:33], s[28:29]
	v_mov_b32_e32 v37, 0
	v_mov_b32_e32 v36, 0
	;; [unrolled: 1-line block ×4, first 2 shown]
	v_mov_b64_e32 v[30:31], s[28:29]
	v_mov_b64_e32 v[24:25], s[28:29]
	;; [unrolled: 1-line block ×5, first 2 shown]
	s_and_saveexec_b64 s[4:5], vcc
	s_cbranch_execz .LBB123_16
; %bb.18:                               ;   in Loop: Header=BB123_17 Depth=2
	v_cmp_lt_u32_e32 vcc, s14, v58
                                        ; implicit-def: $vgpr28_vgpr29
	s_and_saveexec_b64 s[6:7], vcc
	s_xor_b64 s[6:7], exec, s[6:7]
	s_cbranch_execz .LBB123_20
; %bb.19:                               ;   in Loop: Header=BB123_17 Depth=2
	v_mov_b32_e32 v59, v41
	v_lshl_add_u64 v[22:23], v[58:59], 1, s[16:17]
	global_load_dwordx4 v[26:29], v[22:23], off
.LBB123_20:                             ;   in Loop: Header=BB123_17 Depth=2
	s_andn2_saveexec_b64 s[6:7], s[6:7]
	s_cbranch_execz .LBB123_22
; %bb.21:                               ;   in Loop: Header=BB123_17 Depth=2
	s_waitcnt vmcnt(0)
	ds_read_b128 v[26:29], v74
.LBB123_22:                             ;   in Loop: Header=BB123_17 Depth=2
	s_or_b64 exec, exec, s[6:7]
	v_add_u32_e32 v40, s8, v43
	v_cmp_lt_u32_e32 vcc, s14, v40
                                        ; implicit-def: $vgpr24_vgpr25
	s_and_saveexec_b64 s[6:7], vcc
	s_xor_b64 s[6:7], exec, s[6:7]
	s_cbranch_execz .LBB123_24
; %bb.23:                               ;   in Loop: Header=BB123_17 Depth=2
	v_lshl_add_u64 v[22:23], v[40:41], 1, s[16:17]
	global_load_dwordx4 v[22:25], v[22:23], off
.LBB123_24:                             ;   in Loop: Header=BB123_17 Depth=2
	s_andn2_saveexec_b64 s[6:7], s[6:7]
	s_cbranch_execz .LBB123_26
; %bb.25:                               ;   in Loop: Header=BB123_17 Depth=2
	s_waitcnt vmcnt(0)
	v_add_u32_e32 v22, s42, v74
	ds_read_b128 v[22:25], v22
.LBB123_26:                             ;   in Loop: Header=BB123_17 Depth=2
	s_or_b64 exec, exec, s[6:7]
	v_add_u32_e32 v40, s8, v61
	v_cmp_lt_u32_e32 vcc, s14, v40
                                        ; implicit-def: $vgpr32_vgpr33
	s_and_saveexec_b64 s[6:7], vcc
	s_xor_b64 s[6:7], exec, s[6:7]
	s_cbranch_execz .LBB123_28
; %bb.27:                               ;   in Loop: Header=BB123_17 Depth=2
	v_lshl_add_u64 v[30:31], v[40:41], 1, s[16:17]
	global_load_dwordx4 v[30:33], v[30:31], off
.LBB123_28:                             ;   in Loop: Header=BB123_17 Depth=2
	s_andn2_saveexec_b64 s[6:7], s[6:7]
	s_cbranch_execz .LBB123_30
; %bb.29:                               ;   in Loop: Header=BB123_17 Depth=2
	s_waitcnt vmcnt(0)
	v_add_u32_e32 v32, s33, v74
	ds_read2_b32 v[30:31], v32 offset1:1
	ds_read2_b32 v[32:33], v32 offset0:2 offset1:3
.LBB123_30:                             ;   in Loop: Header=BB123_17 Depth=2
	s_or_b64 exec, exec, s[6:7]
	v_add_u32_e32 v40, s8, v42
	v_cmp_lt_u32_e32 vcc, s14, v40
                                        ; implicit-def: $vgpr37
	s_and_saveexec_b64 s[6:7], vcc
	s_xor_b64 s[6:7], exec, s[6:7]
	s_cbranch_execz .LBB123_32
; %bb.31:                               ;   in Loop: Header=BB123_17 Depth=2
	v_lshl_add_u64 v[34:35], v[40:41], 1, s[16:17]
	global_load_dwordx4 v[34:37], v[34:35], off
.LBB123_32:                             ;   in Loop: Header=BB123_17 Depth=2
	s_andn2_saveexec_b64 s[6:7], s[6:7]
	s_cbranch_execz .LBB123_15
; %bb.33:                               ;   in Loop: Header=BB123_17 Depth=2
	s_waitcnt vmcnt(0)
	v_add_u32_e32 v34, s43, v74
	ds_read_b128 v[34:37], v34
	s_branch .LBB123_15
.LBB123_34:                             ;   in Loop: Header=BB123_13 Depth=1
	v_cvt_i32_f32_e32 v6, v73
	v_cvt_i32_f32_e32 v7, v72
	;; [unrolled: 1-line block ×4, first 2 shown]
	v_cvt_f32_i32_dpp v6, v6 row_shr:8 row_mask:0xf bank_mask:0xf bound_ctrl:1
	v_cvt_f32_i32_dpp v7, v7 row_shr:8 row_mask:0xf bank_mask:0xf bound_ctrl:1
	;; [unrolled: 1-line block ×4, first 2 shown]
	v_add_f32_e32 v6, v73, v6
	v_cvt_i32_f32_e32 v10, v6
	v_add_f32_e32 v7, v72, v7
	v_cvt_i32_f32_e32 v11, v7
	v_add_f32_e32 v8, v71, v8
	v_cvt_f32_i32_dpp v10, v10 row_shr:4 row_mask:0xf bank_mask:0xf bound_ctrl:1
	v_cvt_i32_f32_e32 v12, v8
	v_cvt_f32_i32_dpp v11, v11 row_shr:4 row_mask:0xf bank_mask:0xf bound_ctrl:1
	v_add_f32_e32 v9, v70, v9
	v_add_f32_e32 v6, v6, v10
	v_cvt_i32_f32_e32 v10, v6
	v_add_f32_e32 v7, v7, v11
	v_cvt_i32_f32_e32 v11, v7
	v_cvt_f32_i32_dpp v12, v12 row_shr:4 row_mask:0xf bank_mask:0xf bound_ctrl:1
	v_cvt_f32_i32_dpp v10, v10 row_shr:2 row_mask:0xf bank_mask:0xf bound_ctrl:1
	v_cvt_i32_f32_e32 v13, v9
	v_cvt_f32_i32_dpp v11, v11 row_shr:2 row_mask:0xf bank_mask:0xf bound_ctrl:1
	v_add_f32_e32 v8, v8, v12
	v_add_f32_e32 v6, v6, v10
	v_cvt_i32_f32_e32 v10, v6
	v_add_f32_e32 v7, v7, v11
	v_cvt_i32_f32_e32 v11, v7
	v_cvt_i32_f32_e32 v12, v8
	v_cvt_f32_i32_dpp v10, v10 row_shr:1 row_mask:0xf bank_mask:0xf bound_ctrl:1
	v_cvt_f32_i32_dpp v13, v13 row_shr:4 row_mask:0xf bank_mask:0xf bound_ctrl:1
	;; [unrolled: 1-line block ×4, first 2 shown]
	v_add_f32_e32 v6, v6, v10
	v_cvt_i32_f32_e32 v10, v6
	v_add_f32_e32 v7, v7, v11
	v_cvt_i32_f32_e32 v11, v7
	v_add_f32_e32 v12, v8, v12
	v_cvt_f32_i32_dpp v10, v10 row_bcast:15 row_mask:0xf bank_mask:0xf bound_ctrl:1
	v_add_f32_e32 v9, v9, v13
	v_cvt_i32_f32_e32 v13, v12
	v_cvt_f32_i32_dpp v11, v11 row_bcast:15 row_mask:0xf bank_mask:0xf bound_ctrl:1
	v_add_f32_e32 v8, v6, v10
	v_cvt_i32_f32_e32 v10, v8
	v_cvt_f32_i32_dpp v13, v13 row_shr:1 row_mask:0xf bank_mask:0xf bound_ctrl:1
	v_add_f32_e32 v6, v7, v11
	v_cvt_i32_f32_e32 v7, v6
	v_mov_b32_dpp v11, v10 row_bcast:31 row_mask:0xf bank_mask:0xf bound_ctrl:1
	v_cvt_i32_f32_e32 v10, v9
	v_add_f32_e32 v12, v12, v13
	v_cvt_i32_f32_e32 v13, v69
	v_cvt_i32_f32_e32 v14, v12
	v_cvt_f32_i32_dpp v15, v10 row_shr:2 row_mask:0xf bank_mask:0xf bound_ctrl:1
	v_mov_b32_dpp v10, v7 row_bcast:31 row_mask:0xf bank_mask:0xf bound_ctrl:1
	v_cvt_f32_i32_dpp v7, v13 row_shr:8 row_mask:0xf bank_mask:0xf bound_ctrl:1
	v_cvt_f32_i32_dpp v13, v14 row_bcast:15 row_mask:0xf bank_mask:0xf bound_ctrl:1
	v_add_f32_e32 v9, v9, v15
	v_cvt_i32_f32_e32 v14, v9
	v_add_f32_e32 v15, v69, v7
	v_cvt_i32_f32_e32 v16, v15
	v_add_f32_e32 v7, v12, v13
	v_cvt_f32_i32_dpp v12, v14 row_shr:1 row_mask:0xf bank_mask:0xf bound_ctrl:1
	v_cvt_i32_f32_e32 v13, v68
	v_cvt_f32_i32_dpp v14, v16 row_shr:4 row_mask:0xf bank_mask:0xf bound_ctrl:1
	v_cvt_i32_f32_e32 v16, v7
	v_add_f32_e32 v9, v9, v12
	v_cvt_f32_i32_dpp v12, v13 row_shr:8 row_mask:0xf bank_mask:0xf bound_ctrl:1
	v_add_f32_e32 v14, v15, v14
	v_cvt_i32_f32_e32 v13, v14
	v_cvt_i32_f32_e32 v15, v9
	v_add_f32_e32 v12, v68, v12
	v_cvt_i32_f32_e32 v17, v12
	v_cvt_f32_i32_dpp v18, v13 row_shr:2 row_mask:0xf bank_mask:0xf bound_ctrl:1
	v_mov_b32_dpp v13, v16 row_bcast:31 row_mask:0xf bank_mask:0xf bound_ctrl:1
	v_cvt_f32_i32_dpp v15, v15 row_bcast:15 row_mask:0xf bank_mask:0xf bound_ctrl:1
	v_cvt_f32_i32_dpp v16, v17 row_shr:4 row_mask:0xf bank_mask:0xf bound_ctrl:1
	v_add_f32_e32 v14, v14, v18
	v_cvt_i32_f32_e32 v17, v14
	v_add_f32_e32 v9, v9, v15
	v_add_f32_e32 v12, v12, v16
	v_cvt_i32_f32_e32 v15, v12
	v_cvt_f32_i32_dpp v16, v17 row_shr:1 row_mask:0xf bank_mask:0xf bound_ctrl:1
	v_cvt_i32_f32_e32 v17, v67
	v_cvt_i32_f32_e32 v18, v9
	v_cvt_f32_i32_dpp v15, v15 row_shr:2 row_mask:0xf bank_mask:0xf bound_ctrl:1
	v_add_f32_e32 v14, v14, v16
	v_cvt_f32_i32_dpp v16, v17 row_shr:8 row_mask:0xf bank_mask:0xf bound_ctrl:1
	v_cvt_i32_f32_e32 v17, v14
	v_add_f32_e32 v19, v12, v15
	v_cvt_i32_f32_e32 v12, v19
	v_add_f32_e32 v16, v67, v16
	v_cvt_i32_f32_e32 v20, v16
	v_cvt_f32_i32_dpp v17, v17 row_bcast:15 row_mask:0xf bank_mask:0xf bound_ctrl:1
	v_mov_b32_dpp v15, v18 row_bcast:31 row_mask:0xf bank_mask:0xf bound_ctrl:1
	v_cvt_f32_i32_dpp v21, v12 row_shr:1 row_mask:0xf bank_mask:0xf bound_ctrl:1
	v_cvt_f32_i32_dpp v18, v20 row_shr:4 row_mask:0xf bank_mask:0xf bound_ctrl:1
	v_add_f32_e32 v12, v14, v17
	v_cvt_i32_f32_e32 v17, v66
	v_add_f32_e32 v14, v19, v21
	v_add_f32_e32 v16, v16, v18
	v_cvt_i32_f32_e32 v18, v16
	v_cvt_f32_i32_dpp v17, v17 row_shr:8 row_mask:0xf bank_mask:0xf bound_ctrl:1
	v_cvt_i32_f32_e32 v19, v14
	v_cvt_i32_f32_e32 v20, v12
	v_cvt_f32_i32_dpp v18, v18 row_shr:2 row_mask:0xf bank_mask:0xf bound_ctrl:1
	v_add_f32_e32 v17, v66, v17
	v_cvt_i32_f32_e32 v21, v17
	v_cvt_f32_i32_dpp v19, v19 row_bcast:15 row_mask:0xf bank_mask:0xf bound_ctrl:1
	v_add_f32_e32 v16, v16, v18
	v_cvt_i32_f32_e32 v22, v16
	v_mov_b32_dpp v18, v20 row_bcast:31 row_mask:0xf bank_mask:0xf bound_ctrl:1
	v_cvt_f32_i32_dpp v20, v21 row_shr:4 row_mask:0xf bank_mask:0xf bound_ctrl:1
	v_cvt_i32_f32_e32 v21, v65
	v_add_f32_e32 v14, v14, v19
	v_cvt_f32_i32_dpp v19, v22 row_shr:1 row_mask:0xf bank_mask:0xf bound_ctrl:1
	v_add_f32_e32 v17, v17, v20
	v_cvt_f32_i32_dpp v21, v21 row_shr:8 row_mask:0xf bank_mask:0xf bound_ctrl:1
	v_cvt_i32_f32_e32 v20, v17
	v_add_f32_e32 v16, v16, v19
	v_cvt_i32_f32_e32 v22, v14
	v_add_f32_e32 v21, v65, v21
	v_cvt_f32_i32_dpp v19, v20 row_shr:2 row_mask:0xf bank_mask:0xf bound_ctrl:1
	v_cvt_i32_f32_e32 v20, v16
	v_cvt_i32_f32_e32 v23, v21
	v_add_f32_e32 v17, v17, v19
	v_cvt_f32_i32_dpp v20, v20 row_bcast:15 row_mask:0xf bank_mask:0xf bound_ctrl:1
	v_cvt_f32_i32_dpp v23, v23 row_shr:4 row_mask:0xf bank_mask:0xf bound_ctrl:1
	v_cvt_i32_f32_e32 v24, v17
	v_mov_b32_dpp v19, v22 row_bcast:31 row_mask:0xf bank_mask:0xf bound_ctrl:1
	v_add_f32_e32 v16, v16, v20
	v_add_f32_e32 v20, v21, v23
	v_cvt_f32_i32_dpp v22, v24 row_shr:1 row_mask:0xf bank_mask:0xf bound_ctrl:1
	v_cvt_i32_f32_e32 v21, v20
	v_cvt_i32_f32_e32 v24, v16
	v_add_f32_e32 v17, v17, v22
	v_cvt_i32_f32_e32 v22, v64
	v_cvt_f32_i32_dpp v21, v21 row_shr:2 row_mask:0xf bank_mask:0xf bound_ctrl:1
	v_cvt_i32_f32_e32 v23, v17
	v_cvt_f32_i32_dpp v22, v22 row_shr:8 row_mask:0xf bank_mask:0xf bound_ctrl:1
	v_add_f32_e32 v21, v20, v21
	v_cvt_i32_f32_e32 v25, v21
	v_cvt_f32_i32_dpp v23, v23 row_bcast:15 row_mask:0xf bank_mask:0xf bound_ctrl:1
	v_add_f32_e32 v22, v64, v22
	v_cvt_i32_f32_e32 v26, v22
	v_mov_b32_dpp v20, v24 row_bcast:31 row_mask:0xf bank_mask:0xf bound_ctrl:1
	v_cvt_f32_i32_dpp v24, v25 row_shr:1 row_mask:0xf bank_mask:0xf bound_ctrl:1
	v_add_f32_e32 v17, v17, v23
	v_cvt_f32_i32_dpp v23, v26 row_shr:4 row_mask:0xf bank_mask:0xf bound_ctrl:1
	v_cvt_i32_f32_e32 v25, v17
	v_add_f32_e32 v21, v21, v24
	v_cvt_i32_f32_e32 v24, v63
	v_add_f32_e32 v23, v22, v23
	v_cvt_i32_f32_e32 v26, v23
	v_cvt_i32_f32_e32 v27, v21
	v_cvt_f32_i32_dpp v24, v24 row_shr:8 row_mask:0xf bank_mask:0xf bound_ctrl:1
	v_mov_b32_dpp v22, v25 row_bcast:31 row_mask:0xf bank_mask:0xf bound_ctrl:1
	v_cvt_f32_i32_dpp v25, v26 row_shr:2 row_mask:0xf bank_mask:0xf bound_ctrl:1
	v_cvt_f32_i32_dpp v26, v27 row_bcast:15 row_mask:0xf bank_mask:0xf bound_ctrl:1
	v_add_f32_e32 v24, v63, v24
	v_cvt_i32_f32_e32 v27, v24
	v_add_f32_e32 v23, v23, v25
	v_cvt_i32_f32_e32 v25, v62
	v_cvt_i32_f32_e32 v28, v23
	v_cvt_f32_i32_dpp v27, v27 row_shr:4 row_mask:0xf bank_mask:0xf bound_ctrl:1
	v_add_f32_e32 v21, v21, v26
	v_cvt_f32_i32_dpp v25, v25 row_shr:8 row_mask:0xf bank_mask:0xf bound_ctrl:1
	v_cvt_f32_i32_dpp v26, v28 row_shr:1 row_mask:0xf bank_mask:0xf bound_ctrl:1
	v_add_f32_e32 v24, v24, v27
	v_cvt_i32_f32_e32 v27, v24
	v_add_f32_e32 v25, v62, v25
	v_cvt_i32_f32_e32 v28, v25
	v_add_f32_e32 v23, v23, v26
	v_cvt_f32_i32_dpp v27, v27 row_shr:2 row_mask:0xf bank_mask:0xf bound_ctrl:1
	v_cvt_i32_f32_e32 v29, v21
	v_cvt_f32_i32_dpp v26, v28 row_shr:4 row_mask:0xf bank_mask:0xf bound_ctrl:1
	v_cvt_i32_f32_e32 v28, v23
	v_add_f32_e32 v24, v24, v27
	v_cvt_i32_f32_e32 v27, v24
	v_add_f32_e32 v25, v25, v26
	v_cvt_i32_f32_e32 v26, v25
	v_cvt_f32_i32_dpp v30, v28 row_bcast:15 row_mask:0xf bank_mask:0xf bound_ctrl:1
	v_cvt_f32_i32_dpp v27, v27 row_shr:1 row_mask:0xf bank_mask:0xf bound_ctrl:1
	v_mov_b32_dpp v28, v29 row_bcast:31 row_mask:0xf bank_mask:0xf bound_ctrl:1
	v_cvt_f32_i32_dpp v26, v26 row_shr:2 row_mask:0xf bank_mask:0xf bound_ctrl:1
	v_add_f32_e32 v23, v23, v30
	v_add_f32_e32 v24, v24, v27
	v_cvt_i32_f32_e32 v27, v49
	v_add_f32_e32 v25, v25, v26
	v_cvt_i32_f32_e32 v26, v25
	v_cvt_i32_f32_e32 v29, v24
	v_cvt_f32_i32_dpp v27, v27 row_shr:8 row_mask:0xf bank_mask:0xf bound_ctrl:1
	v_cvt_i32_f32_e32 v30, v23
	v_cvt_f32_i32_dpp v26, v26 row_shr:1 row_mask:0xf bank_mask:0xf bound_ctrl:1
	v_cvt_f32_i32_dpp v29, v29 row_bcast:15 row_mask:0xf bank_mask:0xf bound_ctrl:1
	v_add_f32_e32 v27, v49, v27
	v_cvt_i32_f32_e32 v31, v27
	v_add_f32_e32 v25, v25, v26
	v_cvt_i32_f32_e32 v26, v25
	v_add_f32_e32 v24, v24, v29
	v_cvt_f32_i32_dpp v31, v31 row_shr:4 row_mask:0xf bank_mask:0xf bound_ctrl:1
	v_cvt_i32_f32_e32 v29, v47
	v_cvt_f32_i32_dpp v26, v26 row_bcast:15 row_mask:0xf bank_mask:0xf bound_ctrl:1
	v_cvt_i32_f32_e32 v32, v24
	v_add_f32_e32 v27, v27, v31
	v_cvt_i32_f32_e32 v31, v27
	v_cvt_f32_i32_dpp v29, v29 row_shr:8 row_mask:0xf bank_mask:0xf bound_ctrl:1
	v_add_f32_e32 v25, v25, v26
	v_mov_b32_dpp v30, v30 row_bcast:31 row_mask:0xf bank_mask:0xf bound_ctrl:1
	v_cvt_f32_i32_dpp v26, v31 row_shr:2 row_mask:0xf bank_mask:0xf bound_ctrl:1
	v_add_f32_e32 v29, v47, v29
	v_cvt_i32_f32_e32 v33, v29
	v_cvt_i32_f32_e32 v31, v25
	v_add_f32_e32 v26, v27, v26
	v_cvt_i32_f32_e32 v34, v26
	v_cvt_f32_i32_dpp v33, v33 row_shr:4 row_mask:0xf bank_mask:0xf bound_ctrl:1
	v_mov_b32_dpp v27, v31 row_bcast:31 row_mask:0xf bank_mask:0xf bound_ctrl:1
	v_mov_b32_dpp v32, v32 row_bcast:31 row_mask:0xf bank_mask:0xf bound_ctrl:1
	v_cvt_f32_i32_dpp v31, v34 row_shr:1 row_mask:0xf bank_mask:0xf bound_ctrl:1
	v_cvt_i32_f32_e32 v34, v45
	v_add_f32_e32 v29, v29, v33
	v_cvt_i32_f32_e32 v33, v39
	v_add_f32_e32 v26, v26, v31
	v_cvt_f32_i32_dpp v34, v34 row_shr:8 row_mask:0xf bank_mask:0xf bound_ctrl:1
	v_cvt_i32_f32_e32 v35, v29
	v_cvt_f32_i32_dpp v31, v33 row_shr:8 row_mask:0xf bank_mask:0xf bound_ctrl:1
	v_cvt_i32_f32_e32 v37, v26
	v_add_f32_e32 v34, v45, v34
	v_cvt_f32_i32_dpp v33, v35 row_shr:2 row_mask:0xf bank_mask:0xf bound_ctrl:1
	v_add_f32_e32 v31, v39, v31
	v_cvt_i32_f32_e32 v35, v34
	v_cvt_i32_f32_e32 v36, v31
	v_add_f32_e32 v29, v29, v33
	v_cvt_f32_i32_dpp v37, v37 row_bcast:15 row_mask:0xf bank_mask:0xf bound_ctrl:1
	v_cvt_f32_i32_dpp v35, v35 row_shr:4 row_mask:0xf bank_mask:0xf bound_ctrl:1
	v_cvt_f32_i32_dpp v33, v36 row_shr:4 row_mask:0xf bank_mask:0xf bound_ctrl:1
	v_cvt_i32_f32_e32 v36, v29
	v_add_f32_e32 v34, v34, v35
	v_add_f32_e32 v31, v31, v33
	v_cvt_i32_f32_e32 v35, v34
	v_cvt_i32_f32_e32 v33, v31
	v_cvt_f32_i32_dpp v36, v36 row_shr:1 row_mask:0xf bank_mask:0xf bound_ctrl:1
	v_cvt_f32_i32_dpp v35, v35 row_shr:2 row_mask:0xf bank_mask:0xf bound_ctrl:1
	;; [unrolled: 1-line block ×3, first 2 shown]
	v_add_f32_e32 v29, v29, v36
	v_cvt_i32_f32_e32 v36, v29
	v_add_f32_e32 v34, v34, v35
	v_add_f32_e32 v31, v31, v33
	v_cvt_i32_f32_e32 v35, v34
	v_cvt_i32_f32_e32 v33, v31
	s_nop 0
	v_cvt_f32_i32_dpp v39, v35 row_shr:1 row_mask:0xf bank_mask:0xf bound_ctrl:1
	v_add_f32_e32 v35, v26, v37
	v_cvt_f32_i32_dpp v26, v33 row_shr:1 row_mask:0xf bank_mask:0xf bound_ctrl:1
	v_cvt_f32_i32_dpp v33, v36 row_bcast:15 row_mask:0xf bank_mask:0xf bound_ctrl:1
	v_add_f32_e32 v36, v34, v39
	v_cvt_i32_f32_e32 v34, v36
	v_add_f32_e32 v26, v31, v26
	v_cvt_i32_f32_e32 v31, v26
	v_cvt_i32_f32_e32 v37, v35
	v_cvt_f32_i32_dpp v39, v34 row_bcast:15 row_mask:0xf bank_mask:0xf bound_ctrl:1
	v_add_f32_e32 v34, v29, v33
	v_cvt_f32_i32_dpp v29, v31 row_bcast:15 row_mask:0xf bank_mask:0xf bound_ctrl:1
	v_cvt_i32_f32_e32 v33, v34
	v_add_f32_e32 v31, v36, v39
	v_cvt_i32_f32_e32 v39, v31
	v_add_f32_e32 v26, v26, v29
	v_cvt_i32_f32_e32 v29, v26
	v_mov_b32_dpp v37, v37 row_bcast:31 row_mask:0xf bank_mask:0xf bound_ctrl:1
	v_mov_b32_dpp v36, v33 row_bcast:31 row_mask:0xf bank_mask:0xf bound_ctrl:1
	;; [unrolled: 1-line block ×4, first 2 shown]
	s_and_saveexec_b64 s[30:31], s[0:1]
	s_cbranch_execz .LBB123_54
; %bb.35:                               ;   in Loop: Header=BB123_13 Depth=1
	s_andn2_b64 vcc, exec, s[26:27]
	v_mov_b32_e32 v39, 0
	v_mov_b32_e32 v49, 0
	;; [unrolled: 1-line block ×6, first 2 shown]
	s_waitcnt vmcnt(9)
	v_mov_b32_e32 v58, 0
	s_waitcnt vmcnt(8)
	v_mov_b32_e32 v56, 0
	;; [unrolled: 2-line block ×10, first 2 shown]
	s_cbranch_vccnz .LBB123_37
; %bb.36:                               ;   in Loop: Header=BB123_13 Depth=1
	v_mul_hi_u32 v39, v38, v1
	v_mul_lo_u32 v39, v39, s10
	v_sub_u32_e32 v39, v38, v39
	v_subrev_u32_e32 v40, s10, v39
	v_cmp_le_u32_e32 vcc, s10, v39
	v_mov_b32_e32 v65, v41
	v_mov_b32_e32 v67, v41
	v_cndmask_b32_e32 v39, v39, v40, vcc
	v_subrev_u32_e32 v40, s10, v39
	v_cmp_le_u32_e32 vcc, s10, v39
	v_mov_b32_e32 v63, v41
	v_mov_b32_e32 v53, v41
	v_cndmask_b32_e32 v40, v39, v40, vcc
	v_mul_hi_u32 v39, v48, v1
	v_mul_lo_u32 v39, v39, s10
	v_sub_u32_e32 v39, v48, v39
	v_subrev_u32_e32 v45, s10, v39
	v_cmp_le_u32_e32 vcc, s10, v39
	v_add_u32_e32 v62, s39, v40
	v_lshl_add_u64 v[50:51], v[40:41], 1, s[18:19]
	v_cndmask_b32_e32 v39, v39, v45, vcc
	v_subrev_u32_e32 v45, s10, v39
	v_cmp_le_u32_e32 vcc, s10, v39
	v_lshl_add_u64 v[62:63], v[62:63], 1, s[18:19]
	v_mov_b32_e32 v69, v41
	v_cndmask_b32_e32 v52, v39, v45, vcc
	v_mul_hi_u32 v39, v46, v1
	v_mul_lo_u32 v39, v39, s10
	v_sub_u32_e32 v39, v46, v39
	v_subrev_u32_e32 v45, s10, v39
	v_cmp_le_u32_e32 vcc, s10, v39
	v_add_u32_e32 v68, s39, v52
	v_mov_b32_e32 v71, v41
	v_cndmask_b32_e32 v39, v39, v45, vcc
	v_subrev_u32_e32 v45, s10, v39
	v_cmp_le_u32_e32 vcc, s10, v39
	v_mov_b32_e32 v73, v41
	v_lshl_add_u64 v[54:55], v[52:53], 1, s[18:19]
	v_cndmask_b32_e32 v64, v39, v45, vcc
	v_mul_hi_u32 v39, v44, v1
	v_mul_lo_u32 v39, v39, s10
	v_sub_u32_e32 v39, v44, v39
	v_subrev_u32_e32 v45, s10, v39
	v_cmp_le_u32_e32 vcc, s10, v39
	v_lshl_add_u64 v[56:57], v[64:65], 1, s[18:19]
	v_add_u32_e32 v70, s39, v64
	v_cndmask_b32_e32 v39, v39, v45, vcc
	v_subrev_u32_e32 v45, s10, v39
	v_cmp_le_u32_e32 vcc, s10, v39
	v_lshl_add_u64 v[68:69], v[68:69], 1, s[18:19]
	v_lshl_add_u64 v[70:71], v[70:71], 1, s[18:19]
	v_cndmask_b32_e32 v66, v39, v45, vcc
	v_lshl_add_u64 v[58:59], v[66:67], 1, s[18:19]
	v_add_u32_e32 v72, s39, v66
	v_lshl_add_u64 v[72:73], v[72:73], 1, s[18:19]
	global_load_ushort v39, v[50:51], off
	global_load_ushort v49, v[54:55], off
	;; [unrolled: 1-line block ×4, first 2 shown]
	s_nop 0
	global_load_ushort v63, v[62:63], off
	s_nop 0
	global_load_ushort v62, v[68:69], off
	global_load_ushort v58, v[70:71], off
                                        ; kill: killed $vgpr68_vgpr69
                                        ; kill: killed $vgpr70_vgpr71
	global_load_ushort v56, v[72:73], off
	v_add_u32_e32 v50, s40, v40
	v_add_u32_e32 v40, s41, v40
	v_lshl_add_u64 v[72:73], v[40:41], 1, s[18:19]
	v_add_u32_e32 v40, s41, v52
	v_mov_b32_e32 v51, v41
	v_add_u32_e32 v54, s40, v52
	v_mov_b32_e32 v55, v41
	v_lshl_add_u64 v[74:75], v[40:41], 1, s[18:19]
	v_add_u32_e32 v40, s41, v64
	v_lshl_add_u64 v[50:51], v[50:51], 1, s[18:19]
	v_lshl_add_u64 v[54:55], v[54:55], 1, s[18:19]
	v_add_u32_e32 v68, s40, v64
	v_mov_b32_e32 v69, v41
	v_add_u32_e32 v70, s40, v66
	v_mov_b32_e32 v71, v41
	v_lshl_add_u64 v[64:65], v[40:41], 1, s[18:19]
	v_add_u32_e32 v40, s41, v66
	v_lshl_add_u64 v[68:69], v[68:69], 1, s[18:19]
	v_lshl_add_u64 v[70:71], v[70:71], 1, s[18:19]
	;; [unrolled: 1-line block ×3, first 2 shown]
	global_load_ushort v59, v[50:51], off
	global_load_ushort v57, v[54:55], off
	s_nop 0
	global_load_ushort v55, v[68:69], off
	global_load_ushort v54, v[70:71], off
	;; [unrolled: 1-line block ×6, first 2 shown]
.LBB123_37:                             ;   in Loop: Header=BB123_13 Depth=1
	v_cmp_ne_u32_e32 vcc, 0, v2
	s_and_saveexec_b64 s[4:5], vcc
	s_cbranch_execnz .LBB123_59
; %bb.38:                               ;   in Loop: Header=BB123_13 Depth=1
	s_or_b64 exec, exec, s[4:5]
	v_cmp_ne_u32_e64 s[4:5], 0, v3
	s_and_saveexec_b64 s[6:7], s[4:5]
	s_cbranch_execnz .LBB123_60
.LBB123_39:                             ;   in Loop: Header=BB123_13 Depth=1
	s_or_b64 exec, exec, s[6:7]
	v_cmp_ne_u32_e64 s[6:7], 0, v4
	s_and_saveexec_b64 s[8:9], s[6:7]
	s_cbranch_execnz .LBB123_61
.LBB123_40:                             ;   in Loop: Header=BB123_13 Depth=1
	s_or_b64 exec, exec, s[8:9]
	v_cmp_ne_u32_e64 s[8:9], 0, v5
	s_and_saveexec_b64 s[34:35], s[8:9]
	s_cbranch_execnz .LBB123_62
.LBB123_41:                             ;   in Loop: Header=BB123_13 Depth=1
	s_or_b64 exec, exec, s[34:35]
	v_add_u32_e32 v40, s15, v38
	s_and_saveexec_b64 s[34:35], vcc
	s_cbranch_execnz .LBB123_63
.LBB123_42:                             ;   in Loop: Header=BB123_13 Depth=1
	s_or_b64 exec, exec, s[34:35]
	s_and_saveexec_b64 s[34:35], s[4:5]
	s_cbranch_execnz .LBB123_64
.LBB123_43:                             ;   in Loop: Header=BB123_13 Depth=1
	s_or_b64 exec, exec, s[34:35]
	s_and_saveexec_b64 s[34:35], s[6:7]
	s_cbranch_execnz .LBB123_65
.LBB123_44:                             ;   in Loop: Header=BB123_13 Depth=1
	s_or_b64 exec, exec, s[34:35]
	s_and_saveexec_b64 s[34:35], s[8:9]
	s_cbranch_execnz .LBB123_66
.LBB123_45:                             ;   in Loop: Header=BB123_13 Depth=1
	s_or_b64 exec, exec, s[34:35]
	v_add_u32_e32 v40, s15, v40
	s_and_saveexec_b64 s[34:35], vcc
	s_cbranch_execnz .LBB123_67
.LBB123_46:                             ;   in Loop: Header=BB123_13 Depth=1
	s_or_b64 exec, exec, s[34:35]
	s_and_saveexec_b64 s[34:35], s[4:5]
	s_cbranch_execnz .LBB123_68
.LBB123_47:                             ;   in Loop: Header=BB123_13 Depth=1
	s_or_b64 exec, exec, s[34:35]
	s_and_saveexec_b64 s[34:35], s[6:7]
	s_cbranch_execnz .LBB123_69
.LBB123_48:                             ;   in Loop: Header=BB123_13 Depth=1
	s_or_b64 exec, exec, s[34:35]
	s_and_saveexec_b64 s[34:35], s[8:9]
	s_cbranch_execnz .LBB123_70
.LBB123_49:                             ;   in Loop: Header=BB123_13 Depth=1
	s_or_b64 exec, exec, s[34:35]
	v_add_u32_e32 v40, s15, v40
	s_and_saveexec_b64 s[34:35], vcc
	s_cbranch_execnz .LBB123_71
.LBB123_50:                             ;   in Loop: Header=BB123_13 Depth=1
	s_or_b64 exec, exec, s[34:35]
	s_and_saveexec_b64 s[34:35], s[4:5]
	s_cbranch_execnz .LBB123_72
.LBB123_51:                             ;   in Loop: Header=BB123_13 Depth=1
	s_or_b64 exec, exec, s[34:35]
	s_and_saveexec_b64 s[4:5], s[6:7]
	s_cbranch_execnz .LBB123_73
.LBB123_52:                             ;   in Loop: Header=BB123_13 Depth=1
	s_or_b64 exec, exec, s[4:5]
	s_and_b64 exec, exec, s[8:9]
	s_cbranch_execz .LBB123_54
.LBB123_53:                             ;   in Loop: Header=BB123_13 Depth=1
	v_cvt_f32_i32_e32 v6, v29
	s_waitcnt vmcnt(0)
	v_cvt_f32_f16_e32 v7, v50
	v_add_u32_e32 v40, 3, v40
	v_add_f32_e32 v6, v26, v6
	v_add_f32_e32 v6, v6, v7
	v_cvt_f16_f32_e32 v8, v6
	s_waitcnt lgkmcnt(0)
	v_lshl_add_u64 v[6:7], v[40:41], 1, s[22:23]
	global_store_short v[6:7], v8, off
.LBB123_54:                             ;   in Loop: Header=BB123_13 Depth=1
	s_or_b64 exec, exec, s[30:31]
	v_add_u32_e32 v38, s38, v38
	v_add_u32_e32 v6, 4, v38
	v_cmp_gt_u32_e32 vcc, s15, v38
	v_cmp_le_u32_e64 s[4:5], s15, v6
	s_and_b64 s[4:5], vcc, s[4:5]
	s_and_saveexec_b64 s[6:7], s[4:5]
	s_cbranch_execz .LBB123_12
; %bb.55:                               ;   in Loop: Header=BB123_13 Depth=1
	v_cmp_ne_u32_e32 vcc, s11, v38
	s_and_saveexec_b64 s[8:9], vcc
	s_cbranch_execz .LBB123_11
; %bb.56:                               ;   in Loop: Header=BB123_13 Depth=1
	v_subrev_u32_e32 v6, s11, v38
	v_cmp_lt_u32_e32 vcc, 1, v6
	s_mov_b64 s[30:31], 0
	s_mov_b64 s[34:35], 0
	v_cndmask_b32_e32 v6, 1, v6, vcc
.LBB123_57:                             ;   Parent Loop BB123_13 Depth=1
                                        ; =>  This Inner Loop Header: Depth=2
	s_cmp_lg_u32 s34, 3
	s_cselect_b64 vcc, -1, 0
	s_cmp_lg_u32 s34, 2
	v_cndmask_b32_e32 v5, 0, v5, vcc
	s_cselect_b64 vcc, -1, 0
	s_cmp_lg_u32 s34, 1
	v_cndmask_b32_e32 v4, 0, v4, vcc
	;; [unrolled: 3-line block ×3, first 2 shown]
	s_cselect_b64 vcc, -1, 0
	s_add_u32 s34, s34, 1
	s_addc_u32 s35, s35, 0
	v_cmp_eq_u32_e64 s[4:5], s34, v6
	s_or_b64 s[30:31], s[4:5], s[30:31]
	v_cndmask_b32_e32 v2, 0, v2, vcc
	s_andn2_b64 exec, exec, s[30:31]
	s_cbranch_execnz .LBB123_57
; %bb.58:                               ;   in Loop: Header=BB123_13 Depth=1
	s_or_b64 exec, exec, s[30:31]
	s_branch .LBB123_11
.LBB123_59:                             ;   in Loop: Header=BB123_13 Depth=1
	v_cvt_f32_i32_e32 v11, v11
	s_waitcnt vmcnt(15)
	v_cvt_f32_f16_e32 v39, v39
	v_add_f32_e32 v8, v8, v11
	v_add_f32_e32 v8, v8, v39
	v_cvt_f16_f32_e32 v8, v8
	v_mov_b32_e32 v39, v41
	s_waitcnt lgkmcnt(0)
	v_lshl_add_u64 v[64:65], v[38:39], 1, s[22:23]
	global_store_short v[64:65], v8, off
	s_or_b64 exec, exec, s[4:5]
	v_cmp_ne_u32_e64 s[4:5], 0, v3
	s_and_saveexec_b64 s[6:7], s[4:5]
	s_cbranch_execz .LBB123_39
.LBB123_60:                             ;   in Loop: Header=BB123_13 Depth=1
	v_cvt_f32_i32_e32 v8, v10
	s_waitcnt vmcnt(14)
	v_cvt_f32_f16_e32 v10, v49
	v_mov_b32_e32 v49, v41
	v_add_f32_e32 v6, v6, v8
	v_add_f32_e32 v6, v6, v10
	v_cvt_f16_f32_e32 v6, v6
	s_waitcnt lgkmcnt(0)
	v_lshl_add_u64 v[10:11], v[48:49], 1, s[22:23]
	global_store_short v[10:11], v6, off
	s_or_b64 exec, exec, s[6:7]
	v_cmp_ne_u32_e64 s[6:7], 0, v4
	s_and_saveexec_b64 s[8:9], s[6:7]
	s_cbranch_execz .LBB123_40
.LBB123_61:                             ;   in Loop: Header=BB123_13 Depth=1
	v_cvt_f32_i32_e32 v6, v13
	s_waitcnt vmcnt(13)
	v_cvt_f32_f16_e32 v8, v47
	v_mov_b32_e32 v47, v41
	v_add_f32_e32 v6, v7, v6
	v_add_f32_e32 v6, v6, v8
	v_cvt_f16_f32_e32 v8, v6
	s_waitcnt lgkmcnt(0)
	v_lshl_add_u64 v[6:7], v[46:47], 1, s[22:23]
	global_store_short v[6:7], v8, off
	s_or_b64 exec, exec, s[8:9]
	v_cmp_ne_u32_e64 s[8:9], 0, v5
	s_and_saveexec_b64 s[34:35], s[8:9]
	s_cbranch_execz .LBB123_41
.LBB123_62:                             ;   in Loop: Header=BB123_13 Depth=1
	v_cvt_f32_i32_e32 v6, v15
	s_waitcnt vmcnt(12)
	v_cvt_f32_f16_e32 v7, v45
	v_mov_b32_e32 v45, v41
	v_add_f32_e32 v6, v9, v6
	v_add_f32_e32 v6, v6, v7
	v_cvt_f16_f32_e32 v8, v6
	s_waitcnt lgkmcnt(0)
	v_lshl_add_u64 v[6:7], v[44:45], 1, s[22:23]
	global_store_short v[6:7], v8, off
	s_or_b64 exec, exec, s[34:35]
	v_add_u32_e32 v40, s15, v38
	s_and_saveexec_b64 s[34:35], vcc
	s_cbranch_execz .LBB123_42
.LBB123_63:                             ;   in Loop: Header=BB123_13 Depth=1
	v_cvt_f32_i32_e32 v6, v18
	s_waitcnt vmcnt(11)
	v_cvt_f32_f16_e32 v7, v63
	v_add_f32_e32 v6, v12, v6
	v_add_f32_e32 v6, v6, v7
	v_cvt_f16_f32_e32 v8, v6
	s_waitcnt lgkmcnt(0)
	v_lshl_add_u64 v[6:7], v[40:41], 1, s[22:23]
	global_store_short v[6:7], v8, off
	s_or_b64 exec, exec, s[34:35]
	s_and_saveexec_b64 s[34:35], s[4:5]
	s_cbranch_execz .LBB123_43
.LBB123_64:                             ;   in Loop: Header=BB123_13 Depth=1
	v_cvt_f32_i32_e32 v6, v19
	s_waitcnt vmcnt(10)
	v_cvt_f32_f16_e32 v7, v62
	v_add_f32_e32 v6, v14, v6
	v_add_f32_e32 v6, v6, v7
	v_cvt_f16_f32_e32 v8, v6
	v_add_u32_e32 v6, 1, v40
	v_mov_b32_e32 v7, v41
	s_waitcnt lgkmcnt(0)
	v_lshl_add_u64 v[6:7], v[6:7], 1, s[22:23]
	global_store_short v[6:7], v8, off
	s_or_b64 exec, exec, s[34:35]
	s_and_saveexec_b64 s[34:35], s[6:7]
	s_cbranch_execz .LBB123_44
.LBB123_65:                             ;   in Loop: Header=BB123_13 Depth=1
	v_cvt_f32_i32_e32 v6, v20
	s_waitcnt vmcnt(9)
	v_cvt_f32_f16_e32 v7, v58
	v_add_f32_e32 v6, v16, v6
	v_add_f32_e32 v6, v6, v7
	v_cvt_f16_f32_e32 v8, v6
	v_add_u32_e32 v6, 2, v40
	v_mov_b32_e32 v7, v41
	s_waitcnt lgkmcnt(0)
	v_lshl_add_u64 v[6:7], v[6:7], 1, s[22:23]
	global_store_short v[6:7], v8, off
	s_or_b64 exec, exec, s[34:35]
	s_and_saveexec_b64 s[34:35], s[8:9]
	s_cbranch_execz .LBB123_45
.LBB123_66:                             ;   in Loop: Header=BB123_13 Depth=1
	v_cvt_f32_i32_e32 v6, v22
	s_waitcnt vmcnt(8)
	v_cvt_f32_f16_e32 v7, v56
	v_add_f32_e32 v6, v17, v6
	v_add_f32_e32 v6, v6, v7
	v_cvt_f16_f32_e32 v8, v6
	v_add_u32_e32 v6, 3, v40
	v_mov_b32_e32 v7, v41
	s_waitcnt lgkmcnt(0)
	v_lshl_add_u64 v[6:7], v[6:7], 1, s[22:23]
	global_store_short v[6:7], v8, off
	s_or_b64 exec, exec, s[34:35]
	v_add_u32_e32 v40, s15, v40
	s_and_saveexec_b64 s[34:35], vcc
	s_cbranch_execz .LBB123_46
.LBB123_67:                             ;   in Loop: Header=BB123_13 Depth=1
	v_cvt_f32_i32_e32 v6, v28
	s_waitcnt vmcnt(7)
	v_cvt_f32_f16_e32 v7, v59
	v_add_f32_e32 v6, v21, v6
	v_add_f32_e32 v6, v6, v7
	v_cvt_f16_f32_e32 v8, v6
	s_waitcnt lgkmcnt(0)
	v_lshl_add_u64 v[6:7], v[40:41], 1, s[22:23]
	global_store_short v[6:7], v8, off
	s_or_b64 exec, exec, s[34:35]
	s_and_saveexec_b64 s[34:35], s[4:5]
	s_cbranch_execz .LBB123_47
.LBB123_68:                             ;   in Loop: Header=BB123_13 Depth=1
	v_cvt_f32_i32_e32 v6, v30
	s_waitcnt vmcnt(6)
	v_cvt_f32_f16_e32 v7, v57
	v_add_f32_e32 v6, v23, v6
	v_add_f32_e32 v6, v6, v7
	v_cvt_f16_f32_e32 v8, v6
	v_add_u32_e32 v6, 1, v40
	v_mov_b32_e32 v7, v41
	s_waitcnt lgkmcnt(0)
	v_lshl_add_u64 v[6:7], v[6:7], 1, s[22:23]
	global_store_short v[6:7], v8, off
	s_or_b64 exec, exec, s[34:35]
	s_and_saveexec_b64 s[34:35], s[6:7]
	s_cbranch_execz .LBB123_48
.LBB123_69:                             ;   in Loop: Header=BB123_13 Depth=1
	v_cvt_f32_i32_e32 v6, v32
	s_waitcnt vmcnt(5)
	v_cvt_f32_f16_e32 v7, v55
	v_add_f32_e32 v6, v24, v6
	v_add_f32_e32 v6, v6, v7
	v_cvt_f16_f32_e32 v8, v6
	v_add_u32_e32 v6, 2, v40
	v_mov_b32_e32 v7, v41
	s_waitcnt lgkmcnt(0)
	v_lshl_add_u64 v[6:7], v[6:7], 1, s[22:23]
	global_store_short v[6:7], v8, off
	s_or_b64 exec, exec, s[34:35]
	s_and_saveexec_b64 s[34:35], s[8:9]
	s_cbranch_execz .LBB123_49
.LBB123_70:                             ;   in Loop: Header=BB123_13 Depth=1
	v_cvt_f32_i32_e32 v6, v27
	s_waitcnt vmcnt(4)
	v_cvt_f32_f16_e32 v7, v54
	v_add_f32_e32 v6, v25, v6
	v_add_f32_e32 v6, v6, v7
	v_cvt_f16_f32_e32 v8, v6
	v_add_u32_e32 v6, 3, v40
	v_mov_b32_e32 v7, v41
	s_waitcnt lgkmcnt(0)
	v_lshl_add_u64 v[6:7], v[6:7], 1, s[22:23]
	global_store_short v[6:7], v8, off
	s_or_b64 exec, exec, s[34:35]
	v_add_u32_e32 v40, s15, v40
	s_and_saveexec_b64 s[34:35], vcc
	s_cbranch_execz .LBB123_50
.LBB123_71:                             ;   in Loop: Header=BB123_13 Depth=1
	v_cvt_f32_i32_e32 v6, v37
	s_waitcnt vmcnt(3)
	v_cvt_f32_f16_e32 v7, v53
	v_add_f32_e32 v6, v35, v6
	v_add_f32_e32 v6, v6, v7
	v_cvt_f16_f32_e32 v8, v6
	s_waitcnt lgkmcnt(0)
	v_lshl_add_u64 v[6:7], v[40:41], 1, s[22:23]
	global_store_short v[6:7], v8, off
	s_or_b64 exec, exec, s[34:35]
	s_and_saveexec_b64 s[34:35], s[4:5]
	s_cbranch_execz .LBB123_51
.LBB123_72:                             ;   in Loop: Header=BB123_13 Depth=1
	v_cvt_f32_i32_e32 v6, v36
	s_waitcnt vmcnt(2)
	v_cvt_f32_f16_e32 v7, v52
	v_add_f32_e32 v6, v34, v6
	v_add_f32_e32 v6, v6, v7
	v_cvt_f16_f32_e32 v8, v6
	v_add_u32_e32 v6, 1, v40
	v_mov_b32_e32 v7, v41
	s_waitcnt lgkmcnt(0)
	v_lshl_add_u64 v[6:7], v[6:7], 1, s[22:23]
	global_store_short v[6:7], v8, off
	s_or_b64 exec, exec, s[34:35]
	s_and_saveexec_b64 s[4:5], s[6:7]
	s_cbranch_execz .LBB123_52
.LBB123_73:                             ;   in Loop: Header=BB123_13 Depth=1
	v_cvt_f32_i32_e32 v6, v33
	s_waitcnt vmcnt(1)
	v_cvt_f32_f16_e32 v7, v51
	v_add_f32_e32 v6, v31, v6
	v_add_f32_e32 v6, v6, v7
	v_cvt_f16_f32_e32 v8, v6
	v_add_u32_e32 v6, 2, v40
	v_mov_b32_e32 v7, v41
	s_waitcnt lgkmcnt(0)
	v_lshl_add_u64 v[6:7], v[6:7], 1, s[22:23]
	global_store_short v[6:7], v8, off
	s_or_b64 exec, exec, s[4:5]
	s_and_b64 exec, exec, s[8:9]
	s_cbranch_execnz .LBB123_53
	s_branch .LBB123_54
.LBB123_74:
	s_endpgm
	.section	.rodata,"a",@progbits
	.p2align	6, 0x0
	.amdhsa_kernel _Z12wvSplitK_hf_I6__halfLi64ELi4ELi16ELi8ELi1ELi4EEviiiiiiPKT_S3_S3_PS1_ii
		.amdhsa_group_segment_fixed_size 65536
		.amdhsa_private_segment_fixed_size 0
		.amdhsa_kernarg_size 64
		.amdhsa_user_sgpr_count 2
		.amdhsa_user_sgpr_dispatch_ptr 0
		.amdhsa_user_sgpr_queue_ptr 0
		.amdhsa_user_sgpr_kernarg_segment_ptr 1
		.amdhsa_user_sgpr_dispatch_id 0
		.amdhsa_user_sgpr_kernarg_preload_length 0
		.amdhsa_user_sgpr_kernarg_preload_offset 0
		.amdhsa_user_sgpr_private_segment_size 0
		.amdhsa_uses_dynamic_stack 0
		.amdhsa_enable_private_segment 0
		.amdhsa_system_sgpr_workgroup_id_x 1
		.amdhsa_system_sgpr_workgroup_id_y 0
		.amdhsa_system_sgpr_workgroup_id_z 0
		.amdhsa_system_sgpr_workgroup_info 0
		.amdhsa_system_vgpr_workitem_id 1
		.amdhsa_next_free_vgpr 76
		.amdhsa_next_free_sgpr 44
		.amdhsa_accum_offset 76
		.amdhsa_reserve_vcc 1
		.amdhsa_float_round_mode_32 0
		.amdhsa_float_round_mode_16_64 0
		.amdhsa_float_denorm_mode_32 3
		.amdhsa_float_denorm_mode_16_64 3
		.amdhsa_dx10_clamp 1
		.amdhsa_ieee_mode 1
		.amdhsa_fp16_overflow 0
		.amdhsa_tg_split 0
		.amdhsa_exception_fp_ieee_invalid_op 0
		.amdhsa_exception_fp_denorm_src 0
		.amdhsa_exception_fp_ieee_div_zero 0
		.amdhsa_exception_fp_ieee_overflow 0
		.amdhsa_exception_fp_ieee_underflow 0
		.amdhsa_exception_fp_ieee_inexact 0
		.amdhsa_exception_int_div_zero 0
	.end_amdhsa_kernel
	.section	.text._Z12wvSplitK_hf_I6__halfLi64ELi4ELi16ELi8ELi1ELi4EEviiiiiiPKT_S3_S3_PS1_ii,"axG",@progbits,_Z12wvSplitK_hf_I6__halfLi64ELi4ELi16ELi8ELi1ELi4EEviiiiiiPKT_S3_S3_PS1_ii,comdat
.Lfunc_end123:
	.size	_Z12wvSplitK_hf_I6__halfLi64ELi4ELi16ELi8ELi1ELi4EEviiiiiiPKT_S3_S3_PS1_ii, .Lfunc_end123-_Z12wvSplitK_hf_I6__halfLi64ELi4ELi16ELi8ELi1ELi4EEviiiiiiPKT_S3_S3_PS1_ii
                                        ; -- End function
	.section	.AMDGPU.csdata,"",@progbits
; Kernel info:
; codeLenInByte = 5496
; NumSgprs: 50
; NumVgprs: 76
; NumAgprs: 0
; TotalNumVgprs: 76
; ScratchSize: 0
; MemoryBound: 1
; FloatMode: 240
; IeeeMode: 1
; LDSByteSize: 65536 bytes/workgroup (compile time only)
; SGPRBlocks: 6
; VGPRBlocks: 9
; NumSGPRsForWavesPerEU: 50
; NumVGPRsForWavesPerEU: 76
; AccumOffset: 76
; Occupancy: 4
; WaveLimiterHint : 0
; COMPUTE_PGM_RSRC2:SCRATCH_EN: 0
; COMPUTE_PGM_RSRC2:USER_SGPR: 2
; COMPUTE_PGM_RSRC2:TRAP_HANDLER: 0
; COMPUTE_PGM_RSRC2:TGID_X_EN: 1
; COMPUTE_PGM_RSRC2:TGID_Y_EN: 0
; COMPUTE_PGM_RSRC2:TGID_Z_EN: 0
; COMPUTE_PGM_RSRC2:TIDIG_COMP_CNT: 1
; COMPUTE_PGM_RSRC3_GFX90A:ACCUM_OFFSET: 18
; COMPUTE_PGM_RSRC3_GFX90A:TG_SPLIT: 0
	.section	.text._Z16wvSplitK_hf_big_I6__halfLi64ELi4ELi16ELi8ELi1ELi4EEviiiiiiPKT_S3_S3_PS1_ii,"axG",@progbits,_Z16wvSplitK_hf_big_I6__halfLi64ELi4ELi16ELi8ELi1ELi4EEviiiiiiPKT_S3_S3_PS1_ii,comdat
	.protected	_Z16wvSplitK_hf_big_I6__halfLi64ELi4ELi16ELi8ELi1ELi4EEviiiiiiPKT_S3_S3_PS1_ii ; -- Begin function _Z16wvSplitK_hf_big_I6__halfLi64ELi4ELi16ELi8ELi1ELi4EEviiiiiiPKT_S3_S3_PS1_ii
	.globl	_Z16wvSplitK_hf_big_I6__halfLi64ELi4ELi16ELi8ELi1ELi4EEviiiiiiPKT_S3_S3_PS1_ii
	.p2align	8
	.type	_Z16wvSplitK_hf_big_I6__halfLi64ELi4ELi16ELi8ELi1ELi4EEviiiiiiPKT_S3_S3_PS1_ii,@function
_Z16wvSplitK_hf_big_I6__halfLi64ELi4ELi16ELi8ELi1ELi4EEviiiiiiPKT_S3_S3_PS1_ii: ; @_Z16wvSplitK_hf_big_I6__halfLi64ELi4ELi16ELi8ELi1ELi4EEviiiiiiPKT_S3_S3_PS1_ii
; %bb.0:
	s_load_dwordx2 s[8:9], s[0:1], 0x38
	v_bfe_u32 v7, v0, 10, 10
	s_waitcnt lgkmcnt(0)
	v_cmp_gt_u32_e32 vcc, s8, v7
	s_and_saveexec_b64 s[4:5], vcc
	s_cbranch_execz .LBB124_70
; %bb.1:
	s_load_dwordx4 s[20:23], s[0:1], 0x0
	s_mul_i32 s2, s2, s8
	v_add_lshl_u32 v38, s2, v7, 2
	s_mov_b32 s4, 1
	v_add_u32_e32 v1, 4, v38
	s_mov_b32 s5, s4
	s_waitcnt lgkmcnt(0)
	v_cmp_gt_u32_e32 vcc, s23, v38
	v_cmp_le_u32_e64 s[2:3], s23, v1
	s_mov_b32 s6, s4
	s_mov_b32 s7, s4
	v_mov_b64_e32 v[2:3], s[4:5]
	s_and_b64 s[10:11], vcc, s[2:3]
	v_mov_b64_e32 v[4:5], s[6:7]
	s_and_saveexec_b64 s[2:3], s[10:11]
	s_cbranch_execz .LBB124_7
; %bb.2:
	s_add_i32 s16, s23, -4
	v_mov_b64_e32 v[2:3], s[4:5]
	v_cmp_ne_u32_e32 vcc, s16, v38
	v_mov_b64_e32 v[4:5], s[6:7]
	s_and_saveexec_b64 s[10:11], vcc
	s_cbranch_execz .LBB124_6
; %bb.3:
	v_subrev_u32_e32 v1, s16, v38
	v_cmp_lt_u32_e32 vcc, 1, v1
	s_mov_b64 s[12:13], 0
	s_mov_b64 s[14:15], 0
	v_cndmask_b32_e32 v6, 1, v1, vcc
	s_mov_b32 s5, s4
	s_mov_b32 s6, s4
	;; [unrolled: 1-line block ×3, first 2 shown]
.LBB124_4:                              ; =>This Inner Loop Header: Depth=1
	s_cmp_lg_u32 s14, 3
	s_cselect_b32 s7, s7, 0
	s_cmp_lg_u32 s14, 2
	s_cselect_b32 s6, s6, 0
	;; [unrolled: 2-line block ×4, first 2 shown]
	s_add_u32 s14, s14, 1
	s_addc_u32 s15, s15, 0
	v_cmp_eq_u32_e32 vcc, s14, v6
	v_mov_b64_e32 v[2:3], s[4:5]
	s_or_b64 s[12:13], vcc, s[12:13]
	v_mov_b64_e32 v[4:5], s[6:7]
	s_andn2_b64 exec, exec, s[12:13]
	s_cbranch_execnz .LBB124_4
; %bb.5:
	s_or_b64 exec, exec, s[12:13]
	v_mov_b32_e32 v38, s16
.LBB124_6:
	s_or_b64 exec, exec, s[10:11]
.LBB124_7:
	s_or_b64 exec, exec, s[2:3]
	s_lshl_b32 s2, s8, 2
	s_abs_i32 s3, s2
	v_cvt_f32_u32_e32 v1, s3
	s_sub_i32 s6, 0, s3
	s_abs_i32 s5, s23
	s_ashr_i32 s4, s23, 31
	v_rcp_iflag_f32_e32 v1, v1
	s_nop 0
	v_mul_f32_e32 v1, 0x4f7ffffe, v1
	v_cvt_u32_f32_e32 v1, v1
	s_nop 0
	v_readfirstlane_b32 s7, v1
	s_mul_i32 s6, s6, s7
	s_mul_hi_u32 s6, s7, s6
	s_add_i32 s7, s7, s6
	s_mul_hi_u32 s6, s5, s7
	s_mul_i32 s6, s6, s3
	s_sub_i32 s5, s5, s6
	s_sub_i32 s6, s5, s3
	s_cmp_ge_u32 s5, s3
	s_cselect_b32 s5, s6, s5
	s_sub_i32 s6, s5, s3
	s_cmp_ge_u32 s5, s3
	s_cselect_b32 s3, s6, s5
	s_xor_b32 s3, s3, s4
	s_sub_i32 s3, s3, s4
	s_add_i32 s2, s2, s23
	s_sub_i32 s2, s2, s3
	s_cmp_eq_u32 s3, 0
	s_cselect_b32 s33, s23, s2
	v_cmp_gt_u32_e32 vcc, s33, v38
	s_and_b64 exec, exec, vcc
	s_cbranch_execz .LBB124_70
; %bb.8:
	s_load_dwordx8 s[12:19], s[0:1], 0x10
	s_min_u32 s40, s22, 0x2000
	s_cmp_lg_u32 s20, 0
	s_load_dwordx2 s[24:25], s[0:1], 0x30
	s_cselect_b64 s[2:3], -1, 0
	s_cmp_lg_u32 s22, 0
	s_mul_i32 s0, s9, s8
	s_cselect_b64 s[4:5], -1, 0
	s_lshl_b32 s41, s8, 9
	s_add_i32 s42, s20, -8
	s_add_i32 s43, s23, -1
	s_lshl_b32 s44, s0, 2
	s_waitcnt lgkmcnt(0)
	s_cmp_lg_u64 s[18:19], 0
	s_cselect_b64 s[28:29], -1, 0
	s_abs_i32 s6, s13
	v_cvt_f32_u32_e32 v1, s12
	v_cvt_f32_u32_e32 v6, s6
	s_sub_i32 s7, 0, s12
	s_add_i32 s13, s23, -4
	v_rcp_iflag_f32_e32 v1, v1
	v_rcp_iflag_f32_e32 v6, v6
	v_and_b32_e32 v0, 0x3ff, v0
	v_lshlrev_b32_e32 v41, 3, v0
	v_mul_f32_e32 v1, 0x4f7ffffe, v1
	v_mul_f32_e32 v6, 0x4f7ffffe, v6
	v_cvt_u32_f32_e32 v1, v1
	v_cvt_u32_f32_e32 v6, v6
	v_cmp_eq_u32_e64 s[0:1], 63, v0
	v_lshlrev_b32_e32 v0, 4, v0
	v_mul_lo_u32 v8, s7, v1
	s_sub_i32 s7, 0, s6
	v_readfirstlane_b32 s9, v6
	s_mul_i32 s7, s7, s9
	s_mul_hi_u32 s7, s9, s7
	s_add_i32 s9, s9, s7
	s_sub_i32 s7, 1, s6
	s_cmp_lt_u32 s6, 2
	s_cselect_b32 s7, s7, 1
	s_sub_i32 s10, s7, s6
	s_cmp_ge_u32 s7, s6
	s_cselect_b32 s45, s10, s7
	s_lshr_b32 s7, s9, 31
	s_mul_i32 s7, s7, s6
	s_sub_i32 s7, 2, s7
	s_sub_i32 s10, s7, s6
	s_cmp_ge_u32 s7, s6
	s_cselect_b32 s7, s10, s7
	s_sub_i32 s10, s7, s6
	s_cmp_ge_u32 s7, s6
	s_cselect_b32 s46, s10, s7
	s_mul_hi_u32 s7, s9, 3
	s_mul_i32 s7, s7, s6
	s_sub_i32 s7, 3, s7
	s_sub_i32 s9, s7, s6
	s_cmp_ge_u32 s7, s6
	s_cselect_b32 s7, s9, s7
	s_sub_i32 s9, s7, s6
	s_cmp_ge_u32 s7, s6
	v_lshl_add_u32 v53, v7, 10, v0
	v_lshl_add_u32 v40, v7, 9, v41
	v_cndmask_b32_e64 v0, 0, 1, s[2:3]
	v_mul_hi_u32 v8, v1, v8
	s_cselect_b32 s47, s9, s7
	s_add_u32 s30, s24, 2
	v_mad_u64_u32 v[42:43], s[6:7], s22, 3, v[40:41]
	v_cmp_ne_u32_e64 s[2:3], 1, v0
	v_cndmask_b32_e64 v0, 0, 1, s[4:5]
	s_mov_b64 s[26:27], 0
	v_add_u32_e32 v52, v1, v8
	v_mov_b32_e32 v1, 0
	s_mul_i32 s45, s45, s12
	s_mul_i32 s46, s46, s12
	;; [unrolled: 1-line block ×3, first 2 shown]
	s_addc_u32 s31, s25, 0
	s_mul_i32 s48, s40, 6
	s_lshl_b32 s49, s8, 10
	s_lshl_b32 s50, s40, 2
	;; [unrolled: 1-line block ×3, first 2 shown]
	v_lshl_add_u32 v54, s22, 1, v40
	v_add_u32_e32 v43, s22, v40
	v_cmp_ne_u32_e64 s[4:5], 1, v0
	s_branch .LBB124_12
.LBB124_9:                              ;   in Loop: Header=BB124_12 Depth=1
	s_or_b64 exec, exec, s[10:11]
	v_mov_b32_e32 v38, s13
.LBB124_10:                             ;   in Loop: Header=BB124_12 Depth=1
	s_or_b64 exec, exec, s[8:9]
.LBB124_11:                             ;   in Loop: Header=BB124_12 Depth=1
	s_or_b64 exec, exec, s[34:35]
	v_cmp_le_u32_e32 vcc, s33, v38
	s_or_b64 s[26:27], vcc, s[26:27]
	s_andn2_b64 exec, exec, s[26:27]
	s_cbranch_execz .LBB124_70
.LBB124_12:                             ; =>This Loop Header: Depth=1
                                        ;     Child Loop BB124_16 Depth 2
                                        ;       Child Loop BB124_21 Depth 3
                                        ;     Child Loop BB124_53 Depth 2
	s_mov_b32 s36, 0
	s_and_b64 vcc, exec, s[2:3]
	v_mov_b32_e32 v69, v1
	v_mov_b32_e32 v68, v1
	v_mov_b32_e32 v67, v1
	v_mov_b32_e32 v66, v1
	s_waitcnt vmcnt(15)
	v_mov_b32_e32 v39, v1
	s_waitcnt vmcnt(8)
	v_mov_b32_e32 v55, v1
	;; [unrolled: 2-line block ×3, first 2 shown]
	v_mov_b32_e32 v57, v1
	v_mov_b32_e32 v58, v1
	;; [unrolled: 1-line block ×9, first 2 shown]
	s_cbranch_vccnz .LBB124_27
; %bb.13:                               ;   in Loop: Header=BB124_12 Depth=1
	v_min_u32_e32 v0, s43, v38
	v_mul_lo_u32 v44, v0, s21
	v_add_u32_e32 v0, 1, v38
	v_min_u32_e32 v0, s43, v0
	s_waitcnt vmcnt(0)
	v_mul_lo_u32 v46, v0, s21
	v_add_u32_e32 v0, 2, v38
	v_min_u32_e32 v0, s43, v0
	v_mul_lo_u32 v48, v0, s21
	v_add_u32_e32 v0, 3, v38
	v_min_u32_e32 v0, s43, v0
	v_cmp_gt_u32_e64 s[6:7], s23, v38
	v_mov_b32_e32 v45, v1
	v_mov_b32_e32 v47, v1
	;; [unrolled: 1-line block ×3, first 2 shown]
	v_mul_lo_u32 v50, v0, s21
	v_mov_b32_e32 v51, v1
	v_mov_b32_e32 v65, 0
	;; [unrolled: 1-line block ×17, first 2 shown]
	s_mov_b32 s37, 0
	s_branch .LBB124_16
.LBB124_14:                             ;   in Loop: Header=BB124_16 Depth=2
	s_or_b64 exec, exec, s[10:11]
	s_waitcnt vmcnt(3) lgkmcnt(3)
	;;#ASMSTART
	v_dot2c_f32_f16 v69, v34, v18
	;;#ASMEND
	s_waitcnt vmcnt(2)
	;;#ASMSTART
	v_dot2c_f32_f16 v68, v34, v14
	;;#ASMEND
	s_waitcnt vmcnt(1)
	;; [unrolled: 4-line block ×3, first 2 shown]
	;;#ASMSTART
	v_dot2c_f32_f16 v66, v34, v6
	;;#ASMEND
	s_waitcnt lgkmcnt(2)
	;;#ASMSTART
	v_dot2c_f32_f16 v65, v30, v18
	;;#ASMEND
	;;#ASMSTART
	v_dot2c_f32_f16 v64, v30, v14
	;;#ASMEND
	;;#ASMSTART
	v_dot2c_f32_f16 v63, v30, v10
	;;#ASMEND
	;;#ASMSTART
	v_dot2c_f32_f16 v62, v30, v6
	;;#ASMEND
	s_waitcnt lgkmcnt(1)
	;;#ASMSTART
	v_dot2c_f32_f16 v61, v26, v18
	;;#ASMEND
	;;#ASMSTART
	v_dot2c_f32_f16 v60, v26, v14
	;;#ASMEND
	;;#ASMSTART
	v_dot2c_f32_f16 v59, v26, v10
	;;#ASMEND
	;; [unrolled: 13-line block ×3, first 2 shown]
	;;#ASMSTART
	v_dot2c_f32_f16 v39, v22, v6
	;;#ASMEND
	;;#ASMSTART
	v_dot2c_f32_f16 v69, v35, v19
	;;#ASMEND
	;;#ASMSTART
	v_dot2c_f32_f16 v68, v35, v15
	;;#ASMEND
	;;#ASMSTART
	v_dot2c_f32_f16 v67, v35, v11
	;;#ASMEND
	;;#ASMSTART
	v_dot2c_f32_f16 v66, v35, v7
	;;#ASMEND
	;;#ASMSTART
	v_dot2c_f32_f16 v65, v31, v19
	;;#ASMEND
	;;#ASMSTART
	v_dot2c_f32_f16 v64, v31, v15
	;;#ASMEND
	;;#ASMSTART
	v_dot2c_f32_f16 v63, v31, v11
	;;#ASMEND
	;;#ASMSTART
	v_dot2c_f32_f16 v62, v31, v7
	;;#ASMEND
	;;#ASMSTART
	v_dot2c_f32_f16 v61, v27, v19
	;;#ASMEND
	;;#ASMSTART
	v_dot2c_f32_f16 v60, v27, v15
	;;#ASMEND
	;;#ASMSTART
	v_dot2c_f32_f16 v59, v27, v11
	;;#ASMEND
	;;#ASMSTART
	v_dot2c_f32_f16 v58, v27, v7
	;;#ASMEND
	s_nop 0
	;;#ASMSTART
	v_dot2c_f32_f16 v57, v23, v19
	;;#ASMEND
	;;#ASMSTART
	v_dot2c_f32_f16 v56, v23, v15
	;;#ASMEND
	;;#ASMSTART
	v_dot2c_f32_f16 v55, v23, v11
	;;#ASMEND
	;;#ASMSTART
	v_dot2c_f32_f16 v39, v23, v7
	;;#ASMEND
	;;#ASMSTART
	v_dot2c_f32_f16 v69, v36, v20
	;;#ASMEND
	;;#ASMSTART
	v_dot2c_f32_f16 v68, v36, v16
	;;#ASMEND
	;;#ASMSTART
	v_dot2c_f32_f16 v67, v36, v12
	;;#ASMEND
	;;#ASMSTART
	v_dot2c_f32_f16 v66, v36, v8
	;;#ASMEND
	;;#ASMSTART
	v_dot2c_f32_f16 v65, v32, v20
	;;#ASMEND
	;;#ASMSTART
	v_dot2c_f32_f16 v64, v32, v16
	;;#ASMEND
	;;#ASMSTART
	v_dot2c_f32_f16 v63, v32, v12
	;;#ASMEND
	;;#ASMSTART
	v_dot2c_f32_f16 v62, v32, v8
	;;#ASMEND
	;;#ASMSTART
	v_dot2c_f32_f16 v61, v28, v20
	;;#ASMEND
	;;#ASMSTART
	v_dot2c_f32_f16 v60, v28, v16
	;;#ASMEND
	;;#ASMSTART
	v_dot2c_f32_f16 v59, v28, v12
	;;#ASMEND
	;;#ASMSTART
	v_dot2c_f32_f16 v58, v28, v8
	;;#ASMEND
	s_nop 0
	;;#ASMSTART
	v_dot2c_f32_f16 v57, v24, v20
	;;#ASMEND
	;;#ASMSTART
	v_dot2c_f32_f16 v56, v24, v16
	;;#ASMEND
	;;#ASMSTART
	v_dot2c_f32_f16 v55, v24, v12
	;;#ASMEND
	;; [unrolled: 49-line block ×3, first 2 shown]
	;;#ASMSTART
	v_dot2c_f32_f16 v39, v25, v9
	;;#ASMEND
.LBB124_15:                             ;   in Loop: Header=BB124_16 Depth=2
	s_or_b64 exec, exec, s[8:9]
	s_addk_i32 s37, 0x200
	s_cmp_ge_u32 s37, s20
	s_cbranch_scc1 .LBB124_27
.LBB124_16:                             ;   Parent Loop BB124_12 Depth=1
                                        ; =>  This Loop Header: Depth=2
                                        ;       Child Loop BB124_21 Depth 3
	s_cmp_eq_u32 s37, 0
	s_cselect_b64 s[8:9], -1, 0
	s_add_i32 s10, s36, s40
	s_cmp_eq_u32 s37, s10
	s_cselect_b64 s[34:35], -1, 0
	s_or_b64 s[34:35], s[8:9], s[34:35]
	s_andn2_b64 vcc, exec, s[34:35]
	s_cbranch_vccz .LBB124_18
; %bb.17:                               ;   in Loop: Header=BB124_16 Depth=2
	s_and_saveexec_b64 s[8:9], s[6:7]
	s_cbranch_execz .LBB124_15
	s_branch .LBB124_25
.LBB124_18:                             ;   in Loop: Header=BB124_16 Depth=2
	s_and_b64 s[8:9], s[8:9], exec
	s_cselect_b32 s36, s36, s10
	s_and_b64 vcc, exec, s[4:5]
	s_barrier
	s_cbranch_vccnz .LBB124_24
; %bb.19:                               ;   in Loop: Header=BB124_16 Depth=2
	v_add_u32_e32 v6, s36, v54
	v_add_u32_e32 v7, s36, v42
	;; [unrolled: 1-line block ×4, first 2 shown]
	s_mov_b32 s38, 0
	s_mov_b64 s[10:11], 0
	v_mov_b32_e32 v10, v53
                                        ; implicit-def: $sgpr34_sgpr35
	s_branch .LBB124_21
.LBB124_20:                             ;   in Loop: Header=BB124_21 Depth=3
	s_or_b64 exec, exec, s[8:9]
	s_and_b64 s[8:9], exec, s[34:35]
	s_or_b64 s[10:11], s[8:9], s[10:11]
	s_andn2_b64 exec, exec, s[10:11]
	s_cbranch_execz .LBB124_23
.LBB124_21:                             ;   Parent Loop BB124_12 Depth=1
                                        ;     Parent Loop BB124_16 Depth=2
                                        ; =>    This Inner Loop Header: Depth=3
	v_add_u32_e32 v11, s38, v40
	v_add_u32_e32 v0, s38, v9
	v_cmp_gt_u32_e32 vcc, s22, v0
	v_cmp_gt_u32_e64 s[8:9], s40, v11
	s_and_b64 s[52:53], s[8:9], vcc
	s_or_b64 s[34:35], s[34:35], exec
	s_and_saveexec_b64 s[8:9], s[52:53]
	s_cbranch_execz .LBB124_20
; %bb.22:                               ;   in Loop: Header=BB124_21 Depth=3
	v_lshl_add_u64 v[12:13], v[0:1], 1, s[16:17]
	v_add_u32_e32 v0, s38, v8
	v_lshl_add_u64 v[16:17], v[0:1], 1, s[16:17]
	v_add_u32_e32 v0, s38, v6
	global_load_dwordx4 v[12:15], v[12:13], off
	s_nop 0
	global_load_dwordx4 v[16:19], v[16:17], off
	v_lshl_add_u64 v[20:21], v[0:1], 1, s[16:17]
	v_add_u32_e32 v0, s38, v7
	global_load_dwordx4 v[20:23], v[20:21], off
	v_lshl_add_u64 v[24:25], v[0:1], 1, s[16:17]
	global_load_dwordx4 v[24:27], v[24:25], off
	s_add_i32 s38, s38, s41
	s_cmp_ge_u32 s38, s40
	s_cselect_b64 s[52:53], -1, 0
	s_andn2_b64 s[34:35], s[34:35], exec
	s_and_b64 s[52:53], s[52:53], exec
	v_add_u32_e32 v0, s51, v10
	v_add_u32_e32 v11, s50, v10
	;; [unrolled: 1-line block ×3, first 2 shown]
	s_or_b64 s[34:35], s[34:35], s[52:53]
	s_waitcnt vmcnt(3)
	ds_write_b128 v10, v[12:15]
	v_add_u32_e32 v10, s49, v10
	s_waitcnt vmcnt(2)
	ds_write2_b64 v0, v[16:17], v[18:19] offset1:1
	s_waitcnt vmcnt(1)
	ds_write2_b32 v11, v20, v21 offset1:1
	ds_write2_b32 v11, v22, v23 offset0:2 offset1:3
	s_waitcnt vmcnt(0)
	ds_write2_b64 v28, v[24:25], v[26:27] offset1:1
	s_branch .LBB124_20
.LBB124_23:                             ;   in Loop: Header=BB124_16 Depth=2
	s_or_b64 exec, exec, s[10:11]
.LBB124_24:                             ;   in Loop: Header=BB124_16 Depth=2
	s_waitcnt lgkmcnt(0)
	s_barrier
	s_and_saveexec_b64 s[8:9], s[6:7]
	s_cbranch_execz .LBB124_15
.LBB124_25:                             ;   in Loop: Header=BB124_16 Depth=2
	v_add_u32_e32 v70, s37, v41
	v_min_u32_e32 v0, s42, v70
	v_lshl_add_u64 v[6:7], v[0:1], 1, s[14:15]
	v_lshl_add_u64 v[8:9], v[44:45], 1, v[6:7]
	;; [unrolled: 1-line block ×4, first 2 shown]
	global_load_dwordx4 v[18:21], v[8:9], off nt
	global_load_dwordx4 v[14:17], v[10:11], off nt
	v_lshl_add_u64 v[24:25], v[50:51], 1, v[6:7]
	global_load_dwordx4 v[10:13], v[22:23], off nt
	global_load_dwordx4 v[6:9], v[24:25], off nt
	v_cmp_gt_u32_e32 vcc, s20, v70
	v_mov_b32_e32 v34, 0
	v_mov_b32_e32 v35, 0
	;; [unrolled: 1-line block ×16, first 2 shown]
	s_and_saveexec_b64 s[10:11], vcc
	s_cbranch_execz .LBB124_14
; %bb.26:                               ;   in Loop: Header=BB124_16 Depth=2
	v_subrev_u32_e32 v0, s36, v70
	v_lshlrev_b32_e32 v0, 1, v0
	v_add_u32_e32 v22, s51, v0
	ds_read_b128 v[34:37], v0
	ds_read_b128 v[30:33], v22
	v_add_u32_e32 v0, s51, v22
	v_add_u32_e32 v22, s51, v0
	ds_read_b128 v[26:29], v0
	ds_read_b128 v[22:25], v22
	s_branch .LBB124_14
.LBB124_27:                             ;   in Loop: Header=BB124_12 Depth=1
	v_cmp_le_u32_e32 vcc, s23, v38
	s_and_saveexec_b64 s[6:7], vcc
	s_xor_b64 s[6:7], exec, s[6:7]
; %bb.28:                               ;   in Loop: Header=BB124_12 Depth=1
	v_add_u32_e32 v38, s44, v38
                                        ; implicit-def: $vgpr69
                                        ; implicit-def: $vgpr68
                                        ; implicit-def: $vgpr67
                                        ; implicit-def: $vgpr66
                                        ; implicit-def: $vgpr39
                                        ; implicit-def: $vgpr55
                                        ; implicit-def: $vgpr56
                                        ; implicit-def: $vgpr57
                                        ; implicit-def: $vgpr58
                                        ; implicit-def: $vgpr59
                                        ; implicit-def: $vgpr60
                                        ; implicit-def: $vgpr61
                                        ; implicit-def: $vgpr62
                                        ; implicit-def: $vgpr63
                                        ; implicit-def: $vgpr64
                                        ; implicit-def: $vgpr65
; %bb.29:                               ;   in Loop: Header=BB124_12 Depth=1
	s_andn2_saveexec_b64 s[34:35], s[6:7]
	s_cbranch_execz .LBB124_11
; %bb.30:                               ;   in Loop: Header=BB124_12 Depth=1
	v_cvt_i32_f32_e32 v0, v69
	v_cvt_i32_f32_e32 v6, v68
	;; [unrolled: 1-line block ×4, first 2 shown]
	v_cvt_f32_i32_dpp v0, v0 row_shr:8 row_mask:0xf bank_mask:0xf bound_ctrl:1
	v_cvt_f32_i32_dpp v6, v6 row_shr:8 row_mask:0xf bank_mask:0xf bound_ctrl:1
	;; [unrolled: 1-line block ×4, first 2 shown]
	v_add_f32_e32 v0, v69, v0
	v_cvt_i32_f32_e32 v9, v0
	v_add_f32_e32 v6, v68, v6
	v_cvt_i32_f32_e32 v10, v6
	v_add_f32_e32 v7, v67, v7
	v_cvt_f32_i32_dpp v9, v9 row_shr:4 row_mask:0xf bank_mask:0xf bound_ctrl:1
	v_cvt_i32_f32_e32 v11, v7
	v_cvt_f32_i32_dpp v10, v10 row_shr:4 row_mask:0xf bank_mask:0xf bound_ctrl:1
	v_add_f32_e32 v8, v66, v8
	v_add_f32_e32 v0, v0, v9
	v_cvt_i32_f32_e32 v9, v0
	v_add_f32_e32 v6, v6, v10
	v_cvt_i32_f32_e32 v10, v6
	v_cvt_f32_i32_dpp v11, v11 row_shr:4 row_mask:0xf bank_mask:0xf bound_ctrl:1
	v_cvt_f32_i32_dpp v9, v9 row_shr:2 row_mask:0xf bank_mask:0xf bound_ctrl:1
	v_cvt_i32_f32_e32 v12, v8
	v_cvt_f32_i32_dpp v10, v10 row_shr:2 row_mask:0xf bank_mask:0xf bound_ctrl:1
	v_add_f32_e32 v7, v7, v11
	v_add_f32_e32 v0, v0, v9
	v_cvt_i32_f32_e32 v9, v0
	v_add_f32_e32 v6, v6, v10
	v_cvt_i32_f32_e32 v10, v6
	v_cvt_i32_f32_e32 v11, v7
	v_cvt_f32_i32_dpp v9, v9 row_shr:1 row_mask:0xf bank_mask:0xf bound_ctrl:1
	v_cvt_f32_i32_dpp v12, v12 row_shr:4 row_mask:0xf bank_mask:0xf bound_ctrl:1
	;; [unrolled: 1-line block ×4, first 2 shown]
	v_add_f32_e32 v0, v0, v9
	v_cvt_i32_f32_e32 v9, v0
	v_add_f32_e32 v6, v6, v10
	v_cvt_i32_f32_e32 v10, v6
	v_add_f32_e32 v11, v7, v11
	v_cvt_f32_i32_dpp v9, v9 row_bcast:15 row_mask:0xf bank_mask:0xf bound_ctrl:1
	v_cvt_i32_f32_e32 v7, v11
	v_add_f32_e32 v8, v8, v12
	v_cvt_f32_i32_dpp v12, v10 row_bcast:15 row_mask:0xf bank_mask:0xf bound_ctrl:1
	v_add_f32_e32 v10, v0, v9
	v_cvt_i32_f32_e32 v0, v10
	v_cvt_f32_i32_dpp v9, v7 row_shr:1 row_mask:0xf bank_mask:0xf bound_ctrl:1
	v_add_f32_e32 v7, v6, v12
	v_cvt_i32_f32_e32 v6, v7
	v_mov_b32_dpp v13, v0 row_bcast:31 row_mask:0xf bank_mask:0xf bound_ctrl:1
	v_cvt_i32_f32_e32 v0, v8
	v_add_f32_e32 v9, v11, v9
	v_cvt_i32_f32_e32 v11, v65
	v_mov_b32_dpp v12, v6 row_bcast:31 row_mask:0xf bank_mask:0xf bound_ctrl:1
	v_cvt_f32_i32_dpp v0, v0 row_shr:2 row_mask:0xf bank_mask:0xf bound_ctrl:1
	v_cvt_i32_f32_e32 v14, v9
	v_cvt_f32_i32_dpp v6, v11 row_shr:8 row_mask:0xf bank_mask:0xf bound_ctrl:1
	v_add_f32_e32 v0, v8, v0
	v_cvt_f32_i32_dpp v11, v14 row_bcast:15 row_mask:0xf bank_mask:0xf bound_ctrl:1
	v_add_f32_e32 v6, v65, v6
	v_cvt_i32_f32_e32 v8, v0
	v_cvt_i32_f32_e32 v14, v6
	v_add_f32_e32 v9, v9, v11
	v_cvt_i32_f32_e32 v11, v64
	v_cvt_f32_i32_dpp v8, v8 row_shr:1 row_mask:0xf bank_mask:0xf bound_ctrl:1
	v_cvt_f32_i32_dpp v14, v14 row_shr:4 row_mask:0xf bank_mask:0xf bound_ctrl:1
	v_cvt_i32_f32_e32 v15, v9
	v_add_f32_e32 v0, v0, v8
	v_cvt_f32_i32_dpp v8, v11 row_shr:8 row_mask:0xf bank_mask:0xf bound_ctrl:1
	v_add_f32_e32 v6, v6, v14
	v_cvt_i32_f32_e32 v11, v6
	v_cvt_i32_f32_e32 v14, v0
	v_add_f32_e32 v8, v64, v8
	v_cvt_i32_f32_e32 v16, v8
	v_cvt_f32_i32_dpp v11, v11 row_shr:2 row_mask:0xf bank_mask:0xf bound_ctrl:1
	v_cvt_f32_i32_dpp v14, v14 row_bcast:15 row_mask:0xf bank_mask:0xf bound_ctrl:1
	v_mov_b32_dpp v15, v15 row_bcast:31 row_mask:0xf bank_mask:0xf bound_ctrl:1
	v_cvt_f32_i32_dpp v16, v16 row_shr:4 row_mask:0xf bank_mask:0xf bound_ctrl:1
	v_add_f32_e32 v6, v6, v11
	v_cvt_i32_f32_e32 v17, v6
	v_add_f32_e32 v11, v0, v14
	v_add_f32_e32 v0, v8, v16
	v_cvt_i32_f32_e32 v8, v0
	v_cvt_f32_i32_dpp v14, v17 row_shr:1 row_mask:0xf bank_mask:0xf bound_ctrl:1
	v_cvt_i32_f32_e32 v16, v63
	v_cvt_i32_f32_e32 v17, v11
	v_cvt_f32_i32_dpp v8, v8 row_shr:2 row_mask:0xf bank_mask:0xf bound_ctrl:1
	v_add_f32_e32 v6, v6, v14
	v_cvt_f32_i32_dpp v14, v16 row_shr:8 row_mask:0xf bank_mask:0xf bound_ctrl:1
	v_cvt_i32_f32_e32 v16, v6
	v_add_f32_e32 v0, v0, v8
	v_cvt_i32_f32_e32 v8, v0
	v_add_f32_e32 v18, v63, v14
	v_cvt_i32_f32_e32 v14, v18
	v_cvt_f32_i32_dpp v16, v16 row_bcast:15 row_mask:0xf bank_mask:0xf bound_ctrl:1
	v_cvt_f32_i32_dpp v8, v8 row_shr:1 row_mask:0xf bank_mask:0xf bound_ctrl:1
	v_mov_b32_dpp v17, v17 row_bcast:31 row_mask:0xf bank_mask:0xf bound_ctrl:1
	v_cvt_f32_i32_dpp v19, v14 row_shr:4 row_mask:0xf bank_mask:0xf bound_ctrl:1
	v_add_f32_e32 v14, v6, v16
	v_cvt_i32_f32_e32 v6, v62
	v_add_f32_e32 v0, v0, v8
	v_add_f32_e32 v8, v18, v19
	v_cvt_i32_f32_e32 v16, v8
	v_cvt_f32_i32_dpp v6, v6 row_shr:8 row_mask:0xf bank_mask:0xf bound_ctrl:1
	v_cvt_i32_f32_e32 v18, v0
	v_cvt_i32_f32_e32 v19, v14
	v_cvt_f32_i32_dpp v16, v16 row_shr:2 row_mask:0xf bank_mask:0xf bound_ctrl:1
	v_add_f32_e32 v6, v62, v6
	v_cvt_i32_f32_e32 v21, v6
	v_cvt_f32_i32_dpp v18, v18 row_bcast:15 row_mask:0xf bank_mask:0xf bound_ctrl:1
	v_add_f32_e32 v8, v8, v16
	v_mov_b32_dpp v20, v19 row_bcast:31 row_mask:0xf bank_mask:0xf bound_ctrl:1
	v_cvt_f32_i32_dpp v19, v21 row_shr:4 row_mask:0xf bank_mask:0xf bound_ctrl:1
	v_cvt_i32_f32_e32 v22, v8
	v_add_f32_e32 v16, v0, v18
	v_cvt_i32_f32_e32 v18, v61
	v_add_f32_e32 v6, v6, v19
	v_cvt_f32_i32_dpp v0, v22 row_shr:1 row_mask:0xf bank_mask:0xf bound_ctrl:1
	v_cvt_i32_f32_e32 v19, v6
	v_cvt_f32_i32_dpp v18, v18 row_shr:8 row_mask:0xf bank_mask:0xf bound_ctrl:1
	v_cvt_i32_f32_e32 v21, v16
	v_add_f32_e32 v0, v8, v0
	v_cvt_f32_i32_dpp v8, v19 row_shr:2 row_mask:0xf bank_mask:0xf bound_ctrl:1
	v_add_f32_e32 v22, v61, v18
	v_cvt_i32_f32_e32 v19, v0
	v_cvt_i32_f32_e32 v18, v22
	v_add_f32_e32 v6, v6, v8
	v_cvt_i32_f32_e32 v8, v6
	v_cvt_f32_i32_dpp v19, v19 row_bcast:15 row_mask:0xf bank_mask:0xf bound_ctrl:1
	v_cvt_f32_i32_dpp v23, v18 row_shr:4 row_mask:0xf bank_mask:0xf bound_ctrl:1
	v_mov_b32_dpp v21, v21 row_bcast:31 row_mask:0xf bank_mask:0xf bound_ctrl:1
	v_cvt_f32_i32_dpp v8, v8 row_shr:1 row_mask:0xf bank_mask:0xf bound_ctrl:1
	v_add_f32_e32 v18, v0, v19
	v_add_f32_e32 v0, v22, v23
	v_cvt_i32_f32_e32 v19, v0
	v_add_f32_e32 v6, v6, v8
	v_cvt_i32_f32_e32 v8, v60
	v_cvt_i32_f32_e32 v22, v6
	v_cvt_f32_i32_dpp v19, v19 row_shr:2 row_mask:0xf bank_mask:0xf bound_ctrl:1
	v_cvt_i32_f32_e32 v23, v18
	v_cvt_f32_i32_dpp v8, v8 row_shr:8 row_mask:0xf bank_mask:0xf bound_ctrl:1
	v_cvt_f32_i32_dpp v24, v22 row_bcast:15 row_mask:0xf bank_mask:0xf bound_ctrl:1
	v_add_f32_e32 v0, v0, v19
	v_cvt_i32_f32_e32 v19, v0
	v_add_f32_e32 v8, v60, v8
	v_cvt_i32_f32_e32 v25, v8
	v_mov_b32_dpp v22, v23 row_bcast:31 row_mask:0xf bank_mask:0xf bound_ctrl:1
	v_cvt_f32_i32_dpp v23, v19 row_shr:1 row_mask:0xf bank_mask:0xf bound_ctrl:1
	v_add_f32_e32 v19, v6, v24
	v_cvt_f32_i32_dpp v6, v25 row_shr:4 row_mask:0xf bank_mask:0xf bound_ctrl:1
	v_cvt_i32_f32_e32 v24, v19
	v_add_f32_e32 v0, v0, v23
	v_cvt_i32_f32_e32 v23, v59
	v_add_f32_e32 v6, v8, v6
	v_cvt_i32_f32_e32 v8, v6
	v_cvt_i32_f32_e32 v25, v0
	v_cvt_f32_i32_dpp v23, v23 row_shr:8 row_mask:0xf bank_mask:0xf bound_ctrl:1
	v_mov_b32_dpp v24, v24 row_bcast:31 row_mask:0xf bank_mask:0xf bound_ctrl:1
	v_cvt_f32_i32_dpp v8, v8 row_shr:2 row_mask:0xf bank_mask:0xf bound_ctrl:1
	v_cvt_f32_i32_dpp v25, v25 row_bcast:15 row_mask:0xf bank_mask:0xf bound_ctrl:1
	v_add_f32_e32 v26, v59, v23
	v_cvt_i32_f32_e32 v23, v26
	v_add_f32_e32 v6, v6, v8
	v_cvt_i32_f32_e32 v8, v58
	v_cvt_i32_f32_e32 v27, v6
	v_cvt_f32_i32_dpp v28, v23 row_shr:4 row_mask:0xf bank_mask:0xf bound_ctrl:1
	v_add_f32_e32 v23, v0, v25
	v_cvt_f32_i32_dpp v0, v8 row_shr:8 row_mask:0xf bank_mask:0xf bound_ctrl:1
	v_cvt_f32_i32_dpp v8, v27 row_shr:1 row_mask:0xf bank_mask:0xf bound_ctrl:1
	v_add_f32_e32 v25, v26, v28
	v_cvt_i32_f32_e32 v26, v25
	v_add_f32_e32 v0, v58, v0
	v_cvt_i32_f32_e32 v27, v0
	v_add_f32_e32 v6, v6, v8
	v_cvt_f32_i32_dpp v26, v26 row_shr:2 row_mask:0xf bank_mask:0xf bound_ctrl:1
	v_cvt_i32_f32_e32 v28, v23
	v_cvt_f32_i32_dpp v8, v27 row_shr:4 row_mask:0xf bank_mask:0xf bound_ctrl:1
	v_cvt_i32_f32_e32 v27, v6
	v_add_f32_e32 v26, v25, v26
	v_cvt_i32_f32_e32 v25, v26
	v_add_f32_e32 v0, v0, v8
	v_cvt_i32_f32_e32 v8, v0
	v_cvt_f32_i32_dpp v27, v27 row_bcast:15 row_mask:0xf bank_mask:0xf bound_ctrl:1
	v_cvt_f32_i32_dpp v29, v25 row_shr:1 row_mask:0xf bank_mask:0xf bound_ctrl:1
	v_mov_b32_dpp v30, v28 row_bcast:31 row_mask:0xf bank_mask:0xf bound_ctrl:1
	v_cvt_f32_i32_dpp v8, v8 row_shr:2 row_mask:0xf bank_mask:0xf bound_ctrl:1
	v_add_f32_e32 v25, v6, v27
	v_add_f32_e32 v6, v26, v29
	v_cvt_i32_f32_e32 v26, v57
	v_add_f32_e32 v0, v0, v8
	v_cvt_i32_f32_e32 v8, v0
	v_cvt_i32_f32_e32 v27, v6
	v_cvt_f32_i32_dpp v26, v26 row_shr:8 row_mask:0xf bank_mask:0xf bound_ctrl:1
	v_cvt_i32_f32_e32 v28, v25
	v_cvt_f32_i32_dpp v8, v8 row_shr:1 row_mask:0xf bank_mask:0xf bound_ctrl:1
	v_cvt_f32_i32_dpp v27, v27 row_bcast:15 row_mask:0xf bank_mask:0xf bound_ctrl:1
	v_add_f32_e32 v29, v57, v26
	v_cvt_i32_f32_e32 v26, v29
	v_add_f32_e32 v0, v0, v8
	v_cvt_i32_f32_e32 v8, v0
	v_mov_b32_dpp v32, v28 row_bcast:31 row_mask:0xf bank_mask:0xf bound_ctrl:1
	v_cvt_f32_i32_dpp v28, v26 row_shr:4 row_mask:0xf bank_mask:0xf bound_ctrl:1
	v_add_f32_e32 v26, v6, v27
	v_cvt_f32_i32_dpp v6, v8 row_bcast:15 row_mask:0xf bank_mask:0xf bound_ctrl:1
	v_cvt_i32_f32_e32 v8, v56
	v_add_f32_e32 v28, v29, v28
	v_cvt_i32_f32_e32 v29, v28
	v_add_f32_e32 v27, v0, v6
	v_cvt_f32_i32_dpp v8, v8 row_shr:8 row_mask:0xf bank_mask:0xf bound_ctrl:1
	v_cvt_i32_f32_e32 v31, v26
	v_cvt_f32_i32_dpp v0, v29 row_shr:2 row_mask:0xf bank_mask:0xf bound_ctrl:1
	v_cvt_i32_f32_e32 v6, v27
	v_add_f32_e32 v8, v56, v8
	v_cvt_i32_f32_e32 v29, v8
	v_add_f32_e32 v0, v28, v0
	v_cvt_i32_f32_e32 v28, v0
	v_mov_b32_dpp v34, v31 row_bcast:31 row_mask:0xf bank_mask:0xf bound_ctrl:1
	v_cvt_f32_i32_dpp v31, v29 row_shr:4 row_mask:0xf bank_mask:0xf bound_ctrl:1
	v_mov_b32_dpp v29, v6 row_bcast:31 row_mask:0xf bank_mask:0xf bound_ctrl:1
	v_cvt_f32_i32_dpp v6, v28 row_shr:1 row_mask:0xf bank_mask:0xf bound_ctrl:1
	v_cvt_i32_f32_e32 v28, v55
	v_add_f32_e32 v8, v8, v31
	v_cvt_i32_f32_e32 v31, v39
	v_add_f32_e32 v0, v0, v6
	v_cvt_f32_i32_dpp v28, v28 row_shr:8 row_mask:0xf bank_mask:0xf bound_ctrl:1
	v_cvt_i32_f32_e32 v33, v8
	v_cvt_f32_i32_dpp v6, v31 row_shr:8 row_mask:0xf bank_mask:0xf bound_ctrl:1
	v_cvt_i32_f32_e32 v36, v0
	v_add_f32_e32 v28, v55, v28
	v_cvt_f32_i32_dpp v31, v33 row_shr:2 row_mask:0xf bank_mask:0xf bound_ctrl:1
	v_add_f32_e32 v6, v39, v6
	v_cvt_i32_f32_e32 v33, v28
	v_cvt_i32_f32_e32 v35, v6
	v_add_f32_e32 v8, v8, v31
	v_cvt_f32_i32_dpp v36, v36 row_bcast:15 row_mask:0xf bank_mask:0xf bound_ctrl:1
	v_cvt_f32_i32_dpp v33, v33 row_shr:4 row_mask:0xf bank_mask:0xf bound_ctrl:1
	v_cvt_f32_i32_dpp v31, v35 row_shr:4 row_mask:0xf bank_mask:0xf bound_ctrl:1
	v_cvt_i32_f32_e32 v35, v8
	v_add_f32_e32 v37, v0, v36
	v_add_f32_e32 v28, v28, v33
	;; [unrolled: 1-line block ×3, first 2 shown]
	v_cvt_i32_f32_e32 v33, v28
	v_cvt_i32_f32_e32 v31, v6
	v_cvt_f32_i32_dpp v35, v35 row_shr:1 row_mask:0xf bank_mask:0xf bound_ctrl:1
	v_cvt_f32_i32_dpp v33, v33 row_shr:2 row_mask:0xf bank_mask:0xf bound_ctrl:1
	;; [unrolled: 1-line block ×3, first 2 shown]
	v_add_f32_e32 v8, v8, v35
	v_cvt_i32_f32_e32 v35, v8
	v_add_f32_e32 v28, v28, v33
	v_add_f32_e32 v6, v6, v31
	v_cvt_i32_f32_e32 v33, v28
	v_cvt_i32_f32_e32 v31, v6
	s_nop 0
	v_cvt_f32_i32_dpp v33, v33 row_shr:1 row_mask:0xf bank_mask:0xf bound_ctrl:1
	v_cvt_f32_i32_dpp v0, v31 row_shr:1 row_mask:0xf bank_mask:0xf bound_ctrl:1
	v_cvt_f32_i32_dpp v31, v35 row_bcast:15 row_mask:0xf bank_mask:0xf bound_ctrl:1
	v_cvt_i32_f32_e32 v35, v37
	v_add_f32_e32 v28, v28, v33
	v_add_f32_e32 v0, v6, v0
	v_cvt_i32_f32_e32 v33, v28
	v_cvt_i32_f32_e32 v6, v0
	v_add_f32_e32 v36, v8, v31
	v_cvt_i32_f32_e32 v8, v36
	v_cvt_f32_i32_dpp v33, v33 row_bcast:15 row_mask:0xf bank_mask:0xf bound_ctrl:1
	v_cvt_f32_i32_dpp v6, v6 row_bcast:15 row_mask:0xf bank_mask:0xf bound_ctrl:1
	v_mov_b32_dpp v45, v35 row_bcast:31 row_mask:0xf bank_mask:0xf bound_ctrl:1
	v_mov_b32_dpp v44, v8 row_bcast:31 row_mask:0xf bank_mask:0xf bound_ctrl:1
	v_add_f32_e32 v33, v28, v33
	v_add_f32_e32 v28, v0, v6
	v_cvt_i32_f32_e32 v31, v33
	v_cvt_i32_f32_e32 v0, v28
	s_nop 0
	v_mov_b32_dpp v35, v31 row_bcast:31 row_mask:0xf bank_mask:0xf bound_ctrl:1
	v_mov_b32_dpp v31, v0 row_bcast:31 row_mask:0xf bank_mask:0xf bound_ctrl:1
	s_and_saveexec_b64 s[36:37], s[0:1]
	s_cbranch_execz .LBB124_50
; %bb.31:                               ;   in Loop: Header=BB124_12 Depth=1
	s_andn2_b64 vcc, exec, s[28:29]
	v_mov_b32_e32 v39, 0
	v_add_u32_e32 v8, 2, v38
	v_add_u32_e32 v6, 3, v38
	v_mov_b32_e32 v63, 0
	v_mov_b32_e32 v62, 0
	;; [unrolled: 1-line block ×9, first 2 shown]
	s_waitcnt vmcnt(5)
	v_mov_b32_e32 v51, 0
	s_waitcnt vmcnt(4)
	v_mov_b32_e32 v50, 0
	s_waitcnt vmcnt(3)
	v_mov_b32_e32 v49, 0
	s_waitcnt vmcnt(2)
	v_mov_b32_e32 v48, 0
	s_waitcnt vmcnt(1)
	v_mov_b32_e32 v47, 0
	s_waitcnt vmcnt(0)
	v_mov_b32_e32 v46, 0
	s_cbranch_vccnz .LBB124_33
; %bb.32:                               ;   in Loop: Header=BB124_12 Depth=1
	v_mul_hi_u32 v0, v38, v52
	v_mul_lo_u32 v0, v0, s12
	v_sub_u32_e32 v0, v38, v0
	v_subrev_u32_e32 v39, s12, v0
	v_cmp_le_u32_e32 vcc, s12, v0
	v_mov_b32_e32 v49, v1
	v_mov_b32_e32 v63, v1
	v_cndmask_b32_e32 v0, v0, v39, vcc
	v_subrev_u32_e32 v39, s12, v0
	v_cmp_le_u32_e32 vcc, s12, v0
	v_mov_b32_e32 v57, v1
	v_mov_b32_e32 v65, v1
	v_cndmask_b32_e32 v0, v0, v39, vcc
	v_add_u32_e32 v39, 1, v38
	v_mul_hi_u32 v48, v39, v52
	v_mul_lo_u32 v48, v48, s12
	v_sub_u32_e32 v39, v39, v48
	v_subrev_u32_e32 v48, s12, v39
	v_cmp_le_u32_e32 vcc, s12, v39
	v_add_u32_e32 v62, s45, v0
	v_lshl_add_u64 v[66:67], v[62:63], 1, s[18:19]
	v_cndmask_b32_e32 v39, v39, v48, vcc
	v_subrev_u32_e32 v48, s12, v39
	v_cmp_le_u32_e32 vcc, s12, v39
	v_lshl_add_u64 v[46:47], v[0:1], 1, s[18:19]
	s_nop 0
	v_cndmask_b32_e32 v48, v39, v48, vcc
	v_mul_hi_u32 v39, v8, v52
	v_mul_lo_u32 v39, v39, s12
	v_sub_u32_e32 v39, v8, v39
	v_lshl_add_u64 v[50:51], v[48:49], 1, s[18:19]
	v_subrev_u32_e32 v49, s12, v39
	v_cmp_le_u32_e32 vcc, s12, v39
	v_add_u32_e32 v62, s45, v48
	v_lshl_add_u64 v[68:69], v[62:63], 1, s[18:19]
	v_cndmask_b32_e32 v39, v39, v49, vcc
	v_subrev_u32_e32 v49, s12, v39
	v_cmp_le_u32_e32 vcc, s12, v39
	s_nop 1
	v_cndmask_b32_e32 v56, v39, v49, vcc
	v_mul_hi_u32 v39, v6, v52
	v_mul_lo_u32 v39, v39, s12
	v_sub_u32_e32 v39, v6, v39
	v_subrev_u32_e32 v49, s12, v39
	v_cmp_le_u32_e32 vcc, s12, v39
	v_add_u32_e32 v62, s45, v56
	v_lshl_add_u64 v[58:59], v[56:57], 1, s[18:19]
	v_cndmask_b32_e32 v39, v39, v49, vcc
	v_subrev_u32_e32 v49, s12, v39
	v_cmp_le_u32_e32 vcc, s12, v39
	v_lshl_add_u64 v[70:71], v[62:63], 1, s[18:19]
	s_nop 0
	v_cndmask_b32_e32 v64, v39, v49, vcc
	v_lshl_add_u64 v[60:61], v[64:65], 1, s[18:19]
	v_add_u32_e32 v62, s45, v64
	v_lshl_add_u64 v[72:73], v[62:63], 1, s[18:19]
	global_load_ushort v39, v[46:47], off
	global_load_ushort v63, v[50:51], off
	;; [unrolled: 1-line block ×3, first 2 shown]
	s_nop 0
	global_load_ushort v61, v[60:61], off
	s_nop 0
	global_load_ushort v60, v[66:67], off
	global_load_ushort v59, v[68:69], off
	;; [unrolled: 1-line block ×3, first 2 shown]
                                        ; kill: killed $vgpr70_vgpr71
                                        ; kill: killed $vgpr68_vgpr69
	global_load_ushort v55, v[72:73], off
	v_add_u32_e32 v46, s46, v0
	v_add_u32_e32 v0, s47, v0
	v_lshl_add_u64 v[70:71], v[0:1], 1, s[18:19]
	v_add_u32_e32 v0, s47, v48
	v_mov_b32_e32 v47, v1
	v_add_u32_e32 v50, s46, v48
	v_mov_b32_e32 v51, v1
	v_lshl_add_u64 v[72:73], v[0:1], 1, s[18:19]
	v_add_u32_e32 v0, s47, v56
	v_lshl_add_u64 v[46:47], v[46:47], 1, s[18:19]
	v_lshl_add_u64 v[50:51], v[50:51], 1, s[18:19]
	v_add_u32_e32 v66, s46, v56
	v_mov_b32_e32 v67, v1
	v_add_u32_e32 v68, s46, v64
	v_mov_b32_e32 v69, v1
	v_lshl_add_u64 v[74:75], v[0:1], 1, s[18:19]
	v_add_u32_e32 v0, s47, v64
	v_lshl_add_u64 v[66:67], v[66:67], 1, s[18:19]
	v_lshl_add_u64 v[68:69], v[68:69], 1, s[18:19]
	;; [unrolled: 1-line block ×3, first 2 shown]
	global_load_ushort v58, v[46:47], off
	global_load_ushort v56, v[50:51], off
	s_nop 0
	global_load_ushort v51, v[66:67], off
	global_load_ushort v50, v[68:69], off
	;; [unrolled: 1-line block ×6, first 2 shown]
.LBB124_33:                             ;   in Loop: Header=BB124_12 Depth=1
	v_cmp_ne_u32_e32 vcc, 0, v2
	s_and_saveexec_b64 s[6:7], vcc
	s_cbranch_execnz .LBB124_55
; %bb.34:                               ;   in Loop: Header=BB124_12 Depth=1
	s_or_b64 exec, exec, s[6:7]
	v_cmp_ne_u32_e64 s[6:7], 0, v3
	s_and_saveexec_b64 s[8:9], s[6:7]
	s_cbranch_execnz .LBB124_56
.LBB124_35:                             ;   in Loop: Header=BB124_12 Depth=1
	s_or_b64 exec, exec, s[8:9]
	v_cmp_ne_u32_e64 s[8:9], 0, v4
	s_and_saveexec_b64 s[10:11], s[8:9]
	s_cbranch_execnz .LBB124_57
.LBB124_36:                             ;   in Loop: Header=BB124_12 Depth=1
	s_or_b64 exec, exec, s[10:11]
	v_cmp_ne_u32_e64 s[10:11], 0, v5
	s_and_saveexec_b64 s[38:39], s[10:11]
	s_cbranch_execnz .LBB124_58
.LBB124_37:                             ;   in Loop: Header=BB124_12 Depth=1
	s_or_b64 exec, exec, s[38:39]
	v_add_u32_e32 v0, s23, v38
	s_and_saveexec_b64 s[38:39], vcc
	s_cbranch_execnz .LBB124_59
.LBB124_38:                             ;   in Loop: Header=BB124_12 Depth=1
	s_or_b64 exec, exec, s[38:39]
	s_and_saveexec_b64 s[38:39], s[6:7]
	s_cbranch_execnz .LBB124_60
.LBB124_39:                             ;   in Loop: Header=BB124_12 Depth=1
	s_or_b64 exec, exec, s[38:39]
	s_and_saveexec_b64 s[38:39], s[8:9]
	s_cbranch_execnz .LBB124_61
.LBB124_40:                             ;   in Loop: Header=BB124_12 Depth=1
	s_or_b64 exec, exec, s[38:39]
	s_and_saveexec_b64 s[38:39], s[10:11]
	s_cbranch_execnz .LBB124_62
.LBB124_41:                             ;   in Loop: Header=BB124_12 Depth=1
	s_or_b64 exec, exec, s[38:39]
	v_add_u32_e32 v0, s23, v0
	s_and_saveexec_b64 s[38:39], vcc
	s_cbranch_execnz .LBB124_63
.LBB124_42:                             ;   in Loop: Header=BB124_12 Depth=1
	s_or_b64 exec, exec, s[38:39]
	s_and_saveexec_b64 s[38:39], s[6:7]
	s_cbranch_execnz .LBB124_64
.LBB124_43:                             ;   in Loop: Header=BB124_12 Depth=1
	s_or_b64 exec, exec, s[38:39]
	s_and_saveexec_b64 s[38:39], s[8:9]
	s_cbranch_execnz .LBB124_65
.LBB124_44:                             ;   in Loop: Header=BB124_12 Depth=1
	s_or_b64 exec, exec, s[38:39]
	s_and_saveexec_b64 s[38:39], s[10:11]
	s_cbranch_execnz .LBB124_66
.LBB124_45:                             ;   in Loop: Header=BB124_12 Depth=1
	s_or_b64 exec, exec, s[38:39]
	v_add_u32_e32 v0, s23, v0
	s_and_saveexec_b64 s[38:39], vcc
	s_cbranch_execnz .LBB124_67
.LBB124_46:                             ;   in Loop: Header=BB124_12 Depth=1
	s_or_b64 exec, exec, s[38:39]
	s_and_saveexec_b64 s[38:39], s[6:7]
	s_cbranch_execnz .LBB124_68
.LBB124_47:                             ;   in Loop: Header=BB124_12 Depth=1
	s_or_b64 exec, exec, s[38:39]
	s_and_saveexec_b64 s[6:7], s[8:9]
	s_cbranch_execnz .LBB124_69
.LBB124_48:                             ;   in Loop: Header=BB124_12 Depth=1
	s_or_b64 exec, exec, s[6:7]
	s_and_b64 exec, exec, s[10:11]
	s_cbranch_execz .LBB124_50
.LBB124_49:                             ;   in Loop: Header=BB124_12 Depth=1
	v_cvt_f32_i32_e32 v6, v31
	s_waitcnt vmcnt(0)
	v_cvt_f32_f16_e32 v7, v46
	v_add_u32_e32 v0, 3, v0
	v_add_f32_e32 v6, v28, v6
	v_add_f32_e32 v6, v6, v7
	v_cvt_f16_f32_e32 v8, v6
	v_lshl_add_u64 v[6:7], v[0:1], 1, s[24:25]
	global_store_short v[6:7], v8, off
.LBB124_50:                             ;   in Loop: Header=BB124_12 Depth=1
	s_or_b64 exec, exec, s[36:37]
	v_add_u32_e32 v38, s44, v38
	v_add_u32_e32 v0, 4, v38
	v_cmp_gt_u32_e32 vcc, s23, v38
	v_cmp_le_u32_e64 s[6:7], s23, v0
	s_and_b64 s[6:7], vcc, s[6:7]
	s_and_saveexec_b64 s[8:9], s[6:7]
	s_cbranch_execz .LBB124_10
; %bb.51:                               ;   in Loop: Header=BB124_12 Depth=1
	v_cmp_ne_u32_e32 vcc, s13, v38
	s_and_saveexec_b64 s[10:11], vcc
	s_cbranch_execz .LBB124_9
; %bb.52:                               ;   in Loop: Header=BB124_12 Depth=1
	v_subrev_u32_e32 v0, s13, v38
	v_cmp_lt_u32_e32 vcc, 1, v0
	s_mov_b64 s[36:37], 0
	s_mov_b64 s[38:39], 0
	v_cndmask_b32_e32 v0, 1, v0, vcc
.LBB124_53:                             ;   Parent Loop BB124_12 Depth=1
                                        ; =>  This Inner Loop Header: Depth=2
	s_cmp_lg_u32 s38, 3
	s_cselect_b64 vcc, -1, 0
	s_cmp_lg_u32 s38, 2
	v_cndmask_b32_e32 v5, 0, v5, vcc
	s_cselect_b64 vcc, -1, 0
	s_cmp_lg_u32 s38, 1
	v_cndmask_b32_e32 v4, 0, v4, vcc
	;; [unrolled: 3-line block ×3, first 2 shown]
	s_cselect_b64 vcc, -1, 0
	s_add_u32 s38, s38, 1
	s_addc_u32 s39, s39, 0
	v_cmp_eq_u32_e64 s[6:7], s38, v0
	s_or_b64 s[36:37], s[6:7], s[36:37]
	v_cndmask_b32_e32 v2, 0, v2, vcc
	s_andn2_b64 exec, exec, s[36:37]
	s_cbranch_execnz .LBB124_53
; %bb.54:                               ;   in Loop: Header=BB124_12 Depth=1
	s_or_b64 exec, exec, s[36:37]
	s_branch .LBB124_9
.LBB124_55:                             ;   in Loop: Header=BB124_12 Depth=1
	v_cvt_f32_i32_e32 v0, v13
	s_waitcnt vmcnt(15)
	v_cvt_f32_f16_e32 v13, v39
	v_mov_b32_e32 v39, v1
	v_lshl_add_u64 v[64:65], v[38:39], 1, s[24:25]
	v_add_f32_e32 v0, v10, v0
	v_add_f32_e32 v0, v0, v13
	v_cvt_f16_f32_e32 v0, v0
	global_store_short v[64:65], v0, off
	s_or_b64 exec, exec, s[6:7]
	v_cmp_ne_u32_e64 s[6:7], 0, v3
	s_and_saveexec_b64 s[8:9], s[6:7]
	s_cbranch_execz .LBB124_35
.LBB124_56:                             ;   in Loop: Header=BB124_12 Depth=1
	v_cvt_f32_i32_e32 v0, v12
	s_waitcnt vmcnt(14)
	v_cvt_f32_f16_e32 v10, v63
	v_mov_b32_e32 v39, v1
	v_lshl_add_u64 v[12:13], v[38:39], 1, s[30:31]
	v_add_f32_e32 v0, v7, v0
	v_add_f32_e32 v0, v0, v10
	v_cvt_f16_f32_e32 v0, v0
	global_store_short v[12:13], v0, off
	s_or_b64 exec, exec, s[8:9]
	v_cmp_ne_u32_e64 s[8:9], 0, v4
	s_and_saveexec_b64 s[10:11], s[8:9]
	s_cbranch_execz .LBB124_36
.LBB124_57:                             ;   in Loop: Header=BB124_12 Depth=1
	v_cvt_f32_i32_e32 v0, v15
	s_waitcnt vmcnt(13)
	v_cvt_f32_f16_e32 v7, v62
	v_add_f32_e32 v0, v9, v0
	v_add_f32_e32 v0, v0, v7
	v_cvt_f16_f32_e32 v0, v0
	v_mov_b32_e32 v9, v1
	v_lshl_add_u64 v[8:9], v[8:9], 1, s[24:25]
	global_store_short v[8:9], v0, off
	s_or_b64 exec, exec, s[10:11]
	v_cmp_ne_u32_e64 s[10:11], 0, v5
	s_and_saveexec_b64 s[38:39], s[10:11]
	s_cbranch_execz .LBB124_37
.LBB124_58:                             ;   in Loop: Header=BB124_12 Depth=1
	v_cvt_f32_i32_e32 v0, v17
	s_waitcnt vmcnt(12)
	v_cvt_f32_f16_e32 v7, v61
	v_add_f32_e32 v0, v11, v0
	v_add_f32_e32 v0, v0, v7
	v_cvt_f16_f32_e32 v0, v0
	v_mov_b32_e32 v7, v1
	v_lshl_add_u64 v[6:7], v[6:7], 1, s[24:25]
	global_store_short v[6:7], v0, off
	s_or_b64 exec, exec, s[38:39]
	v_add_u32_e32 v0, s23, v38
	s_and_saveexec_b64 s[38:39], vcc
	s_cbranch_execz .LBB124_38
.LBB124_59:                             ;   in Loop: Header=BB124_12 Depth=1
	v_cvt_f32_i32_e32 v6, v20
	s_waitcnt vmcnt(11)
	v_cvt_f32_f16_e32 v7, v60
	v_add_f32_e32 v6, v14, v6
	v_add_f32_e32 v6, v6, v7
	v_cvt_f16_f32_e32 v8, v6
	v_lshl_add_u64 v[6:7], v[0:1], 1, s[24:25]
	global_store_short v[6:7], v8, off
	s_or_b64 exec, exec, s[38:39]
	s_and_saveexec_b64 s[38:39], s[6:7]
	s_cbranch_execz .LBB124_39
.LBB124_60:                             ;   in Loop: Header=BB124_12 Depth=1
	v_cvt_f32_i32_e32 v6, v21
	s_waitcnt vmcnt(10)
	v_cvt_f32_f16_e32 v7, v59
	v_add_f32_e32 v6, v16, v6
	v_add_f32_e32 v6, v6, v7
	v_cvt_f16_f32_e32 v8, v6
	v_add_u32_e32 v6, 1, v0
	v_mov_b32_e32 v7, v1
	v_lshl_add_u64 v[6:7], v[6:7], 1, s[24:25]
	global_store_short v[6:7], v8, off
	s_or_b64 exec, exec, s[38:39]
	s_and_saveexec_b64 s[38:39], s[8:9]
	s_cbranch_execz .LBB124_40
.LBB124_61:                             ;   in Loop: Header=BB124_12 Depth=1
	v_cvt_f32_i32_e32 v6, v22
	s_waitcnt vmcnt(9)
	v_cvt_f32_f16_e32 v7, v57
	v_add_f32_e32 v6, v18, v6
	v_add_f32_e32 v6, v6, v7
	v_cvt_f16_f32_e32 v8, v6
	v_add_u32_e32 v6, 2, v0
	v_mov_b32_e32 v7, v1
	v_lshl_add_u64 v[6:7], v[6:7], 1, s[24:25]
	global_store_short v[6:7], v8, off
	s_or_b64 exec, exec, s[38:39]
	s_and_saveexec_b64 s[38:39], s[10:11]
	s_cbranch_execz .LBB124_41
.LBB124_62:                             ;   in Loop: Header=BB124_12 Depth=1
	v_cvt_f32_i32_e32 v6, v24
	s_waitcnt vmcnt(8)
	v_cvt_f32_f16_e32 v7, v55
	v_add_f32_e32 v6, v19, v6
	v_add_f32_e32 v6, v6, v7
	v_cvt_f16_f32_e32 v8, v6
	v_add_u32_e32 v6, 3, v0
	v_mov_b32_e32 v7, v1
	v_lshl_add_u64 v[6:7], v[6:7], 1, s[24:25]
	global_store_short v[6:7], v8, off
	s_or_b64 exec, exec, s[38:39]
	v_add_u32_e32 v0, s23, v0
	s_and_saveexec_b64 s[38:39], vcc
	s_cbranch_execz .LBB124_42
.LBB124_63:                             ;   in Loop: Header=BB124_12 Depth=1
	v_cvt_f32_i32_e32 v6, v30
	s_waitcnt vmcnt(7)
	v_cvt_f32_f16_e32 v7, v58
	v_add_f32_e32 v6, v23, v6
	v_add_f32_e32 v6, v6, v7
	v_cvt_f16_f32_e32 v8, v6
	v_lshl_add_u64 v[6:7], v[0:1], 1, s[24:25]
	global_store_short v[6:7], v8, off
	s_or_b64 exec, exec, s[38:39]
	s_and_saveexec_b64 s[38:39], s[6:7]
	s_cbranch_execz .LBB124_43
.LBB124_64:                             ;   in Loop: Header=BB124_12 Depth=1
	v_cvt_f32_i32_e32 v6, v32
	s_waitcnt vmcnt(6)
	v_cvt_f32_f16_e32 v7, v56
	v_add_f32_e32 v6, v25, v6
	v_add_f32_e32 v6, v6, v7
	v_cvt_f16_f32_e32 v8, v6
	v_add_u32_e32 v6, 1, v0
	v_mov_b32_e32 v7, v1
	v_lshl_add_u64 v[6:7], v[6:7], 1, s[24:25]
	global_store_short v[6:7], v8, off
	s_or_b64 exec, exec, s[38:39]
	s_and_saveexec_b64 s[38:39], s[8:9]
	s_cbranch_execz .LBB124_44
.LBB124_65:                             ;   in Loop: Header=BB124_12 Depth=1
	v_cvt_f32_i32_e32 v6, v34
	s_waitcnt vmcnt(5)
	v_cvt_f32_f16_e32 v7, v51
	v_add_f32_e32 v6, v26, v6
	v_add_f32_e32 v6, v6, v7
	v_cvt_f16_f32_e32 v8, v6
	v_add_u32_e32 v6, 2, v0
	v_mov_b32_e32 v7, v1
	v_lshl_add_u64 v[6:7], v[6:7], 1, s[24:25]
	global_store_short v[6:7], v8, off
	s_or_b64 exec, exec, s[38:39]
	s_and_saveexec_b64 s[38:39], s[10:11]
	s_cbranch_execz .LBB124_45
.LBB124_66:                             ;   in Loop: Header=BB124_12 Depth=1
	v_cvt_f32_i32_e32 v6, v29
	s_waitcnt vmcnt(4)
	v_cvt_f32_f16_e32 v7, v50
	v_add_f32_e32 v6, v27, v6
	v_add_f32_e32 v6, v6, v7
	v_cvt_f16_f32_e32 v8, v6
	v_add_u32_e32 v6, 3, v0
	v_mov_b32_e32 v7, v1
	v_lshl_add_u64 v[6:7], v[6:7], 1, s[24:25]
	global_store_short v[6:7], v8, off
	s_or_b64 exec, exec, s[38:39]
	v_add_u32_e32 v0, s23, v0
	s_and_saveexec_b64 s[38:39], vcc
	s_cbranch_execz .LBB124_46
.LBB124_67:                             ;   in Loop: Header=BB124_12 Depth=1
	v_cvt_f32_i32_e32 v6, v45
	s_waitcnt vmcnt(3)
	v_cvt_f32_f16_e32 v7, v49
	v_add_f32_e32 v6, v37, v6
	v_add_f32_e32 v6, v6, v7
	v_cvt_f16_f32_e32 v8, v6
	v_lshl_add_u64 v[6:7], v[0:1], 1, s[24:25]
	global_store_short v[6:7], v8, off
	s_or_b64 exec, exec, s[38:39]
	s_and_saveexec_b64 s[38:39], s[6:7]
	s_cbranch_execz .LBB124_47
.LBB124_68:                             ;   in Loop: Header=BB124_12 Depth=1
	v_cvt_f32_i32_e32 v6, v44
	s_waitcnt vmcnt(2)
	v_cvt_f32_f16_e32 v7, v48
	v_add_f32_e32 v6, v36, v6
	v_add_f32_e32 v6, v6, v7
	v_cvt_f16_f32_e32 v8, v6
	v_add_u32_e32 v6, 1, v0
	v_mov_b32_e32 v7, v1
	v_lshl_add_u64 v[6:7], v[6:7], 1, s[24:25]
	global_store_short v[6:7], v8, off
	s_or_b64 exec, exec, s[38:39]
	s_and_saveexec_b64 s[6:7], s[8:9]
	s_cbranch_execz .LBB124_48
.LBB124_69:                             ;   in Loop: Header=BB124_12 Depth=1
	v_cvt_f32_i32_e32 v6, v35
	s_waitcnt vmcnt(1)
	v_cvt_f32_f16_e32 v7, v47
	v_add_f32_e32 v6, v33, v6
	v_add_f32_e32 v6, v6, v7
	v_cvt_f16_f32_e32 v8, v6
	v_add_u32_e32 v6, 2, v0
	v_mov_b32_e32 v7, v1
	v_lshl_add_u64 v[6:7], v[6:7], 1, s[24:25]
	global_store_short v[6:7], v8, off
	s_or_b64 exec, exec, s[6:7]
	s_and_b64 exec, exec, s[10:11]
	s_cbranch_execnz .LBB124_49
	s_branch .LBB124_50
.LBB124_70:
	s_endpgm
	.section	.rodata,"a",@progbits
	.p2align	6, 0x0
	.amdhsa_kernel _Z16wvSplitK_hf_big_I6__halfLi64ELi4ELi16ELi8ELi1ELi4EEviiiiiiPKT_S3_S3_PS1_ii
		.amdhsa_group_segment_fixed_size 65536
		.amdhsa_private_segment_fixed_size 0
		.amdhsa_kernarg_size 64
		.amdhsa_user_sgpr_count 2
		.amdhsa_user_sgpr_dispatch_ptr 0
		.amdhsa_user_sgpr_queue_ptr 0
		.amdhsa_user_sgpr_kernarg_segment_ptr 1
		.amdhsa_user_sgpr_dispatch_id 0
		.amdhsa_user_sgpr_kernarg_preload_length 0
		.amdhsa_user_sgpr_kernarg_preload_offset 0
		.amdhsa_user_sgpr_private_segment_size 0
		.amdhsa_uses_dynamic_stack 0
		.amdhsa_enable_private_segment 0
		.amdhsa_system_sgpr_workgroup_id_x 1
		.amdhsa_system_sgpr_workgroup_id_y 0
		.amdhsa_system_sgpr_workgroup_id_z 0
		.amdhsa_system_sgpr_workgroup_info 0
		.amdhsa_system_vgpr_workitem_id 1
		.amdhsa_next_free_vgpr 76
		.amdhsa_next_free_sgpr 54
		.amdhsa_accum_offset 76
		.amdhsa_reserve_vcc 1
		.amdhsa_float_round_mode_32 0
		.amdhsa_float_round_mode_16_64 0
		.amdhsa_float_denorm_mode_32 3
		.amdhsa_float_denorm_mode_16_64 3
		.amdhsa_dx10_clamp 1
		.amdhsa_ieee_mode 1
		.amdhsa_fp16_overflow 0
		.amdhsa_tg_split 0
		.amdhsa_exception_fp_ieee_invalid_op 0
		.amdhsa_exception_fp_denorm_src 0
		.amdhsa_exception_fp_ieee_div_zero 0
		.amdhsa_exception_fp_ieee_overflow 0
		.amdhsa_exception_fp_ieee_underflow 0
		.amdhsa_exception_fp_ieee_inexact 0
		.amdhsa_exception_int_div_zero 0
	.end_amdhsa_kernel
	.section	.text._Z16wvSplitK_hf_big_I6__halfLi64ELi4ELi16ELi8ELi1ELi4EEviiiiiiPKT_S3_S3_PS1_ii,"axG",@progbits,_Z16wvSplitK_hf_big_I6__halfLi64ELi4ELi16ELi8ELi1ELi4EEviiiiiiPKT_S3_S3_PS1_ii,comdat
.Lfunc_end124:
	.size	_Z16wvSplitK_hf_big_I6__halfLi64ELi4ELi16ELi8ELi1ELi4EEviiiiiiPKT_S3_S3_PS1_ii, .Lfunc_end124-_Z16wvSplitK_hf_big_I6__halfLi64ELi4ELi16ELi8ELi1ELi4EEviiiiiiPKT_S3_S3_PS1_ii
                                        ; -- End function
	.section	.AMDGPU.csdata,"",@progbits
; Kernel info:
; codeLenInByte = 5680
; NumSgprs: 60
; NumVgprs: 76
; NumAgprs: 0
; TotalNumVgprs: 76
; ScratchSize: 0
; MemoryBound: 0
; FloatMode: 240
; IeeeMode: 1
; LDSByteSize: 65536 bytes/workgroup (compile time only)
; SGPRBlocks: 7
; VGPRBlocks: 9
; NumSGPRsForWavesPerEU: 60
; NumVGPRsForWavesPerEU: 76
; AccumOffset: 76
; Occupancy: 4
; WaveLimiterHint : 0
; COMPUTE_PGM_RSRC2:SCRATCH_EN: 0
; COMPUTE_PGM_RSRC2:USER_SGPR: 2
; COMPUTE_PGM_RSRC2:TRAP_HANDLER: 0
; COMPUTE_PGM_RSRC2:TGID_X_EN: 1
; COMPUTE_PGM_RSRC2:TGID_Y_EN: 0
; COMPUTE_PGM_RSRC2:TGID_Z_EN: 0
; COMPUTE_PGM_RSRC2:TIDIG_COMP_CNT: 1
; COMPUTE_PGM_RSRC3_GFX90A:ACCUM_OFFSET: 18
; COMPUTE_PGM_RSRC3_GFX90A:TG_SPLIT: 0
	.section	.text._Z16wvSplitK_hf_sml_I6__halfLi64ELi4ELi16ELi8ELi2ELi4EEviiiiiiPKT_S3_S3_PS1_ii,"axG",@progbits,_Z16wvSplitK_hf_sml_I6__halfLi64ELi4ELi16ELi8ELi2ELi4EEviiiiiiPKT_S3_S3_PS1_ii,comdat
	.protected	_Z16wvSplitK_hf_sml_I6__halfLi64ELi4ELi16ELi8ELi2ELi4EEviiiiiiPKT_S3_S3_PS1_ii ; -- Begin function _Z16wvSplitK_hf_sml_I6__halfLi64ELi4ELi16ELi8ELi2ELi4EEviiiiiiPKT_S3_S3_PS1_ii
	.globl	_Z16wvSplitK_hf_sml_I6__halfLi64ELi4ELi16ELi8ELi2ELi4EEviiiiiiPKT_S3_S3_PS1_ii
	.p2align	8
	.type	_Z16wvSplitK_hf_sml_I6__halfLi64ELi4ELi16ELi8ELi2ELi4EEviiiiiiPKT_S3_S3_PS1_ii,@function
_Z16wvSplitK_hf_sml_I6__halfLi64ELi4ELi16ELi8ELi2ELi4EEviiiiiiPKT_S3_S3_PS1_ii: ; @_Z16wvSplitK_hf_sml_I6__halfLi64ELi4ELi16ELi8ELi2ELi4EEviiiiiiPKT_S3_S3_PS1_ii
; %bb.0:
	s_load_dwordx4 s[4:7], s[0:1], 0x0
	s_load_dwordx2 s[8:9], s[0:1], 0x10
	s_load_dwordx2 s[10:11], s[0:1], 0x28
	v_and_b32_e32 v2, 0x3ff, v0
	v_bfe_u32 v3, v0, 10, 10
	v_lshlrev_b32_e32 v76, 3, v2
	s_waitcnt lgkmcnt(0)
	s_lshl_b32 s24, s6, 2
	v_lshl_add_u32 v4, v3, 9, v76
	s_min_u32 s3, s24, 0x8000
	v_cmp_gt_u32_e32 vcc, s3, v4
	s_and_saveexec_b64 s[12:13], vcc
	s_cbranch_execz .LBB125_3
; %bb.1:
	s_load_dwordx2 s[14:15], s[0:1], 0x20
	v_mov_b32_e32 v7, 0
	v_lshlrev_b32_e32 v6, 10, v3
	v_lshlrev_b32_e32 v8, 4, v2
	v_mov_b32_e32 v9, v7
	v_lshl_add_u64 v[0:1], v[6:7], 0, v[8:9]
	s_waitcnt lgkmcnt(0)
	v_lshl_add_u64 v[0:1], s[14:15], 0, v[0:1]
	v_add_u32_e32 v5, v6, v8
	s_mov_b64 s[14:15], 0
	s_mov_b64 s[16:17], 0x4000
.LBB125_2:                              ; =>This Inner Loop Header: Depth=1
	global_load_dwordx4 v[6:9], v[0:1], off
	v_add_u32_e32 v4, 0x2000, v4
	v_cmp_le_u32_e32 vcc, s3, v4
	v_lshl_add_u64 v[0:1], v[0:1], 0, s[16:17]
	s_or_b64 s[14:15], vcc, s[14:15]
	s_waitcnt vmcnt(0)
	ds_write_b128 v5, v[6:9]
	v_add_u32_e32 v5, 0x4000, v5
	s_andn2_b64 exec, exec, s[14:15]
	s_cbranch_execnz .LBB125_2
.LBB125_3:
	s_or_b64 exec, exec, s[12:13]
	s_load_dwordx2 s[16:17], s[0:1], 0x38
	s_waitcnt lgkmcnt(0)
	s_barrier
	v_cmp_gt_u32_e32 vcc, s16, v3
	s_and_saveexec_b64 s[12:13], vcc
	s_cbranch_execz .LBB125_20
; %bb.4:
	s_mul_i32 s2, s2, s16
	v_add_lshl_u32 v56, s2, v3, 2
	v_cmp_gt_u32_e32 vcc, s7, v56
	s_and_b64 exec, exec, vcc
	s_cbranch_execz .LBB125_20
; %bb.5:
	s_cmp_lg_u32 s4, 0
	s_cselect_b64 s[2:3], -1, 0
	s_add_i32 s25, s4, -8
	s_add_i32 s26, s7, -1
	s_cmp_lg_u64 s[10:11], 0
	s_cselect_b64 s[18:19], -1, 0
	s_abs_i32 s21, s9
	v_cvt_f32_u32_e32 v0, s8
	v_cvt_f32_u32_e32 v1, s21
	s_mul_i32 s20, s16, s17
	s_lshl_b32 s9, s20, 2
	v_rcp_iflag_f32_e32 v0, v0
	v_rcp_iflag_f32_e32 v1, v1
	s_sub_i32 s20, 0, s8
	s_load_dwordx2 s[12:13], s[0:1], 0x18
	s_load_dwordx2 s[14:15], s[0:1], 0x30
	v_mul_f32_e32 v0, 0x4f7ffffe, v0
	v_mul_f32_e32 v1, 0x4f7ffffe, v1
	v_cvt_u32_f32_e32 v0, v0
	v_cvt_u32_f32_e32 v1, v1
	v_cmp_eq_u32_e64 s[0:1], 63, v2
	s_mov_b64 s[16:17], 0
	v_mul_lo_u32 v3, s20, v0
	s_sub_i32 s20, 0, s21
	v_readfirstlane_b32 s22, v1
	s_mul_i32 s20, s20, s22
	s_mul_hi_u32 s20, s22, s20
	s_add_i32 s22, s22, s20
	s_sub_i32 s20, 1, s21
	s_cmp_lt_u32 s21, 2
	s_cselect_b32 s20, s20, 1
	s_sub_i32 s23, s20, s21
	s_cmp_ge_u32 s20, s21
	s_cselect_b32 s27, s23, s20
	s_lshr_b32 s20, s22, 31
	s_mul_i32 s20, s20, s21
	s_sub_i32 s20, 2, s20
	s_sub_i32 s23, s20, s21
	s_cmp_ge_u32 s20, s21
	s_cselect_b32 s20, s23, s20
	s_sub_i32 s23, s20, s21
	s_cmp_ge_u32 s20, s21
	s_cselect_b32 s28, s23, s20
	s_mul_hi_u32 s20, s22, 3
	s_mul_i32 s20, s20, s21
	s_sub_i32 s20, 3, s20
	s_sub_i32 s22, s20, s21
	s_cmp_ge_u32 s20, s21
	s_cselect_b32 s20, s22, s20
	s_sub_i32 s22, s20, s21
	v_mul_hi_u32 v3, v0, v3
	s_cmp_ge_u32 s20, s21
	v_add_u32_e32 v77, v0, v3
	s_cselect_b32 s29, s22, s20
	v_cndmask_b32_e64 v0, 0, 1, s[2:3]
	v_mov_b32_e32 v59, 0
	s_mul_i32 s27, s27, s8
	s_mul_i32 s28, s28, s8
	;; [unrolled: 1-line block ×4, first 2 shown]
	v_lshlrev_b32_e32 v78, 4, v2
	s_lshl_b32 s6, s6, 1
	v_cmp_ne_u32_e64 s[2:3], 1, v0
	s_branch .LBB125_8
.LBB125_6:                              ;   in Loop: Header=BB125_8 Depth=1
	v_cvt_f32_i32_e32 v2, v2
	v_cvt_f32_i32_e32 v4, v4
	;; [unrolled: 1-line block ×4, first 2 shown]
	v_add_f32_e32 v0, v0, v2
	v_cvt_f32_i32_e32 v2, v10
	v_add_f32_e32 v1, v1, v4
	v_add_f32_e32 v4, v5, v8
	v_cvt_f32_i32_e32 v8, v18
	v_add_f32_e32 v5, v7, v2
	v_cvt_f32_i32_e32 v2, v12
	v_cvt_f32_i32_e32 v7, v15
	v_add_f32_e32 v8, v16, v8
	s_waitcnt vmcnt(15)
	v_cvt_f32_f16_e32 v16, v47
	v_add_f32_e32 v9, v9, v2
	v_cvt_f32_i32_e32 v2, v20
	v_add_f32_e32 v7, v13, v7
	v_add_f32_e32 v0, v0, v16
	s_waitcnt vmcnt(13)
	v_cvt_f32_f16_e32 v16, v45
	v_add_f32_e32 v13, v17, v2
	v_cvt_f32_i32_e32 v2, v30
	v_cvt_f16_f32_e32 v18, v0
	s_waitcnt vmcnt(12)
	v_cvt_f32_f16_e32 v0, v44
	v_add_f32_e32 v3, v3, v6
	v_add_f32_e32 v17, v25, v2
	v_cvt_f32_f16_e32 v2, v46
	v_add_f32_e32 v0, v4, v0
	v_add_u32_e32 v58, s7, v56
	v_cvt_f32_i32_e32 v6, v14
	v_add_f32_e32 v1, v1, v2
	v_add_f32_e32 v2, v3, v16
	v_cvt_f16_f32_e32 v2, v2
	v_cvt_f16_f32_e32 v3, v0
	;; [unrolled: 1-line block ×3, first 2 shown]
	s_waitcnt vmcnt(11)
	v_cvt_f32_f16_e32 v16, v41
	s_waitcnt lgkmcnt(0)
	v_lshl_add_u64 v[0:1], v[56:57], 1, s[14:15]
	v_pack_b32_f16 v3, v2, v3
	v_pack_b32_f16 v2, v18, v4
	global_store_dwordx2 v[0:1], v[2:3], off
	v_add_f32_e32 v0, v5, v16
	v_cvt_f16_f32_e32 v2, v0
	s_waitcnt vmcnt(11)
	v_cvt_f32_f16_e32 v3, v39
	v_lshl_add_u64 v[0:1], v[58:59], 1, s[14:15]
	v_add_f32_e32 v6, v11, v6
	global_store_short v[0:1], v2, off
	v_add_f32_e32 v0, v9, v3
	v_cvt_f16_f32_e32 v2, v0
	s_waitcnt vmcnt(11)
	v_cvt_f32_f16_e32 v3, v37
	v_add_u32_e32 v0, 1, v58
	v_mov_b32_e32 v1, v59
	v_lshl_add_u64 v[0:1], v[0:1], 1, s[14:15]
	global_store_short v[0:1], v2, off
	v_add_f32_e32 v0, v6, v3
	v_cvt_f16_f32_e32 v2, v0
	s_waitcnt vmcnt(11)
	v_cvt_f32_f16_e32 v3, v36
	v_add_u32_e32 v0, 2, v58
	v_mov_b32_e32 v1, v59
	v_lshl_add_u64 v[0:1], v[0:1], 1, s[14:15]
	global_store_short v[0:1], v2, off
	v_add_f32_e32 v0, v7, v3
	v_cvt_f16_f32_e32 v2, v0
	s_waitcnt vmcnt(11)
	v_cvt_f32_f16_e32 v3, v43
	s_waitcnt vmcnt(10)
	v_cvt_f32_f16_e32 v4, v42
	v_add_u32_e32 v0, 3, v58
	v_mov_b32_e32 v1, v59
	v_lshl_add_u64 v[0:1], v[0:1], 1, s[14:15]
	global_store_short v[0:1], v2, off
	v_add_f32_e32 v0, v8, v3
	v_cvt_f16_f32_e32 v2, v0
	v_add_f32_e32 v0, v13, v4
	v_cvt_f32_i32_e32 v10, v22
	v_cvt_f16_f32_e32 v3, v0
	s_waitcnt vmcnt(10)
	v_cvt_f32_f16_e32 v4, v40
	v_add_u32_e32 v58, s7, v58
	v_add_f32_e32 v10, v19, v10
	v_lshl_add_u64 v[0:1], v[58:59], 1, s[14:15]
	v_pack_b32_f16 v2, v2, v3
	v_cvt_f32_i32_e32 v11, v23
	global_store_dword v[0:1], v2, off
	v_add_f32_e32 v0, v10, v4
	v_cvt_f16_f32_e32 v2, v0
	s_waitcnt vmcnt(10)
	v_cvt_f32_f16_e32 v3, v38
	v_add_u32_e32 v0, 2, v58
	v_mov_b32_e32 v1, v59
	v_add_f32_e32 v11, v21, v11
	v_lshl_add_u64 v[0:1], v[0:1], 1, s[14:15]
	v_cvt_f32_i32_e32 v12, v31
	global_store_short v[0:1], v2, off
	v_add_f32_e32 v0, v11, v3
	v_cvt_f16_f32_e32 v2, v0
	s_waitcnt vmcnt(10)
	v_cvt_f32_f16_e32 v3, v35
	v_add_u32_e32 v0, 3, v58
	v_mov_b32_e32 v1, v59
	v_add_f32_e32 v12, v24, v12
	v_lshl_add_u64 v[0:1], v[0:1], 1, s[14:15]
	global_store_short v[0:1], v2, off
	v_add_f32_e32 v0, v12, v3
	v_cvt_f16_f32_e32 v2, v0
	s_waitcnt vmcnt(10)
	v_cvt_f32_f16_e32 v3, v34
	v_add_u32_e32 v58, s7, v58
	v_lshl_add_u64 v[0:1], v[58:59], 1, s[14:15]
	v_cvt_f32_i32_e32 v14, v29
	global_store_short v[0:1], v2, off
	v_add_f32_e32 v0, v17, v3
	v_cvt_f16_f32_e32 v2, v0
	s_waitcnt vmcnt(10)
	v_cvt_f32_f16_e32 v3, v33
	v_add_u32_e32 v0, 1, v58
	v_mov_b32_e32 v1, v59
	v_cvt_f32_i32_e32 v15, v28
	v_add_f32_e32 v14, v26, v14
	v_lshl_add_u64 v[0:1], v[0:1], 1, s[14:15]
	global_store_short v[0:1], v2, off
	v_add_f32_e32 v0, v14, v3
	s_waitcnt vmcnt(10)
	v_cvt_f32_f16_e32 v3, v32
	v_add_f32_e32 v15, v27, v15
	v_cvt_f16_f32_e32 v2, v0
	v_add_u32_e32 v0, 2, v58
	v_add_f32_e32 v3, v15, v3
	v_cvt_f16_f32_e32 v3, v3
	v_mov_b32_e32 v1, v59
	v_lshl_add_u64 v[0:1], v[0:1], 1, s[14:15]
	v_add_u32_e32 v58, 3, v58
	global_store_short v[0:1], v2, off
	v_lshl_add_u64 v[0:1], v[58:59], 1, s[14:15]
	global_store_short v[0:1], v3, off
.LBB125_7:                              ;   in Loop: Header=BB125_8 Depth=1
	s_or_b64 exec, exec, s[20:21]
	v_add_u32_e32 v56, s9, v56
	v_cmp_le_u32_e32 vcc, s7, v56
	s_or_b64 s[16:17], vcc, s[16:17]
	s_andn2_b64 exec, exec, s[16:17]
	s_cbranch_execz .LBB125_20
.LBB125_8:                              ; =>This Loop Header: Depth=1
                                        ;     Child Loop BB125_12 Depth 2
	s_mov_b32 s31, 0
	s_and_b64 vcc, exec, s[2:3]
	v_mov_b32_e32 v93, v59
	v_mov_b32_e32 v92, v59
	;; [unrolled: 1-line block ×16, first 2 shown]
	s_cbranch_vccnz .LBB125_15
; %bb.9:                                ;   in Loop: Header=BB125_8 Depth=1
	v_min_u32_e32 v0, s26, v56
	v_mul_lo_u32 v58, v0, s5
	v_or_b32_e32 v0, 1, v56
	v_or_b32_e32 v2, 2, v56
	;; [unrolled: 1-line block ×3, first 2 shown]
	v_min_u32_e32 v0, s26, v0
	v_min_u32_e32 v2, s26, v2
	;; [unrolled: 1-line block ×3, first 2 shown]
	v_mul_lo_u32 v0, v0, s5
	v_mov_b32_e32 v1, v59
	v_mul_lo_u32 v2, v2, s5
	v_mov_b32_e32 v3, v59
	;; [unrolled: 2-line block ×3, first 2 shown]
	v_mov_b32_e32 v85, 0
	v_lshlrev_b64 v[60:61], 1, v[58:59]
	v_lshlrev_b64 v[62:63], 1, v[0:1]
	;; [unrolled: 1-line block ×4, first 2 shown]
	v_mov_b32_e32 v94, v78
	v_mov_b32_e32 v84, 0
	;; [unrolled: 1-line block ×16, first 2 shown]
	s_branch .LBB125_12
.LBB125_10:                             ;   in Loop: Header=BB125_12 Depth=2
	s_or_b64 exec, exec, s[22:23]
.LBB125_11:                             ;   in Loop: Header=BB125_12 Depth=2
	s_or_b64 exec, exec, s[20:21]
	s_waitcnt vmcnt(7) lgkmcnt(4)
	;;#ASMSTART
	v_dot2c_f32_f16 v93, v52, v40
	;;#ASMEND
	s_waitcnt vmcnt(6)
	;;#ASMSTART
	v_dot2c_f32_f16 v92, v52, v36
	;;#ASMEND
	s_waitcnt vmcnt(5)
	;;#ASMSTART
	v_dot2c_f32_f16 v91, v52, v28
	;;#ASMEND
	s_waitcnt vmcnt(4)
	;;#ASMSTART
	v_dot2c_f32_f16 v90, v52, v24
	;;#ASMEND
	s_waitcnt lgkmcnt(3)
	;;#ASMSTART
	v_dot2c_f32_f16 v89, v48, v40
	;;#ASMEND
	;;#ASMSTART
	v_dot2c_f32_f16 v88, v48, v36
	;;#ASMEND
	;;#ASMSTART
	v_dot2c_f32_f16 v87, v48, v28
	;;#ASMEND
	;;#ASMSTART
	v_dot2c_f32_f16 v86, v48, v24
	;;#ASMEND
	s_waitcnt lgkmcnt(2)
	;;#ASMSTART
	v_dot2c_f32_f16 v85, v72, v40
	;;#ASMEND
	;;#ASMSTART
	v_dot2c_f32_f16 v84, v72, v36
	;;#ASMEND
	;;#ASMSTART
	v_dot2c_f32_f16 v83, v72, v28
	;;#ASMEND
	;; [unrolled: 13-line block ×3, first 2 shown]
	;;#ASMSTART
	v_dot2c_f32_f16 v57, v44, v24
	;;#ASMEND
	;;#ASMSTART
	v_dot2c_f32_f16 v93, v53, v41
	;;#ASMEND
	;;#ASMSTART
	v_dot2c_f32_f16 v92, v53, v37
	;;#ASMEND
	;;#ASMSTART
	v_dot2c_f32_f16 v91, v53, v29
	;;#ASMEND
	;;#ASMSTART
	v_dot2c_f32_f16 v90, v53, v25
	;;#ASMEND
	;;#ASMSTART
	v_dot2c_f32_f16 v89, v49, v41
	;;#ASMEND
	;;#ASMSTART
	v_dot2c_f32_f16 v88, v49, v37
	;;#ASMEND
	;;#ASMSTART
	v_dot2c_f32_f16 v87, v49, v29
	;;#ASMEND
	;;#ASMSTART
	v_dot2c_f32_f16 v86, v49, v25
	;;#ASMEND
	;;#ASMSTART
	v_dot2c_f32_f16 v85, v73, v41
	;;#ASMEND
	;;#ASMSTART
	v_dot2c_f32_f16 v84, v73, v37
	;;#ASMEND
	;;#ASMSTART
	v_dot2c_f32_f16 v83, v73, v29
	;;#ASMEND
	;;#ASMSTART
	v_dot2c_f32_f16 v82, v73, v25
	;;#ASMEND
	s_nop 0
	;;#ASMSTART
	v_dot2c_f32_f16 v81, v45, v41
	;;#ASMEND
	;;#ASMSTART
	v_dot2c_f32_f16 v80, v45, v37
	;;#ASMEND
	;;#ASMSTART
	v_dot2c_f32_f16 v79, v45, v29
	;;#ASMEND
	;;#ASMSTART
	v_dot2c_f32_f16 v57, v45, v25
	;;#ASMEND
	;;#ASMSTART
	v_dot2c_f32_f16 v93, v54, v42
	;;#ASMEND
	;;#ASMSTART
	v_dot2c_f32_f16 v92, v54, v38
	;;#ASMEND
	;;#ASMSTART
	v_dot2c_f32_f16 v91, v54, v30
	;;#ASMEND
	;;#ASMSTART
	v_dot2c_f32_f16 v90, v54, v26
	;;#ASMEND
	;;#ASMSTART
	v_dot2c_f32_f16 v89, v50, v42
	;;#ASMEND
	;;#ASMSTART
	v_dot2c_f32_f16 v88, v50, v38
	;;#ASMEND
	;;#ASMSTART
	v_dot2c_f32_f16 v87, v50, v30
	;;#ASMEND
	;;#ASMSTART
	v_dot2c_f32_f16 v86, v50, v26
	;;#ASMEND
	;;#ASMSTART
	v_dot2c_f32_f16 v85, v74, v42
	;;#ASMEND
	;;#ASMSTART
	v_dot2c_f32_f16 v84, v74, v38
	;;#ASMEND
	;;#ASMSTART
	v_dot2c_f32_f16 v83, v74, v30
	;;#ASMEND
	;;#ASMSTART
	v_dot2c_f32_f16 v82, v74, v26
	;;#ASMEND
	s_nop 0
	;;#ASMSTART
	v_dot2c_f32_f16 v81, v46, v42
	;;#ASMEND
	;;#ASMSTART
	v_dot2c_f32_f16 v80, v46, v38
	;;#ASMEND
	;;#ASMSTART
	v_dot2c_f32_f16 v79, v46, v30
	;;#ASMEND
	;; [unrolled: 49-line block ×3, first 2 shown]
	;;#ASMSTART
	v_dot2c_f32_f16 v57, v47, v27
	;;#ASMEND
	s_waitcnt vmcnt(3)
	;;#ASMSTART
	v_dot2c_f32_f16 v93, v32, v12
	;;#ASMEND
	s_waitcnt vmcnt(2)
	;; [unrolled: 4-line block ×4, first 2 shown]
	;;#ASMSTART
	v_dot2c_f32_f16 v90, v32, v0
	;;#ASMEND
	;;#ASMSTART
	v_dot2c_f32_f16 v89, v20, v12
	;;#ASMEND
	;; [unrolled: 3-line block ×16, first 2 shown]
	s_nop 0
	;;#ASMSTART
	v_dot2c_f32_f16 v90, v33, v1
	;;#ASMEND
	;;#ASMSTART
	v_dot2c_f32_f16 v89, v21, v13
	;;#ASMEND
	;; [unrolled: 3-line block ×13, first 2 shown]
	s_addk_i32 s31, 0x400
	;;#ASMSTART
	v_dot2c_f32_f16 v93, v34, v14
	;;#ASMEND
	;;#ASMSTART
	v_dot2c_f32_f16 v92, v34, v10
	;;#ASMEND
	;; [unrolled: 3-line block ×16, first 2 shown]
	s_cmp_ge_u32 s31, s4
	v_add_u32_e32 v94, 0x800, v94
	;;#ASMSTART
	v_dot2c_f32_f16 v93, v35, v15
	;;#ASMEND
	;;#ASMSTART
	v_dot2c_f32_f16 v92, v35, v11
	;;#ASMEND
	;; [unrolled: 3-line block ×16, first 2 shown]
	s_cbranch_scc1 .LBB125_15
.LBB125_12:                             ;   Parent Loop BB125_8 Depth=1
                                        ; =>  This Inner Loop Header: Depth=2
	v_add_u32_e32 v16, s31, v76
	v_min_u32_e32 v58, s25, v16
	s_waitcnt lgkmcnt(0)
	v_lshl_add_u64 v[0:1], v[58:59], 1, s[12:13]
	v_lshl_add_u64 v[2:3], v[0:1], 0, v[60:61]
	v_add_u32_e32 v95, 0x200, v16
	v_lshl_add_u64 v[4:5], v[0:1], 0, v[62:63]
	global_load_dwordx4 v[40:43], v[2:3], off nt
	global_load_dwordx4 v[36:39], v[4:5], off nt
	v_lshl_add_u64 v[2:3], v[0:1], 0, v[64:65]
	v_lshl_add_u64 v[0:1], v[0:1], 0, v[66:67]
	v_min_u32_e32 v58, s25, v95
	global_load_dwordx4 v[28:31], v[2:3], off nt
	global_load_dwordx4 v[24:27], v[0:1], off nt
	v_lshl_add_u64 v[0:1], v[58:59], 1, s[12:13]
	v_lshl_add_u64 v[2:3], v[0:1], 0, v[60:61]
	;; [unrolled: 1-line block ×3, first 2 shown]
	global_load_dwordx4 v[12:15], v[2:3], off nt
	global_load_dwordx4 v[8:11], v[4:5], off nt
	v_lshl_add_u64 v[2:3], v[0:1], 0, v[64:65]
	v_lshl_add_u64 v[0:1], v[0:1], 0, v[66:67]
	global_load_dwordx4 v[4:7], v[2:3], off nt
	s_nop 0
	global_load_dwordx4 v[0:3], v[0:1], off nt
	v_cmp_gt_u32_e32 vcc, s4, v16
	v_mov_b32_e32 v52, 0
	v_mov_b32_e32 v53, 0
	;; [unrolled: 1-line block ×32, first 2 shown]
	s_and_saveexec_b64 s[20:21], vcc
	s_cbranch_execz .LBB125_11
; %bb.13:                               ;   in Loop: Header=BB125_12 Depth=2
	v_add_u32_e32 v58, s6, v94
	v_add_u32_e32 v96, s24, v94
	ds_read_b128 v[52:55], v94
	ds_read_b128 v[48:51], v58
	ds_read2_b32 v[72:73], v96 offset1:1
	v_add_u32_e32 v97, s30, v94
	ds_read2_b32 v[74:75], v96 offset0:2 offset1:3
	ds_read_b128 v[44:47], v97
	v_cmp_gt_u32_e32 vcc, s4, v95
	v_mov_b32_e32 v19, 0
	v_mov_b32_e32 v18, 0
	;; [unrolled: 1-line block ×16, first 2 shown]
	s_and_saveexec_b64 s[22:23], vcc
	s_cbranch_execz .LBB125_10
; %bb.14:                               ;   in Loop: Header=BB125_12 Depth=2
	v_add_u32_e32 v16, 0x400, v96
	v_add_u32_e32 v17, 0x408, v96
	ds_read_b128 v[32:35], v94 offset:1024
	ds_read2_b32 v[70:71], v16 offset1:1
	ds_read2_b32 v[68:69], v17 offset1:1
	ds_read_b128 v[20:23], v58 offset:1024
	ds_read_b128 v[16:19], v97 offset:1024
	s_branch .LBB125_10
.LBB125_15:                             ;   in Loop: Header=BB125_8 Depth=1
	; sched_barrier mask(0x00000000)
	v_cvt_i32_f32_e32 v0, v93
	v_cvt_i32_f32_e32 v1, v92
	;; [unrolled: 1-line block ×4, first 2 shown]
	v_cvt_f32_i32_dpp v0, v0 row_shr:8 row_mask:0xf bank_mask:0xf bound_ctrl:1
	v_cvt_f32_i32_dpp v1, v1 row_shr:8 row_mask:0xf bank_mask:0xf bound_ctrl:1
	;; [unrolled: 1-line block ×4, first 2 shown]
	v_add_f32_e32 v0, v93, v0
	v_cvt_i32_f32_e32 v4, v0
	v_add_f32_e32 v1, v92, v1
	v_cvt_i32_f32_e32 v5, v1
	v_add_f32_e32 v2, v91, v2
	v_cvt_f32_i32_dpp v4, v4 row_shr:4 row_mask:0xf bank_mask:0xf bound_ctrl:1
	v_cvt_i32_f32_e32 v6, v2
	v_cvt_f32_i32_dpp v5, v5 row_shr:4 row_mask:0xf bank_mask:0xf bound_ctrl:1
	v_add_f32_e32 v3, v90, v3
	v_add_f32_e32 v0, v0, v4
	v_cvt_i32_f32_e32 v4, v0
	v_add_f32_e32 v1, v1, v5
	v_cvt_i32_f32_e32 v5, v1
	v_cvt_f32_i32_dpp v6, v6 row_shr:4 row_mask:0xf bank_mask:0xf bound_ctrl:1
	v_cvt_f32_i32_dpp v4, v4 row_shr:2 row_mask:0xf bank_mask:0xf bound_ctrl:1
	v_cvt_i32_f32_e32 v7, v3
	v_cvt_f32_i32_dpp v5, v5 row_shr:2 row_mask:0xf bank_mask:0xf bound_ctrl:1
	v_add_f32_e32 v2, v2, v6
	v_add_f32_e32 v0, v0, v4
	v_cvt_i32_f32_e32 v4, v0
	v_add_f32_e32 v1, v1, v5
	v_cvt_i32_f32_e32 v5, v1
	v_cvt_i32_f32_e32 v6, v2
	v_cvt_f32_i32_dpp v4, v4 row_shr:1 row_mask:0xf bank_mask:0xf bound_ctrl:1
	v_cvt_f32_i32_dpp v7, v7 row_shr:4 row_mask:0xf bank_mask:0xf bound_ctrl:1
	v_cvt_f32_i32_dpp v5, v5 row_shr:1 row_mask:0xf bank_mask:0xf bound_ctrl:1
	v_cvt_f32_i32_dpp v6, v6 row_shr:2 row_mask:0xf bank_mask:0xf bound_ctrl:1
	v_add_f32_e32 v0, v0, v4
	v_cvt_i32_f32_e32 v4, v0
	v_add_f32_e32 v1, v1, v5
	v_cvt_i32_f32_e32 v5, v1
	v_add_f32_e32 v6, v2, v6
	v_cvt_f32_i32_dpp v4, v4 row_bcast:15 row_mask:0xf bank_mask:0xf bound_ctrl:1
	v_cvt_i32_f32_e32 v2, v6
	v_cvt_f32_i32_dpp v5, v5 row_bcast:15 row_mask:0xf bank_mask:0xf bound_ctrl:1
	v_add_f32_e32 v3, v3, v7
	v_add_f32_e32 v0, v0, v4
	v_cvt_i32_f32_e32 v4, v0
	v_cvt_f32_i32_dpp v7, v2 row_shr:1 row_mask:0xf bank_mask:0xf bound_ctrl:1
	v_add_f32_e32 v1, v1, v5
	v_cvt_i32_f32_e32 v5, v1
	v_mov_b32_dpp v2, v4 row_bcast:31 row_mask:0xf bank_mask:0xf bound_ctrl:1
	v_cvt_i32_f32_e32 v4, v3
	v_add_f32_e32 v6, v6, v7
	v_cvt_i32_f32_e32 v7, v89
	v_cvt_i32_f32_e32 v8, v6
	v_cvt_f32_i32_dpp v9, v4 row_shr:2 row_mask:0xf bank_mask:0xf bound_ctrl:1
	v_mov_b32_dpp v4, v5 row_bcast:31 row_mask:0xf bank_mask:0xf bound_ctrl:1
	v_cvt_f32_i32_dpp v5, v7 row_shr:8 row_mask:0xf bank_mask:0xf bound_ctrl:1
	v_cvt_f32_i32_dpp v7, v8 row_bcast:15 row_mask:0xf bank_mask:0xf bound_ctrl:1
	v_add_f32_e32 v8, v3, v9
	v_cvt_i32_f32_e32 v9, v8
	v_add_f32_e32 v5, v89, v5
	v_cvt_i32_f32_e32 v10, v5
	v_add_f32_e32 v3, v6, v7
	v_cvt_f32_i32_dpp v6, v9 row_shr:1 row_mask:0xf bank_mask:0xf bound_ctrl:1
	v_cvt_i32_f32_e32 v7, v88
	v_cvt_f32_i32_dpp v9, v10 row_shr:4 row_mask:0xf bank_mask:0xf bound_ctrl:1
	v_cvt_i32_f32_e32 v10, v3
	v_add_f32_e32 v8, v8, v6
	v_cvt_f32_i32_dpp v6, v7 row_shr:8 row_mask:0xf bank_mask:0xf bound_ctrl:1
	v_add_f32_e32 v5, v5, v9
	v_cvt_i32_f32_e32 v7, v5
	v_cvt_i32_f32_e32 v9, v8
	v_add_f32_e32 v11, v88, v6
	v_cvt_i32_f32_e32 v12, v11
	v_cvt_f32_i32_dpp v7, v7 row_shr:2 row_mask:0xf bank_mask:0xf bound_ctrl:1
	v_mov_b32_dpp v6, v10 row_bcast:31 row_mask:0xf bank_mask:0xf bound_ctrl:1
	v_cvt_f32_i32_dpp v9, v9 row_bcast:15 row_mask:0xf bank_mask:0xf bound_ctrl:1
	v_cvt_f32_i32_dpp v10, v12 row_shr:4 row_mask:0xf bank_mask:0xf bound_ctrl:1
	v_add_f32_e32 v7, v5, v7
	v_cvt_i32_f32_e32 v12, v7
	v_add_f32_e32 v5, v8, v9
	v_add_f32_e32 v8, v11, v10
	v_cvt_i32_f32_e32 v9, v8
	v_cvt_f32_i32_dpp v10, v12 row_shr:1 row_mask:0xf bank_mask:0xf bound_ctrl:1
	v_cvt_i32_f32_e32 v11, v87
	v_cvt_i32_f32_e32 v12, v5
	v_cvt_f32_i32_dpp v9, v9 row_shr:2 row_mask:0xf bank_mask:0xf bound_ctrl:1
	v_add_f32_e32 v7, v7, v10
	v_cvt_f32_i32_dpp v10, v11 row_shr:8 row_mask:0xf bank_mask:0xf bound_ctrl:1
	v_cvt_i32_f32_e32 v11, v7
	v_add_f32_e32 v9, v8, v9
	v_cvt_i32_f32_e32 v8, v9
	v_add_f32_e32 v10, v87, v10
	v_cvt_i32_f32_e32 v13, v10
	v_cvt_f32_i32_dpp v11, v11 row_bcast:15 row_mask:0xf bank_mask:0xf bound_ctrl:1
	v_cvt_f32_i32_dpp v14, v8 row_shr:1 row_mask:0xf bank_mask:0xf bound_ctrl:1
	v_mov_b32_dpp v8, v12 row_bcast:31 row_mask:0xf bank_mask:0xf bound_ctrl:1
	v_cvt_f32_i32_dpp v12, v13 row_shr:4 row_mask:0xf bank_mask:0xf bound_ctrl:1
	v_add_f32_e32 v7, v7, v11
	v_cvt_i32_f32_e32 v11, v86
	v_add_f32_e32 v9, v9, v14
	v_add_f32_e32 v10, v10, v12
	v_cvt_i32_f32_e32 v12, v10
	v_cvt_f32_i32_dpp v11, v11 row_shr:8 row_mask:0xf bank_mask:0xf bound_ctrl:1
	v_cvt_i32_f32_e32 v14, v7
	v_cvt_i32_f32_e32 v13, v9
	v_cvt_f32_i32_dpp v12, v12 row_shr:2 row_mask:0xf bank_mask:0xf bound_ctrl:1
	v_add_f32_e32 v11, v86, v11
	v_cvt_i32_f32_e32 v15, v11
	v_cvt_f32_i32_dpp v13, v13 row_bcast:15 row_mask:0xf bank_mask:0xf bound_ctrl:1
	v_add_f32_e32 v12, v10, v12
	v_mov_b32_dpp v10, v14 row_bcast:31 row_mask:0xf bank_mask:0xf bound_ctrl:1
	v_cvt_f32_i32_dpp v14, v15 row_shr:4 row_mask:0xf bank_mask:0xf bound_ctrl:1
	v_cvt_i32_f32_e32 v16, v12
	v_cvt_i32_f32_e32 v15, v85
	v_add_f32_e32 v9, v9, v13
	v_add_f32_e32 v11, v11, v14
	v_cvt_f32_i32_dpp v13, v16 row_shr:1 row_mask:0xf bank_mask:0xf bound_ctrl:1
	v_cvt_i32_f32_e32 v14, v11
	v_cvt_f32_i32_dpp v15, v15 row_shr:8 row_mask:0xf bank_mask:0xf bound_ctrl:1
	v_cvt_i32_f32_e32 v16, v9
	v_add_f32_e32 v13, v12, v13
	v_cvt_f32_i32_dpp v12, v14 row_shr:2 row_mask:0xf bank_mask:0xf bound_ctrl:1
	v_add_f32_e32 v15, v85, v15
	v_cvt_i32_f32_e32 v14, v13
	v_cvt_i32_f32_e32 v17, v15
	v_add_f32_e32 v18, v11, v12
	v_cvt_i32_f32_e32 v11, v18
	v_cvt_f32_i32_dpp v14, v14 row_bcast:15 row_mask:0xf bank_mask:0xf bound_ctrl:1
	v_cvt_f32_i32_dpp v17, v17 row_shr:4 row_mask:0xf bank_mask:0xf bound_ctrl:1
	v_mov_b32_dpp v12, v16 row_bcast:31 row_mask:0xf bank_mask:0xf bound_ctrl:1
	v_cvt_f32_i32_dpp v16, v11 row_shr:1 row_mask:0xf bank_mask:0xf bound_ctrl:1
	v_add_f32_e32 v11, v13, v14
	v_add_f32_e32 v13, v15, v17
	v_cvt_i32_f32_e32 v14, v13
	v_add_f32_e32 v15, v18, v16
	v_cvt_i32_f32_e32 v16, v84
	v_cvt_i32_f32_e32 v17, v15
	v_cvt_f32_i32_dpp v14, v14 row_shr:2 row_mask:0xf bank_mask:0xf bound_ctrl:1
	v_cvt_i32_f32_e32 v18, v11
	v_cvt_f32_i32_dpp v16, v16 row_shr:8 row_mask:0xf bank_mask:0xf bound_ctrl:1
	v_cvt_f32_i32_dpp v17, v17 row_bcast:15 row_mask:0xf bank_mask:0xf bound_ctrl:1
	v_add_f32_e32 v19, v13, v14
	v_cvt_i32_f32_e32 v13, v19
	v_add_f32_e32 v16, v84, v16
	v_cvt_i32_f32_e32 v20, v16
	v_mov_b32_dpp v14, v18 row_bcast:31 row_mask:0xf bank_mask:0xf bound_ctrl:1
	v_cvt_f32_i32_dpp v18, v13 row_shr:1 row_mask:0xf bank_mask:0xf bound_ctrl:1
	v_add_f32_e32 v13, v15, v17
	v_cvt_f32_i32_dpp v15, v20 row_shr:4 row_mask:0xf bank_mask:0xf bound_ctrl:1
	v_cvt_i32_f32_e32 v17, v13
	v_add_f32_e32 v18, v19, v18
	v_cvt_i32_f32_e32 v19, v83
	v_add_f32_e32 v16, v16, v15
	v_cvt_i32_f32_e32 v20, v16
	v_cvt_i32_f32_e32 v21, v18
	v_cvt_f32_i32_dpp v19, v19 row_shr:8 row_mask:0xf bank_mask:0xf bound_ctrl:1
	v_mov_b32_dpp v15, v17 row_bcast:31 row_mask:0xf bank_mask:0xf bound_ctrl:1
	v_cvt_f32_i32_dpp v17, v20 row_shr:2 row_mask:0xf bank_mask:0xf bound_ctrl:1
	v_cvt_f32_i32_dpp v20, v21 row_bcast:15 row_mask:0xf bank_mask:0xf bound_ctrl:1
	v_add_f32_e32 v19, v83, v19
	v_cvt_i32_f32_e32 v21, v19
	v_cvt_i32_f32_e32 v22, v82
	v_add_f32_e32 v17, v16, v17
	v_add_f32_e32 v16, v18, v20
	v_cvt_f32_i32_dpp v21, v21 row_shr:4 row_mask:0xf bank_mask:0xf bound_ctrl:1
	v_cvt_f32_i32_dpp v18, v22 row_shr:8 row_mask:0xf bank_mask:0xf bound_ctrl:1
	v_cvt_i32_f32_e32 v23, v17
	v_add_f32_e32 v19, v19, v21
	v_cvt_i32_f32_e32 v21, v19
	v_add_f32_e32 v18, v82, v18
	v_cvt_f32_i32_dpp v20, v23 row_shr:1 row_mask:0xf bank_mask:0xf bound_ctrl:1
	v_cvt_i32_f32_e32 v22, v18
	v_cvt_f32_i32_dpp v21, v21 row_shr:2 row_mask:0xf bank_mask:0xf bound_ctrl:1
	v_cvt_i32_f32_e32 v23, v16
	v_add_f32_e32 v17, v17, v20
	v_cvt_f32_i32_dpp v20, v22 row_shr:4 row_mask:0xf bank_mask:0xf bound_ctrl:1
	v_add_f32_e32 v19, v19, v21
	v_cvt_i32_f32_e32 v21, v19
	v_cvt_i32_f32_e32 v22, v17
	v_add_f32_e32 v20, v18, v20
	v_cvt_i32_f32_e32 v24, v20
	v_cvt_f32_i32_dpp v21, v21 row_shr:1 row_mask:0xf bank_mask:0xf bound_ctrl:1
	v_mov_b32_dpp v18, v23 row_bcast:31 row_mask:0xf bank_mask:0xf bound_ctrl:1
	v_cvt_f32_i32_dpp v22, v22 row_bcast:15 row_mask:0xf bank_mask:0xf bound_ctrl:1
	v_cvt_f32_i32_dpp v23, v24 row_shr:2 row_mask:0xf bank_mask:0xf bound_ctrl:1
	v_add_f32_e32 v19, v19, v21
	v_cvt_i32_f32_e32 v21, v81
	v_add_f32_e32 v17, v17, v22
	v_add_f32_e32 v20, v20, v23
	v_cvt_i32_f32_e32 v22, v20
	v_cvt_f32_i32_dpp v21, v21 row_shr:8 row_mask:0xf bank_mask:0xf bound_ctrl:1
	v_cvt_i32_f32_e32 v24, v17
	v_cvt_i32_f32_e32 v23, v19
	v_cvt_f32_i32_dpp v22, v22 row_shr:1 row_mask:0xf bank_mask:0xf bound_ctrl:1
	v_add_f32_e32 v21, v81, v21
	v_cvt_i32_f32_e32 v25, v21
	v_cvt_f32_i32_dpp v23, v23 row_bcast:15 row_mask:0xf bank_mask:0xf bound_ctrl:1
	v_add_f32_e32 v22, v20, v22
	v_mov_b32_dpp v20, v24 row_bcast:31 row_mask:0xf bank_mask:0xf bound_ctrl:1
	v_cvt_f32_i32_dpp v24, v25 row_shr:4 row_mask:0xf bank_mask:0xf bound_ctrl:1
	v_cvt_i32_f32_e32 v26, v22
	v_cvt_i32_f32_e32 v25, v80
	v_add_f32_e32 v19, v19, v23
	v_add_f32_e32 v24, v21, v24
	v_cvt_f32_i32_dpp v23, v26 row_bcast:15 row_mask:0xf bank_mask:0xf bound_ctrl:1
	v_cvt_i32_f32_e32 v26, v24
	v_cvt_f32_i32_dpp v25, v25 row_shr:8 row_mask:0xf bank_mask:0xf bound_ctrl:1
	v_cvt_i32_f32_e32 v27, v19
	v_add_f32_e32 v21, v22, v23
	v_cvt_f32_i32_dpp v22, v26 row_shr:2 row_mask:0xf bank_mask:0xf bound_ctrl:1
	v_add_f32_e32 v25, v80, v25
	v_cvt_i32_f32_e32 v26, v25
	v_cvt_i32_f32_e32 v23, v21
	v_add_f32_e32 v24, v24, v22
	v_cvt_i32_f32_e32 v28, v24
	v_cvt_f32_i32_dpp v26, v26 row_shr:4 row_mask:0xf bank_mask:0xf bound_ctrl:1
	v_mov_b32_dpp v22, v27 row_bcast:31 row_mask:0xf bank_mask:0xf bound_ctrl:1
	v_mov_b32_dpp v23, v23 row_bcast:31 row_mask:0xf bank_mask:0xf bound_ctrl:1
	v_cvt_f32_i32_dpp v27, v28 row_shr:1 row_mask:0xf bank_mask:0xf bound_ctrl:1
	v_cvt_i32_f32_e32 v28, v79
	v_add_f32_e32 v25, v25, v26
	v_cvt_i32_f32_e32 v26, v57
	v_cvt_i32_f32_e32 v29, v25
	v_cvt_f32_i32_dpp v28, v28 row_shr:8 row_mask:0xf bank_mask:0xf bound_ctrl:1
	v_add_f32_e32 v24, v24, v27
	v_cvt_f32_i32_dpp v26, v26 row_shr:8 row_mask:0xf bank_mask:0xf bound_ctrl:1
	v_cvt_f32_i32_dpp v27, v29 row_shr:2 row_mask:0xf bank_mask:0xf bound_ctrl:1
	v_add_f32_e32 v28, v79, v28
	v_cvt_i32_f32_e32 v29, v28
	v_add_f32_e32 v26, v57, v26
	v_cvt_i32_f32_e32 v30, v26
	v_add_f32_e32 v25, v25, v27
	v_cvt_f32_i32_dpp v29, v29 row_shr:4 row_mask:0xf bank_mask:0xf bound_ctrl:1
	v_cvt_i32_f32_e32 v31, v24
	v_cvt_f32_i32_dpp v27, v30 row_shr:4 row_mask:0xf bank_mask:0xf bound_ctrl:1
	v_cvt_i32_f32_e32 v30, v25
	v_add_f32_e32 v28, v28, v29
	v_cvt_i32_f32_e32 v29, v28
	v_add_f32_e32 v26, v26, v27
	v_cvt_i32_f32_e32 v27, v26
	v_cvt_f32_i32_dpp v30, v30 row_shr:1 row_mask:0xf bank_mask:0xf bound_ctrl:1
	v_cvt_f32_i32_dpp v29, v29 row_shr:2 row_mask:0xf bank_mask:0xf bound_ctrl:1
	v_cvt_f32_i32_dpp v31, v31 row_bcast:15 row_mask:0xf bank_mask:0xf bound_ctrl:1
	v_cvt_f32_i32_dpp v27, v27 row_shr:2 row_mask:0xf bank_mask:0xf bound_ctrl:1
	v_add_f32_e32 v25, v25, v30
	v_add_f32_e32 v28, v28, v29
	v_cvt_i32_f32_e32 v29, v28
	v_add_f32_e32 v26, v26, v27
	v_cvt_i32_f32_e32 v27, v26
	v_cvt_i32_f32_e32 v30, v25
	v_cvt_f32_i32_dpp v29, v29 row_shr:1 row_mask:0xf bank_mask:0xf bound_ctrl:1
	v_add_f32_e32 v24, v24, v31
	v_cvt_f32_i32_dpp v27, v27 row_shr:1 row_mask:0xf bank_mask:0xf bound_ctrl:1
	v_cvt_f32_i32_dpp v30, v30 row_bcast:15 row_mask:0xf bank_mask:0xf bound_ctrl:1
	v_add_f32_e32 v28, v28, v29
	v_cvt_i32_f32_e32 v29, v28
	v_add_f32_e32 v27, v26, v27
	v_cvt_i32_f32_e32 v26, v27
	v_add_f32_e32 v25, v25, v30
	v_cvt_f32_i32_dpp v29, v29 row_bcast:15 row_mask:0xf bank_mask:0xf bound_ctrl:1
	v_cvt_i32_f32_e32 v31, v24
	v_cvt_f32_i32_dpp v30, v26 row_bcast:15 row_mask:0xf bank_mask:0xf bound_ctrl:1
	v_cvt_i32_f32_e32 v32, v25
	v_add_f32_e32 v26, v28, v29
	v_cvt_i32_f32_e32 v28, v26
	v_add_f32_e32 v27, v27, v30
	v_cvt_i32_f32_e32 v33, v27
	v_mov_b32_dpp v31, v31 row_bcast:31 row_mask:0xf bank_mask:0xf bound_ctrl:1
	v_mov_b32_dpp v30, v32 row_bcast:31 row_mask:0xf bank_mask:0xf bound_ctrl:1
	;; [unrolled: 1-line block ×4, first 2 shown]
	s_and_saveexec_b64 s[20:21], s[0:1]
	s_cbranch_execz .LBB125_7
; %bb.16:                               ;   in Loop: Header=BB125_8 Depth=1
	s_and_b64 vcc, exec, s[18:19]
	s_cbranch_vccz .LBB125_18
; %bb.17:                               ;   in Loop: Header=BB125_8 Depth=1
	v_mul_hi_u32 v32, v56, v77
	v_mul_lo_u32 v32, v32, s8
	v_sub_u32_e32 v32, v56, v32
	v_or_b32_e32 v34, 1, v56
	v_subrev_u32_e32 v33, s8, v32
	v_cmp_le_u32_e32 vcc, s8, v32
	v_mul_hi_u32 v35, v34, v77
	v_mul_lo_u32 v35, v35, s8
	v_cndmask_b32_e32 v32, v32, v33, vcc
	v_subrev_u32_e32 v33, s8, v32
	v_cmp_le_u32_e32 vcc, s8, v32
	v_sub_u32_e32 v34, v34, v35
	v_subrev_u32_e32 v35, s8, v34
	v_cndmask_b32_e32 v58, v32, v33, vcc
	v_cmp_le_u32_e32 vcc, s8, v34
	v_mov_b32_e32 v37, v59
	v_lshl_add_u64 v[32:33], v[58:59], 1, s[10:11]
	v_cndmask_b32_e32 v34, v34, v35, vcc
	v_subrev_u32_e32 v35, s8, v34
	v_cmp_le_u32_e32 vcc, s8, v34
	v_mov_b32_e32 v39, v59
	v_mov_b32_e32 v41, v59
	v_cndmask_b32_e32 v34, v34, v35, vcc
	v_mov_b32_e32 v35, v59
	v_lshl_add_u64 v[42:43], v[34:35], 1, s[10:11]
	v_or_b32_e32 v35, 2, v56
	v_mul_hi_u32 v36, v35, v77
	v_mul_lo_u32 v36, v36, s8
	v_sub_u32_e32 v35, v35, v36
	v_subrev_u32_e32 v36, s8, v35
	v_cmp_le_u32_e32 vcc, s8, v35
	v_mov_b32_e32 v57, v59
	s_nop 0
	v_cndmask_b32_e32 v35, v35, v36, vcc
	v_subrev_u32_e32 v36, s8, v35
	v_cmp_le_u32_e32 vcc, s8, v35
	s_nop 1
	v_cndmask_b32_e32 v38, v35, v36, vcc
	v_or_b32_e32 v35, 3, v56
	v_mul_hi_u32 v36, v35, v77
	v_mul_lo_u32 v36, v36, s8
	v_sub_u32_e32 v35, v35, v36
	v_subrev_u32_e32 v36, s8, v35
	v_cmp_le_u32_e32 vcc, s8, v35
	v_lshl_add_u64 v[48:49], v[38:39], 1, s[10:11]
	s_nop 0
	v_cndmask_b32_e32 v35, v35, v36, vcc
	v_subrev_u32_e32 v36, s8, v35
	v_cmp_le_u32_e32 vcc, s8, v35
	s_nop 1
	v_cndmask_b32_e32 v40, v35, v36, vcc
	v_add_u32_e32 v36, s27, v58
	v_lshl_add_u64 v[52:53], v[36:37], 1, s[10:11]
	v_add_u32_e32 v36, s27, v34
	v_lshl_add_u64 v[54:55], v[36:37], 1, s[10:11]
	;; [unrolled: 2-line block ×4, first 2 shown]
	v_lshl_add_u64 v[62:63], v[36:37], 1, s[10:11]
	global_load_ushort v47, v[32:33], off
	global_load_ushort v46, v[42:43], off
	global_load_ushort v45, v[48:49], off
	global_load_ushort v44, v[50:51], off
	global_load_ushort v41, v[52:53], off
	global_load_ushort v39, v[54:55], off
	global_load_ushort v37, v[60:61], off
                                        ; kill: killed $vgpr48_vgpr49
                                        ; kill: killed $vgpr50_vgpr51
                                        ; kill: killed $vgpr52_vgpr53
                                        ; kill: killed $vgpr54_vgpr55
                                        ; kill: killed $vgpr60_vgpr61
                                        ; kill: killed $vgpr42_vgpr43
                                        ; kill: killed $vgpr32_vgpr33
	global_load_ushort v36, v[62:63], off
	v_add_u32_e32 v32, s28, v58
	v_add_u32_e32 v58, s29, v58
	;; [unrolled: 1-line block ×3, first 2 shown]
	v_mov_b32_e32 v43, v59
	v_lshl_add_u64 v[54:55], v[58:59], 1, s[10:11]
	v_add_u32_e32 v58, s29, v34
	v_mov_b32_e32 v33, v59
	v_lshl_add_u64 v[48:49], v[42:43], 1, s[10:11]
	v_add_u32_e32 v42, s28, v38
	v_lshl_add_u64 v[60:61], v[58:59], 1, s[10:11]
	v_add_u32_e32 v58, s29, v38
	v_lshl_add_u64 v[32:33], v[32:33], 1, s[10:11]
	v_lshl_add_u64 v[50:51], v[42:43], 1, s[10:11]
	v_add_u32_e32 v42, s28, v40
	v_lshl_add_u64 v[62:63], v[58:59], 1, s[10:11]
	v_add_u32_e32 v58, s29, v40
	v_lshl_add_u64 v[52:53], v[42:43], 1, s[10:11]
	v_lshl_add_u64 v[64:65], v[58:59], 1, s[10:11]
	global_load_ushort v43, v[32:33], off
	global_load_ushort v42, v[48:49], off
	global_load_ushort v40, v[50:51], off
                                        ; kill: killed $vgpr32_vgpr33
                                        ; kill: killed $vgpr48_vgpr49
                                        ; kill: killed $vgpr50_vgpr51
	global_load_ushort v38, v[52:53], off
	global_load_ushort v35, v[54:55], off
	;; [unrolled: 1-line block ×5, first 2 shown]
	s_cbranch_execnz .LBB125_6
	s_branch .LBB125_19
.LBB125_18:                             ;   in Loop: Header=BB125_8 Depth=1
                                        ; implicit-def: $vgpr32
                                        ; implicit-def: $vgpr33
                                        ; implicit-def: $vgpr34
                                        ; implicit-def: $vgpr35
                                        ; implicit-def: $vgpr38
                                        ; implicit-def: $vgpr40
                                        ; implicit-def: $vgpr42
                                        ; implicit-def: $vgpr43
                                        ; implicit-def: $vgpr36
                                        ; implicit-def: $vgpr37
                                        ; implicit-def: $vgpr39
                                        ; implicit-def: $vgpr41
                                        ; implicit-def: $vgpr44
                                        ; implicit-def: $vgpr45
                                        ; implicit-def: $vgpr46
                                        ; implicit-def: $vgpr47
.LBB125_19:                             ;   in Loop: Header=BB125_8 Depth=1
	v_mov_b32_e32 v57, v59
	s_waitcnt vmcnt(15)
	v_mov_b32_e32 v47, 0
	s_waitcnt vmcnt(14)
	v_mov_b32_e32 v46, 0
	s_waitcnt vmcnt(13)
	v_mov_b32_e32 v45, 0
	s_waitcnt vmcnt(12)
	v_mov_b32_e32 v44, 0
	s_waitcnt vmcnt(11)
	v_mov_b32_e32 v41, 0
	s_waitcnt vmcnt(10)
	v_mov_b32_e32 v39, 0
	s_waitcnt vmcnt(9)
	v_mov_b32_e32 v37, 0
	s_waitcnt vmcnt(8)
	v_mov_b32_e32 v36, 0
	s_waitcnt vmcnt(7)
	v_mov_b32_e32 v43, 0
	s_waitcnt vmcnt(6)
	v_mov_b32_e32 v42, 0
	s_waitcnt vmcnt(5)
	v_mov_b32_e32 v40, 0
	s_waitcnt vmcnt(4)
	v_mov_b32_e32 v38, 0
	s_waitcnt vmcnt(3)
	v_mov_b32_e32 v35, 0
	s_waitcnt vmcnt(2)
	v_mov_b32_e32 v34, 0
	s_waitcnt vmcnt(1)
	v_mov_b32_e32 v33, 0
	s_waitcnt vmcnt(0)
	v_mov_b32_e32 v32, 0
	s_branch .LBB125_6
.LBB125_20:
	s_endpgm
	.section	.rodata,"a",@progbits
	.p2align	6, 0x0
	.amdhsa_kernel _Z16wvSplitK_hf_sml_I6__halfLi64ELi4ELi16ELi8ELi2ELi4EEviiiiiiPKT_S3_S3_PS1_ii
		.amdhsa_group_segment_fixed_size 65536
		.amdhsa_private_segment_fixed_size 0
		.amdhsa_kernarg_size 64
		.amdhsa_user_sgpr_count 2
		.amdhsa_user_sgpr_dispatch_ptr 0
		.amdhsa_user_sgpr_queue_ptr 0
		.amdhsa_user_sgpr_kernarg_segment_ptr 1
		.amdhsa_user_sgpr_dispatch_id 0
		.amdhsa_user_sgpr_kernarg_preload_length 0
		.amdhsa_user_sgpr_kernarg_preload_offset 0
		.amdhsa_user_sgpr_private_segment_size 0
		.amdhsa_uses_dynamic_stack 0
		.amdhsa_enable_private_segment 0
		.amdhsa_system_sgpr_workgroup_id_x 1
		.amdhsa_system_sgpr_workgroup_id_y 0
		.amdhsa_system_sgpr_workgroup_id_z 0
		.amdhsa_system_sgpr_workgroup_info 0
		.amdhsa_system_vgpr_workitem_id 1
		.amdhsa_next_free_vgpr 98
		.amdhsa_next_free_sgpr 32
		.amdhsa_accum_offset 100
		.amdhsa_reserve_vcc 1
		.amdhsa_float_round_mode_32 0
		.amdhsa_float_round_mode_16_64 0
		.amdhsa_float_denorm_mode_32 3
		.amdhsa_float_denorm_mode_16_64 3
		.amdhsa_dx10_clamp 1
		.amdhsa_ieee_mode 1
		.amdhsa_fp16_overflow 0
		.amdhsa_tg_split 0
		.amdhsa_exception_fp_ieee_invalid_op 0
		.amdhsa_exception_fp_denorm_src 0
		.amdhsa_exception_fp_ieee_div_zero 0
		.amdhsa_exception_fp_ieee_overflow 0
		.amdhsa_exception_fp_ieee_underflow 0
		.amdhsa_exception_fp_ieee_inexact 0
		.amdhsa_exception_int_div_zero 0
	.end_amdhsa_kernel
	.section	.text._Z16wvSplitK_hf_sml_I6__halfLi64ELi4ELi16ELi8ELi2ELi4EEviiiiiiPKT_S3_S3_PS1_ii,"axG",@progbits,_Z16wvSplitK_hf_sml_I6__halfLi64ELi4ELi16ELi8ELi2ELi4EEviiiiiiPKT_S3_S3_PS1_ii,comdat
.Lfunc_end125:
	.size	_Z16wvSplitK_hf_sml_I6__halfLi64ELi4ELi16ELi8ELi2ELi4EEviiiiiiPKT_S3_S3_PS1_ii, .Lfunc_end125-_Z16wvSplitK_hf_sml_I6__halfLi64ELi4ELi16ELi8ELi2ELi4EEviiiiiiPKT_S3_S3_PS1_ii
                                        ; -- End function
	.section	.AMDGPU.csdata,"",@progbits
; Kernel info:
; codeLenInByte = 5280
; NumSgprs: 38
; NumVgprs: 98
; NumAgprs: 0
; TotalNumVgprs: 98
; ScratchSize: 0
; MemoryBound: 0
; FloatMode: 240
; IeeeMode: 1
; LDSByteSize: 65536 bytes/workgroup (compile time only)
; SGPRBlocks: 4
; VGPRBlocks: 12
; NumSGPRsForWavesPerEU: 38
; NumVGPRsForWavesPerEU: 98
; AccumOffset: 100
; Occupancy: 4
; WaveLimiterHint : 0
; COMPUTE_PGM_RSRC2:SCRATCH_EN: 0
; COMPUTE_PGM_RSRC2:USER_SGPR: 2
; COMPUTE_PGM_RSRC2:TRAP_HANDLER: 0
; COMPUTE_PGM_RSRC2:TGID_X_EN: 1
; COMPUTE_PGM_RSRC2:TGID_Y_EN: 0
; COMPUTE_PGM_RSRC2:TGID_Z_EN: 0
; COMPUTE_PGM_RSRC2:TIDIG_COMP_CNT: 1
; COMPUTE_PGM_RSRC3_GFX90A:ACCUM_OFFSET: 24
; COMPUTE_PGM_RSRC3_GFX90A:TG_SPLIT: 0
	.section	.text._Z12wvSplitK_hf_I6__halfLi64ELi4ELi16ELi8ELi2ELi4EEviiiiiiPKT_S3_S3_PS1_ii,"axG",@progbits,_Z12wvSplitK_hf_I6__halfLi64ELi4ELi16ELi8ELi2ELi4EEviiiiiiPKT_S3_S3_PS1_ii,comdat
	.protected	_Z12wvSplitK_hf_I6__halfLi64ELi4ELi16ELi8ELi2ELi4EEviiiiiiPKT_S3_S3_PS1_ii ; -- Begin function _Z12wvSplitK_hf_I6__halfLi64ELi4ELi16ELi8ELi2ELi4EEviiiiiiPKT_S3_S3_PS1_ii
	.globl	_Z12wvSplitK_hf_I6__halfLi64ELi4ELi16ELi8ELi2ELi4EEviiiiiiPKT_S3_S3_PS1_ii
	.p2align	8
	.type	_Z12wvSplitK_hf_I6__halfLi64ELi4ELi16ELi8ELi2ELi4EEviiiiiiPKT_S3_S3_PS1_ii,@function
_Z12wvSplitK_hf_I6__halfLi64ELi4ELi16ELi8ELi2ELi4EEviiiiiiPKT_S3_S3_PS1_ii: ; @_Z12wvSplitK_hf_I6__halfLi64ELi4ELi16ELi8ELi2ELi4EEviiiiiiPKT_S3_S3_PS1_ii
; %bb.0:
	s_load_dwordx2 s[8:9], s[0:1], 0x38
	s_load_dwordx4 s[12:15], s[0:1], 0x0
	s_load_dwordx2 s[10:11], s[0:1], 0x10
	v_bfe_u32 v1, v0, 10, 10
	s_mov_b32 s4, 1
	s_waitcnt lgkmcnt(0)
	s_mul_i32 s2, s2, s8
	v_add_lshl_u32 v70, s2, v1, 2
	v_add_u32_e32 v2, 4, v70
	s_mov_b32 s5, s4
	v_cmp_gt_u32_e32 vcc, s15, v70
	v_cmp_le_u32_e64 s[2:3], s15, v2
	s_mov_b32 s6, s4
	s_mov_b32 s7, s4
	v_mov_b64_e32 v[2:3], s[4:5]
	s_and_b64 s[16:17], vcc, s[2:3]
	v_mov_b64_e32 v[4:5], s[6:7]
	s_and_saveexec_b64 s[2:3], s[16:17]
	s_cbranch_execz .LBB126_6
; %bb.1:
	s_add_i32 s22, s15, -4
	v_mov_b64_e32 v[2:3], s[4:5]
	v_cmp_ne_u32_e32 vcc, s22, v70
	v_mov_b64_e32 v[4:5], s[6:7]
	s_and_saveexec_b64 s[16:17], vcc
	s_cbranch_execz .LBB126_5
; %bb.2:
	v_subrev_u32_e32 v2, s22, v70
	v_cmp_lt_u32_e32 vcc, 1, v2
	s_mov_b64 s[18:19], 0
	s_mov_b64 s[20:21], 0
	v_cndmask_b32_e32 v6, 1, v2, vcc
	s_mov_b32 s5, s4
	s_mov_b32 s6, s4
	;; [unrolled: 1-line block ×3, first 2 shown]
.LBB126_3:                              ; =>This Inner Loop Header: Depth=1
	s_cmp_lg_u32 s20, 3
	s_cselect_b32 s7, s7, 0
	s_cmp_lg_u32 s20, 2
	s_cselect_b32 s6, s6, 0
	;; [unrolled: 2-line block ×4, first 2 shown]
	s_add_u32 s20, s20, 1
	s_addc_u32 s21, s21, 0
	v_cmp_eq_u32_e32 vcc, s20, v6
	v_mov_b64_e32 v[2:3], s[4:5]
	s_or_b64 s[18:19], vcc, s[18:19]
	v_mov_b64_e32 v[4:5], s[6:7]
	s_andn2_b64 exec, exec, s[18:19]
	s_cbranch_execnz .LBB126_3
; %bb.4:
	s_or_b64 exec, exec, s[18:19]
	v_mov_b32_e32 v70, s22
.LBB126_5:
	s_or_b64 exec, exec, s[16:17]
.LBB126_6:
	s_or_b64 exec, exec, s[2:3]
	s_load_dwordx4 s[16:19], s[0:1], 0x20
	v_and_b32_e32 v8, 0x3ff, v0
	v_lshlrev_b32_e32 v0, 3, v8
	s_lshl_b32 s33, s14, 2
	v_lshl_add_u32 v9, v1, 9, v0
	s_min_u32 s20, s33, 0x8000
	v_cmp_gt_u32_e32 vcc, s20, v9
	s_and_saveexec_b64 s[2:3], vcc
	s_cbranch_execz .LBB126_9
; %bb.7:
	v_mov_b32_e32 v11, 0
	v_lshlrev_b32_e32 v10, 10, v1
	v_lshlrev_b32_e32 v12, 4, v8
	v_mov_b32_e32 v13, v11
	v_lshl_add_u64 v[6:7], v[10:11], 0, v[12:13]
	s_waitcnt lgkmcnt(0)
	v_lshl_add_u64 v[6:7], s[16:17], 0, v[6:7]
	v_add_u32_e32 v10, v10, v12
	s_mov_b64 s[4:5], 0
	s_mov_b64 s[6:7], 0x4000
.LBB126_8:                              ; =>This Inner Loop Header: Depth=1
	global_load_dwordx4 v[12:15], v[6:7], off
	v_add_u32_e32 v9, 0x2000, v9
	v_cmp_le_u32_e32 vcc, s20, v9
	v_lshl_add_u64 v[6:7], v[6:7], 0, s[6:7]
	s_or_b64 s[4:5], vcc, s[4:5]
	s_waitcnt vmcnt(0)
	ds_write_b128 v10, v[12:15]
	v_add_u32_e32 v10, 0x4000, v10
	s_andn2_b64 exec, exec, s[4:5]
	s_cbranch_execnz .LBB126_8
.LBB126_9:
	s_or_b64 exec, exec, s[2:3]
	v_cmp_gt_u32_e32 vcc, s8, v1
	v_cmp_gt_u32_e64 s[2:3], s15, v70
	s_and_b64 s[2:3], vcc, s[2:3]
	s_waitcnt lgkmcnt(0)
	s_barrier
	s_and_saveexec_b64 s[4:5], s[2:3]
	s_cbranch_execz .LBB126_92
; %bb.10:
	s_cmp_lg_u32 s12, 0
	s_cselect_b64 s[2:3], -1, 0
	s_add_i32 s36, s12, -8
	s_add_i32 s37, s15, -1
	s_mul_i32 s4, s8, s9
	s_cmp_lg_u64 s[18:19], 0
	s_cselect_b64 s[26:27], -1, 0
	s_lshl_b32 s38, s4, 2
	s_abs_i32 s4, s11
	v_cvt_f32_u32_e32 v1, s10
	v_cvt_f32_u32_e32 v6, s4
	s_sub_i32 s5, 0, s10
	s_add_i32 s11, s15, -4
	v_rcp_iflag_f32_e32 v1, v1
	v_rcp_iflag_f32_e32 v6, v6
	s_load_dwordx2 s[20:21], s[0:1], 0x18
	s_load_dwordx2 s[22:23], s[0:1], 0x30
	v_cmp_eq_u32_e64 s[0:1], 63, v8
	v_mul_f32_e32 v1, 0x4f7ffffe, v1
	v_mul_f32_e32 v6, 0x4f7ffffe, v6
	v_cvt_u32_f32_e32 v1, v1
	v_cvt_u32_f32_e32 v6, v6
	s_mov_b64 s[24:25], 0
	v_mov_b32_e32 v73, 0
	v_mul_lo_u32 v7, s5, v1
	s_sub_i32 s5, 0, s4
	v_readfirstlane_b32 s6, v6
	s_mul_i32 s5, s5, s6
	s_mul_hi_u32 s5, s6, s5
	s_add_i32 s6, s6, s5
	s_sub_i32 s5, 1, s4
	s_cmp_lt_u32 s4, 2
	s_cselect_b32 s5, s5, 1
	s_sub_i32 s7, s5, s4
	s_cmp_ge_u32 s5, s4
	s_cselect_b32 s39, s7, s5
	s_lshr_b32 s5, s6, 31
	s_mul_i32 s5, s5, s4
	s_sub_i32 s5, 2, s5
	s_sub_i32 s7, s5, s4
	s_cmp_ge_u32 s5, s4
	s_cselect_b32 s5, s7, s5
	s_sub_i32 s7, s5, s4
	s_cmp_ge_u32 s5, s4
	s_cselect_b32 s40, s7, s5
	s_mul_hi_u32 s5, s6, 3
	s_mul_i32 s5, s5, s4
	s_sub_i32 s5, 3, s5
	s_sub_i32 s6, s5, s4
	s_cmp_ge_u32 s5, s4
	s_cselect_b32 s5, s6, s5
	v_mul_hi_u32 v7, v1, v7
	s_sub_i32 s6, s5, s4
	v_add_u32_e32 v1, v1, v7
	s_cmp_ge_u32 s5, s4
	s_cselect_b32 s41, s6, s5
	s_lshl_b32 s42, s14, 1
	v_mad_u64_u32 v[74:75], s[4:5], s14, 3, v[0:1]
	v_cndmask_b32_e64 v6, 0, 1, s[2:3]
	s_mul_i32 s39, s39, s10
	s_mul_i32 s40, s40, s10
	;; [unrolled: 1-line block ×3, first 2 shown]
	v_lshlrev_b32_e32 v96, 4, v8
	v_add_u32_e32 v97, s42, v0
	s_mul_i32 s43, s14, 6
	v_add_u32_e32 v75, s14, v0
	v_cmp_ne_u32_e64 s[2:3], 1, v6
	s_movk_i32 s14, 0x7fff
	s_mov_b32 s28, 0
	s_branch .LBB126_13
.LBB126_11:                             ;   in Loop: Header=BB126_13 Depth=1
	s_or_b64 exec, exec, s[8:9]
	v_mov_b32_e32 v70, s11
.LBB126_12:                             ;   in Loop: Header=BB126_13 Depth=1
	s_or_b64 exec, exec, s[6:7]
	v_cmp_le_u32_e32 vcc, s15, v70
	s_or_b64 s[24:25], vcc, s[24:25]
	s_andn2_b64 exec, exec, s[24:25]
	s_cbranch_execz .LBB126_92
.LBB126_13:                             ; =>This Loop Header: Depth=1
                                        ;     Child Loop BB126_18 Depth 2
                                        ;     Child Loop BB126_75 Depth 2
	s_and_b64 vcc, exec, s[2:3]
	v_add_u32_e32 v80, 1, v70
	v_add_u32_e32 v78, 2, v70
	;; [unrolled: 1-line block ×3, first 2 shown]
	v_mov_b32_e32 v109, v73
	v_mov_b32_e32 v108, v73
	;; [unrolled: 1-line block ×16, first 2 shown]
	s_cbranch_vccnz .LBB126_52
; %bb.14:                               ;   in Loop: Header=BB126_13 Depth=1
	v_min_u32_e32 v6, s37, v70
	v_mul_lo_u32 v72, v6, s13
	v_min_u32_e32 v6, s37, v80
	v_min_u32_e32 v8, s37, v78
	;; [unrolled: 1-line block ×3, first 2 shown]
	v_mul_lo_u32 v6, v6, s13
	v_mov_b32_e32 v7, v73
	v_mul_lo_u32 v8, v8, s13
	v_mov_b32_e32 v9, v73
	;; [unrolled: 2-line block ×3, first 2 shown]
	v_mov_b32_e32 v101, 0
	v_lshlrev_b64 v[82:83], 1, v[72:73]
	v_lshlrev_b64 v[84:85], 1, v[6:7]
	;; [unrolled: 1-line block ×4, first 2 shown]
	v_mov_b32_e32 v110, v96
	v_mov_b32_e32 v100, 0
	v_mov_b32_e32 v99, 0
	v_mov_b32_e32 v98, 0
	v_mov_b32_e32 v81, 0
	v_mov_b32_e32 v79, 0
	v_mov_b32_e32 v77, 0
	v_mov_b32_e32 v71, 0
	v_mov_b32_e32 v102, 0
	v_mov_b32_e32 v103, 0
	v_mov_b32_e32 v104, 0
	v_mov_b32_e32 v105, 0
	v_mov_b32_e32 v106, 0
	v_mov_b32_e32 v107, 0
	v_mov_b32_e32 v108, 0
	v_mov_b32_e32 v109, 0
	s_mov_b32 s30, s28
	s_branch .LBB126_18
.LBB126_15:                             ;   in Loop: Header=BB126_18 Depth=2
	s_or_b64 exec, exec, s[8:9]
.LBB126_16:                             ;   in Loop: Header=BB126_18 Depth=2
	s_or_b64 exec, exec, s[6:7]
.LBB126_17:                             ;   in Loop: Header=BB126_18 Depth=2
	s_or_b64 exec, exec, s[4:5]
	s_waitcnt vmcnt(0) lgkmcnt(0)
	;;#ASMSTART
	v_dot2c_f32_f16 v109, v50, v34
	;;#ASMEND
	;;#ASMSTART
	v_dot2c_f32_f16 v108, v50, v30
	;;#ASMEND
	;;#ASMSTART
	v_dot2c_f32_f16 v107, v50, v26
	;;#ASMEND
	;;#ASMSTART
	v_dot2c_f32_f16 v106, v50, v22
	;;#ASMEND
	;;#ASMSTART
	v_dot2c_f32_f16 v105, v46, v34
	;;#ASMEND
	;;#ASMSTART
	v_dot2c_f32_f16 v104, v46, v30
	;;#ASMEND
	;;#ASMSTART
	v_dot2c_f32_f16 v103, v46, v26
	;;#ASMEND
	;;#ASMSTART
	v_dot2c_f32_f16 v102, v46, v22
	;;#ASMEND
	;;#ASMSTART
	v_dot2c_f32_f16 v101, v42, v34
	;;#ASMEND
	;;#ASMSTART
	v_dot2c_f32_f16 v100, v42, v30
	;;#ASMEND
	;;#ASMSTART
	v_dot2c_f32_f16 v99, v42, v26
	;;#ASMEND
	;;#ASMSTART
	v_dot2c_f32_f16 v98, v42, v22
	;;#ASMEND
	;;#ASMSTART
	v_dot2c_f32_f16 v81, v38, v34
	;;#ASMEND
	;;#ASMSTART
	v_dot2c_f32_f16 v79, v38, v30
	;;#ASMEND
	;;#ASMSTART
	v_dot2c_f32_f16 v77, v38, v26
	;;#ASMEND
	;;#ASMSTART
	v_dot2c_f32_f16 v71, v38, v22
	;;#ASMEND
	s_nop 0
	;;#ASMSTART
	v_dot2c_f32_f16 v109, v51, v35
	;;#ASMEND
	;;#ASMSTART
	v_dot2c_f32_f16 v108, v51, v31
	;;#ASMEND
	;;#ASMSTART
	v_dot2c_f32_f16 v107, v51, v27
	;;#ASMEND
	;;#ASMSTART
	v_dot2c_f32_f16 v106, v51, v23
	;;#ASMEND
	;;#ASMSTART
	v_dot2c_f32_f16 v105, v47, v35
	;;#ASMEND
	;;#ASMSTART
	v_dot2c_f32_f16 v104, v47, v31
	;;#ASMEND
	;;#ASMSTART
	v_dot2c_f32_f16 v103, v47, v27
	;;#ASMEND
	;;#ASMSTART
	v_dot2c_f32_f16 v102, v47, v23
	;;#ASMEND
	;;#ASMSTART
	v_dot2c_f32_f16 v101, v43, v35
	;;#ASMEND
	;;#ASMSTART
	v_dot2c_f32_f16 v100, v43, v31
	;;#ASMEND
	;;#ASMSTART
	v_dot2c_f32_f16 v99, v43, v27
	;;#ASMEND
	;;#ASMSTART
	v_dot2c_f32_f16 v98, v43, v23
	;;#ASMEND
	;;#ASMSTART
	v_dot2c_f32_f16 v81, v39, v35
	;;#ASMEND
	;;#ASMSTART
	v_dot2c_f32_f16 v79, v39, v31
	;;#ASMEND
	;;#ASMSTART
	v_dot2c_f32_f16 v77, v39, v27
	;;#ASMEND
	;;#ASMSTART
	v_dot2c_f32_f16 v71, v39, v23
	;;#ASMEND
	s_nop 0
	;;#ASMSTART
	v_dot2c_f32_f16 v109, v52, v36
	;;#ASMEND
	;;#ASMSTART
	v_dot2c_f32_f16 v108, v52, v32
	;;#ASMEND
	;;#ASMSTART
	v_dot2c_f32_f16 v107, v52, v28
	;;#ASMEND
	;;#ASMSTART
	v_dot2c_f32_f16 v106, v52, v24
	;;#ASMEND
	;;#ASMSTART
	v_dot2c_f32_f16 v105, v48, v36
	;;#ASMEND
	;;#ASMSTART
	v_dot2c_f32_f16 v104, v48, v32
	;;#ASMEND
	;;#ASMSTART
	v_dot2c_f32_f16 v103, v48, v28
	;;#ASMEND
	;;#ASMSTART
	v_dot2c_f32_f16 v102, v48, v24
	;;#ASMEND
	;;#ASMSTART
	v_dot2c_f32_f16 v101, v44, v36
	;;#ASMEND
	;;#ASMSTART
	v_dot2c_f32_f16 v100, v44, v32
	;;#ASMEND
	;;#ASMSTART
	v_dot2c_f32_f16 v99, v44, v28
	;;#ASMEND
	;;#ASMSTART
	v_dot2c_f32_f16 v98, v44, v24
	;;#ASMEND
	;;#ASMSTART
	v_dot2c_f32_f16 v81, v40, v36
	;;#ASMEND
	;;#ASMSTART
	v_dot2c_f32_f16 v79, v40, v32
	;;#ASMEND
	;;#ASMSTART
	v_dot2c_f32_f16 v77, v40, v28
	;;#ASMEND
	;;#ASMSTART
	v_dot2c_f32_f16 v71, v40, v24
	;;#ASMEND
	s_nop 0
	;;#ASMSTART
	v_dot2c_f32_f16 v109, v53, v37
	;;#ASMEND
	;;#ASMSTART
	v_dot2c_f32_f16 v108, v53, v33
	;;#ASMEND
	;;#ASMSTART
	v_dot2c_f32_f16 v107, v53, v29
	;;#ASMEND
	;;#ASMSTART
	v_dot2c_f32_f16 v106, v53, v25
	;;#ASMEND
	;;#ASMSTART
	v_dot2c_f32_f16 v105, v49, v37
	;;#ASMEND
	;;#ASMSTART
	v_dot2c_f32_f16 v104, v49, v33
	;;#ASMEND
	;;#ASMSTART
	v_dot2c_f32_f16 v103, v49, v29
	;;#ASMEND
	;;#ASMSTART
	v_dot2c_f32_f16 v102, v49, v25
	;;#ASMEND
	;;#ASMSTART
	v_dot2c_f32_f16 v101, v45, v37
	;;#ASMEND
	;;#ASMSTART
	v_dot2c_f32_f16 v100, v45, v33
	;;#ASMEND
	;;#ASMSTART
	v_dot2c_f32_f16 v99, v45, v29
	;;#ASMEND
	;;#ASMSTART
	v_dot2c_f32_f16 v98, v45, v25
	;;#ASMEND
	;;#ASMSTART
	v_dot2c_f32_f16 v81, v41, v37
	;;#ASMEND
	;;#ASMSTART
	v_dot2c_f32_f16 v79, v41, v33
	;;#ASMEND
	;;#ASMSTART
	v_dot2c_f32_f16 v77, v41, v29
	;;#ASMEND
	;;#ASMSTART
	v_dot2c_f32_f16 v71, v41, v25
	;;#ASMEND
	s_nop 0
	;;#ASMSTART
	v_dot2c_f32_f16 v109, v66, v18
	;;#ASMEND
	;;#ASMSTART
	v_dot2c_f32_f16 v108, v66, v14
	;;#ASMEND
	;;#ASMSTART
	v_dot2c_f32_f16 v107, v66, v10
	;;#ASMEND
	;;#ASMSTART
	v_dot2c_f32_f16 v106, v66, v6
	;;#ASMEND
	;;#ASMSTART
	v_dot2c_f32_f16 v105, v62, v18
	;;#ASMEND
	;;#ASMSTART
	v_dot2c_f32_f16 v104, v62, v14
	;;#ASMEND
	;;#ASMSTART
	v_dot2c_f32_f16 v103, v62, v10
	;;#ASMEND
	;;#ASMSTART
	v_dot2c_f32_f16 v102, v62, v6
	;;#ASMEND
	;;#ASMSTART
	v_dot2c_f32_f16 v101, v58, v18
	;;#ASMEND
	;;#ASMSTART
	v_dot2c_f32_f16 v100, v58, v14
	;;#ASMEND
	;;#ASMSTART
	v_dot2c_f32_f16 v99, v58, v10
	;;#ASMEND
	;;#ASMSTART
	v_dot2c_f32_f16 v98, v58, v6
	;;#ASMEND
	;;#ASMSTART
	v_dot2c_f32_f16 v81, v54, v18
	;;#ASMEND
	;;#ASMSTART
	v_dot2c_f32_f16 v79, v54, v14
	;;#ASMEND
	;;#ASMSTART
	v_dot2c_f32_f16 v77, v54, v10
	;;#ASMEND
	;;#ASMSTART
	v_dot2c_f32_f16 v71, v54, v6
	;;#ASMEND
	s_nop 0
	;;#ASMSTART
	v_dot2c_f32_f16 v109, v67, v19
	;;#ASMEND
	;;#ASMSTART
	v_dot2c_f32_f16 v108, v67, v15
	;;#ASMEND
	;; [unrolled: 3-line block ×16, first 2 shown]
	s_addk_i32 s30, 0x400
	;;#ASMSTART
	v_dot2c_f32_f16 v109, v68, v20
	;;#ASMEND
	;;#ASMSTART
	v_dot2c_f32_f16 v108, v68, v16
	;;#ASMEND
	;; [unrolled: 3-line block ×16, first 2 shown]
	s_cmp_ge_u32 s30, s12
	v_add_u32_e32 v110, 0x800, v110
	;;#ASMSTART
	v_dot2c_f32_f16 v109, v69, v21
	;;#ASMEND
	;;#ASMSTART
	v_dot2c_f32_f16 v108, v69, v17
	;;#ASMEND
	;; [unrolled: 3-line block ×16, first 2 shown]
	s_cbranch_scc1 .LBB126_52
.LBB126_18:                             ;   Parent Loop BB126_13 Depth=1
                                        ; =>  This Inner Loop Header: Depth=2
	v_add_u32_e32 v92, s30, v0
	v_min_u32_e32 v72, s36, v92
	s_waitcnt lgkmcnt(0)
	v_lshl_add_u64 v[6:7], v[72:73], 1, s[20:21]
	v_lshl_add_u64 v[8:9], v[6:7], 0, v[82:83]
	v_add_u32_e32 v90, 0x200, v92
	v_lshl_add_u64 v[10:11], v[6:7], 0, v[84:85]
	global_load_dwordx4 v[34:37], v[8:9], off nt
	global_load_dwordx4 v[30:33], v[10:11], off nt
	v_lshl_add_u64 v[8:9], v[6:7], 0, v[86:87]
	v_lshl_add_u64 v[6:7], v[6:7], 0, v[88:89]
	v_min_u32_e32 v72, s36, v90
	global_load_dwordx4 v[26:29], v[8:9], off nt
	global_load_dwordx4 v[22:25], v[6:7], off nt
	v_lshl_add_u64 v[6:7], v[72:73], 1, s[20:21]
	v_lshl_add_u64 v[8:9], v[6:7], 0, v[82:83]
	;; [unrolled: 1-line block ×3, first 2 shown]
	global_load_dwordx4 v[18:21], v[8:9], off nt
	global_load_dwordx4 v[14:17], v[10:11], off nt
	v_lshl_add_u64 v[8:9], v[6:7], 0, v[86:87]
	v_lshl_add_u64 v[6:7], v[6:7], 0, v[88:89]
	global_load_dwordx4 v[10:13], v[8:9], off nt
	s_nop 0
	global_load_dwordx4 v[6:9], v[6:7], off nt
	s_mov_b32 s29, s28
	v_cmp_gt_u32_e32 vcc, s12, v92
	v_mov_b64_e32 v[60:61], s[28:29]
	v_mov_b32_e32 v57, 0
	v_mov_b32_e32 v56, 0
	;; [unrolled: 1-line block ×4, first 2 shown]
	v_mov_b64_e32 v[58:59], s[28:29]
	v_mov_b64_e32 v[64:65], s[28:29]
	;; [unrolled: 1-line block ×5, first 2 shown]
	s_waitcnt vmcnt(10)
	v_mov_b64_e32 v[40:41], s[28:29]
	s_waitcnt vmcnt(8)
	v_mov_b64_e32 v[38:39], s[28:29]
	v_mov_b64_e32 v[44:45], s[28:29]
	;; [unrolled: 1-line block ×7, first 2 shown]
	s_and_saveexec_b64 s[4:5], vcc
	s_cbranch_execz .LBB126_17
; %bb.19:                               ;   in Loop: Header=BB126_18 Depth=2
	v_cmp_lt_u32_e32 vcc, s14, v92
                                        ; implicit-def: $vgpr52_vgpr53
	s_and_saveexec_b64 s[6:7], vcc
	s_xor_b64 s[6:7], exec, s[6:7]
	s_cbranch_execz .LBB126_21
; %bb.20:                               ;   in Loop: Header=BB126_18 Depth=2
	v_mov_b32_e32 v93, v73
	v_lshl_add_u64 v[38:39], v[92:93], 1, s[16:17]
	global_load_dwordx4 v[50:53], v[38:39], off
.LBB126_21:                             ;   in Loop: Header=BB126_18 Depth=2
	s_andn2_saveexec_b64 s[6:7], s[6:7]
	s_cbranch_execz .LBB126_23
; %bb.22:                               ;   in Loop: Header=BB126_18 Depth=2
	s_waitcnt vmcnt(0)
	ds_read_b128 v[50:53], v110
.LBB126_23:                             ;   in Loop: Header=BB126_18 Depth=2
	s_or_b64 exec, exec, s[6:7]
	v_add_u32_e32 v72, s30, v75
	v_cmp_lt_u32_e32 vcc, s14, v72
                                        ; implicit-def: $vgpr48_vgpr49
	s_and_saveexec_b64 s[6:7], vcc
	s_xor_b64 s[6:7], exec, s[6:7]
	s_cbranch_execz .LBB126_25
; %bb.24:                               ;   in Loop: Header=BB126_18 Depth=2
	v_lshl_add_u64 v[38:39], v[72:73], 1, s[16:17]
	global_load_dwordx4 v[46:49], v[38:39], off
.LBB126_25:                             ;   in Loop: Header=BB126_18 Depth=2
	s_andn2_saveexec_b64 s[6:7], s[6:7]
	s_cbranch_execz .LBB126_27
; %bb.26:                               ;   in Loop: Header=BB126_18 Depth=2
	v_add_u32_e32 v38, s42, v110
	s_waitcnt vmcnt(0)
	ds_read_b128 v[46:49], v38
.LBB126_27:                             ;   in Loop: Header=BB126_18 Depth=2
	s_or_b64 exec, exec, s[6:7]
	v_add_u32_e32 v94, s30, v97
	v_cmp_lt_u32_e32 vcc, s14, v94
                                        ; implicit-def: $vgpr44_vgpr45
	s_and_saveexec_b64 s[6:7], vcc
	s_xor_b64 s[6:7], exec, s[6:7]
	s_cbranch_execz .LBB126_29
; %bb.28:                               ;   in Loop: Header=BB126_18 Depth=2
	v_mov_b32_e32 v95, v73
	v_lshl_add_u64 v[38:39], v[94:95], 1, s[16:17]
	global_load_dwordx4 v[42:45], v[38:39], off
.LBB126_29:                             ;   in Loop: Header=BB126_18 Depth=2
	s_andn2_saveexec_b64 s[6:7], s[6:7]
	s_cbranch_execz .LBB126_31
; %bb.30:                               ;   in Loop: Header=BB126_18 Depth=2
	v_add_u32_e32 v38, s33, v110
	s_waitcnt vmcnt(0)
	ds_read2_b32 v[42:43], v38 offset1:1
	ds_read2_b32 v[44:45], v38 offset0:2 offset1:3
.LBB126_31:                             ;   in Loop: Header=BB126_18 Depth=2
	s_or_b64 exec, exec, s[6:7]
	v_add_u32_e32 v92, s30, v74
	v_cmp_lt_u32_e32 vcc, s14, v92
                                        ; implicit-def: $vgpr40_vgpr41
	s_and_saveexec_b64 s[6:7], vcc
	s_xor_b64 s[6:7], exec, s[6:7]
	s_cbranch_execz .LBB126_33
; %bb.32:                               ;   in Loop: Header=BB126_18 Depth=2
	v_mov_b32_e32 v93, v73
	v_lshl_add_u64 v[38:39], v[92:93], 1, s[16:17]
	global_load_dwordx4 v[38:41], v[38:39], off
.LBB126_33:                             ;   in Loop: Header=BB126_18 Depth=2
	s_andn2_saveexec_b64 s[6:7], s[6:7]
	s_cbranch_execz .LBB126_35
; %bb.34:                               ;   in Loop: Header=BB126_18 Depth=2
	s_waitcnt vmcnt(0)
	v_add_u32_e32 v38, s43, v110
	ds_read_b128 v[38:41], v38
.LBB126_35:                             ;   in Loop: Header=BB126_18 Depth=2
	s_or_b64 exec, exec, s[6:7]
	s_mov_b32 s29, s28
	v_cmp_gt_u32_e32 vcc, s12, v90
	v_mov_b32_e32 v57, 0
	v_mov_b64_e32 v[60:61], s[28:29]
	v_mov_b32_e32 v56, 0
	v_mov_b32_e32 v55, 0
	;; [unrolled: 1-line block ×3, first 2 shown]
	v_mov_b64_e32 v[58:59], s[28:29]
	v_mov_b64_e32 v[64:65], s[28:29]
	;; [unrolled: 1-line block ×5, first 2 shown]
	s_and_saveexec_b64 s[6:7], vcc
	s_cbranch_execz .LBB126_16
; %bb.36:                               ;   in Loop: Header=BB126_18 Depth=2
	v_cmp_lt_u32_e32 vcc, s14, v90
                                        ; implicit-def: $vgpr68_vgpr69
	s_and_saveexec_b64 s[8:9], vcc
	s_xor_b64 s[8:9], exec, s[8:9]
	s_cbranch_execz .LBB126_38
; %bb.37:                               ;   in Loop: Header=BB126_18 Depth=2
	v_mov_b32_e32 v91, v73
	v_lshl_add_u64 v[54:55], v[90:91], 1, s[16:17]
	global_load_dwordx4 v[66:69], v[54:55], off
.LBB126_38:                             ;   in Loop: Header=BB126_18 Depth=2
	s_andn2_saveexec_b64 s[8:9], s[8:9]
	s_cbranch_execz .LBB126_40
; %bb.39:                               ;   in Loop: Header=BB126_18 Depth=2
	s_waitcnt vmcnt(0)
	ds_read_b128 v[66:69], v110 offset:1024
.LBB126_40:                             ;   in Loop: Header=BB126_18 Depth=2
	s_or_b64 exec, exec, s[8:9]
	v_add_u32_e32 v72, 0x200, v72
	v_cmp_lt_u32_e32 vcc, s14, v72
                                        ; implicit-def: $vgpr64_vgpr65
	s_and_saveexec_b64 s[8:9], vcc
	s_xor_b64 s[8:9], exec, s[8:9]
	s_cbranch_execz .LBB126_42
; %bb.41:                               ;   in Loop: Header=BB126_18 Depth=2
	v_lshl_add_u64 v[54:55], v[72:73], 1, s[16:17]
	global_load_dwordx4 v[62:65], v[54:55], off
.LBB126_42:                             ;   in Loop: Header=BB126_18 Depth=2
	s_andn2_saveexec_b64 s[8:9], s[8:9]
	s_cbranch_execz .LBB126_44
; %bb.43:                               ;   in Loop: Header=BB126_18 Depth=2
	v_add_u32_e32 v54, s42, v110
	s_waitcnt vmcnt(0)
	ds_read_b128 v[62:65], v54 offset:1024
.LBB126_44:                             ;   in Loop: Header=BB126_18 Depth=2
	s_or_b64 exec, exec, s[8:9]
	v_add_u32_e32 v72, 0x200, v94
	v_cmp_lt_u32_e32 vcc, s14, v72
                                        ; implicit-def: $vgpr60_vgpr61
	s_and_saveexec_b64 s[8:9], vcc
	s_xor_b64 s[8:9], exec, s[8:9]
	s_cbranch_execz .LBB126_46
; %bb.45:                               ;   in Loop: Header=BB126_18 Depth=2
	v_lshl_add_u64 v[54:55], v[72:73], 1, s[16:17]
	global_load_dwordx4 v[58:61], v[54:55], off
.LBB126_46:                             ;   in Loop: Header=BB126_18 Depth=2
	s_andn2_saveexec_b64 s[8:9], s[8:9]
	s_cbranch_execz .LBB126_48
; %bb.47:                               ;   in Loop: Header=BB126_18 Depth=2
	v_add_u32_e32 v54, s33, v110
	v_add_u32_e32 v55, 0x400, v54
	;; [unrolled: 1-line block ×3, first 2 shown]
	s_waitcnt vmcnt(0)
	ds_read2_b32 v[58:59], v55 offset1:1
	ds_read2_b32 v[60:61], v54 offset1:1
.LBB126_48:                             ;   in Loop: Header=BB126_18 Depth=2
	s_or_b64 exec, exec, s[8:9]
	v_add_u32_e32 v72, 0x200, v92
	v_cmp_lt_u32_e32 vcc, s14, v72
                                        ; implicit-def: $vgpr57
	s_and_saveexec_b64 s[8:9], vcc
	s_xor_b64 s[8:9], exec, s[8:9]
	s_cbranch_execz .LBB126_50
; %bb.49:                               ;   in Loop: Header=BB126_18 Depth=2
	v_lshl_add_u64 v[54:55], v[72:73], 1, s[16:17]
	global_load_dwordx4 v[54:57], v[54:55], off
.LBB126_50:                             ;   in Loop: Header=BB126_18 Depth=2
	s_andn2_saveexec_b64 s[8:9], s[8:9]
	s_cbranch_execz .LBB126_15
; %bb.51:                               ;   in Loop: Header=BB126_18 Depth=2
	s_waitcnt vmcnt(0)
	v_add_u32_e32 v54, s43, v110
	ds_read_b128 v[54:57], v54 offset:1024
	s_branch .LBB126_15
.LBB126_52:                             ;   in Loop: Header=BB126_13 Depth=1
	v_cvt_i32_f32_e32 v6, v109
	v_cvt_i32_f32_e32 v7, v108
	;; [unrolled: 1-line block ×4, first 2 shown]
	v_cvt_f32_i32_dpp v6, v6 row_shr:8 row_mask:0xf bank_mask:0xf bound_ctrl:1
	v_cvt_f32_i32_dpp v7, v7 row_shr:8 row_mask:0xf bank_mask:0xf bound_ctrl:1
	;; [unrolled: 1-line block ×4, first 2 shown]
	v_add_f32_e32 v6, v109, v6
	v_cvt_i32_f32_e32 v10, v6
	v_add_f32_e32 v7, v108, v7
	v_cvt_i32_f32_e32 v11, v7
	v_add_f32_e32 v8, v107, v8
	v_cvt_f32_i32_dpp v10, v10 row_shr:4 row_mask:0xf bank_mask:0xf bound_ctrl:1
	v_cvt_i32_f32_e32 v12, v8
	v_cvt_f32_i32_dpp v11, v11 row_shr:4 row_mask:0xf bank_mask:0xf bound_ctrl:1
	v_add_f32_e32 v9, v106, v9
	v_add_f32_e32 v6, v6, v10
	v_cvt_i32_f32_e32 v10, v6
	v_add_f32_e32 v7, v7, v11
	v_cvt_i32_f32_e32 v11, v7
	v_cvt_f32_i32_dpp v12, v12 row_shr:4 row_mask:0xf bank_mask:0xf bound_ctrl:1
	v_cvt_f32_i32_dpp v10, v10 row_shr:2 row_mask:0xf bank_mask:0xf bound_ctrl:1
	v_cvt_i32_f32_e32 v13, v9
	v_cvt_f32_i32_dpp v11, v11 row_shr:2 row_mask:0xf bank_mask:0xf bound_ctrl:1
	v_add_f32_e32 v8, v8, v12
	v_add_f32_e32 v6, v6, v10
	v_cvt_i32_f32_e32 v10, v6
	v_add_f32_e32 v7, v7, v11
	v_cvt_i32_f32_e32 v11, v7
	v_cvt_i32_f32_e32 v12, v8
	v_cvt_f32_i32_dpp v10, v10 row_shr:1 row_mask:0xf bank_mask:0xf bound_ctrl:1
	v_cvt_f32_i32_dpp v13, v13 row_shr:4 row_mask:0xf bank_mask:0xf bound_ctrl:1
	;; [unrolled: 1-line block ×4, first 2 shown]
	v_add_f32_e32 v6, v6, v10
	v_cvt_i32_f32_e32 v10, v6
	v_add_f32_e32 v7, v7, v11
	v_cvt_i32_f32_e32 v11, v7
	v_add_f32_e32 v12, v8, v12
	v_cvt_f32_i32_dpp v10, v10 row_bcast:15 row_mask:0xf bank_mask:0xf bound_ctrl:1
	v_add_f32_e32 v9, v9, v13
	v_cvt_i32_f32_e32 v13, v12
	v_cvt_f32_i32_dpp v11, v11 row_bcast:15 row_mask:0xf bank_mask:0xf bound_ctrl:1
	v_add_f32_e32 v8, v6, v10
	v_cvt_i32_f32_e32 v10, v8
	v_cvt_f32_i32_dpp v13, v13 row_shr:1 row_mask:0xf bank_mask:0xf bound_ctrl:1
	v_add_f32_e32 v6, v7, v11
	v_cvt_i32_f32_e32 v7, v6
	v_mov_b32_dpp v11, v10 row_bcast:31 row_mask:0xf bank_mask:0xf bound_ctrl:1
	v_cvt_i32_f32_e32 v10, v9
	v_add_f32_e32 v12, v12, v13
	v_cvt_i32_f32_e32 v13, v105
	v_cvt_i32_f32_e32 v14, v12
	v_cvt_f32_i32_dpp v15, v10 row_shr:2 row_mask:0xf bank_mask:0xf bound_ctrl:1
	v_mov_b32_dpp v10, v7 row_bcast:31 row_mask:0xf bank_mask:0xf bound_ctrl:1
	v_cvt_f32_i32_dpp v7, v13 row_shr:8 row_mask:0xf bank_mask:0xf bound_ctrl:1
	v_cvt_f32_i32_dpp v13, v14 row_bcast:15 row_mask:0xf bank_mask:0xf bound_ctrl:1
	v_add_f32_e32 v9, v9, v15
	v_cvt_i32_f32_e32 v14, v9
	v_add_f32_e32 v15, v105, v7
	v_cvt_i32_f32_e32 v16, v15
	v_add_f32_e32 v7, v12, v13
	v_cvt_f32_i32_dpp v12, v14 row_shr:1 row_mask:0xf bank_mask:0xf bound_ctrl:1
	v_cvt_i32_f32_e32 v13, v104
	v_cvt_f32_i32_dpp v14, v16 row_shr:4 row_mask:0xf bank_mask:0xf bound_ctrl:1
	v_cvt_i32_f32_e32 v16, v7
	v_add_f32_e32 v9, v9, v12
	v_cvt_f32_i32_dpp v12, v13 row_shr:8 row_mask:0xf bank_mask:0xf bound_ctrl:1
	v_add_f32_e32 v14, v15, v14
	v_cvt_i32_f32_e32 v13, v14
	v_cvt_i32_f32_e32 v15, v9
	v_add_f32_e32 v12, v104, v12
	v_cvt_i32_f32_e32 v17, v12
	v_cvt_f32_i32_dpp v18, v13 row_shr:2 row_mask:0xf bank_mask:0xf bound_ctrl:1
	v_mov_b32_dpp v13, v16 row_bcast:31 row_mask:0xf bank_mask:0xf bound_ctrl:1
	v_cvt_f32_i32_dpp v15, v15 row_bcast:15 row_mask:0xf bank_mask:0xf bound_ctrl:1
	v_cvt_f32_i32_dpp v16, v17 row_shr:4 row_mask:0xf bank_mask:0xf bound_ctrl:1
	v_add_f32_e32 v14, v14, v18
	v_cvt_i32_f32_e32 v17, v14
	v_add_f32_e32 v9, v9, v15
	v_add_f32_e32 v12, v12, v16
	v_cvt_i32_f32_e32 v15, v12
	v_cvt_f32_i32_dpp v16, v17 row_shr:1 row_mask:0xf bank_mask:0xf bound_ctrl:1
	v_cvt_i32_f32_e32 v17, v103
	v_cvt_i32_f32_e32 v18, v9
	v_cvt_f32_i32_dpp v15, v15 row_shr:2 row_mask:0xf bank_mask:0xf bound_ctrl:1
	v_add_f32_e32 v14, v14, v16
	v_cvt_f32_i32_dpp v16, v17 row_shr:8 row_mask:0xf bank_mask:0xf bound_ctrl:1
	v_cvt_i32_f32_e32 v17, v14
	v_add_f32_e32 v19, v12, v15
	v_cvt_i32_f32_e32 v12, v19
	v_add_f32_e32 v16, v103, v16
	v_cvt_i32_f32_e32 v20, v16
	v_cvt_f32_i32_dpp v17, v17 row_bcast:15 row_mask:0xf bank_mask:0xf bound_ctrl:1
	v_mov_b32_dpp v15, v18 row_bcast:31 row_mask:0xf bank_mask:0xf bound_ctrl:1
	v_cvt_f32_i32_dpp v21, v12 row_shr:1 row_mask:0xf bank_mask:0xf bound_ctrl:1
	v_cvt_f32_i32_dpp v18, v20 row_shr:4 row_mask:0xf bank_mask:0xf bound_ctrl:1
	v_add_f32_e32 v12, v14, v17
	v_cvt_i32_f32_e32 v17, v102
	v_add_f32_e32 v14, v19, v21
	v_add_f32_e32 v16, v16, v18
	v_cvt_i32_f32_e32 v18, v16
	v_cvt_f32_i32_dpp v17, v17 row_shr:8 row_mask:0xf bank_mask:0xf bound_ctrl:1
	v_cvt_i32_f32_e32 v19, v14
	v_cvt_i32_f32_e32 v20, v12
	v_cvt_f32_i32_dpp v18, v18 row_shr:2 row_mask:0xf bank_mask:0xf bound_ctrl:1
	v_add_f32_e32 v17, v102, v17
	v_cvt_i32_f32_e32 v21, v17
	v_cvt_f32_i32_dpp v19, v19 row_bcast:15 row_mask:0xf bank_mask:0xf bound_ctrl:1
	v_add_f32_e32 v16, v16, v18
	v_cvt_i32_f32_e32 v22, v16
	v_mov_b32_dpp v18, v20 row_bcast:31 row_mask:0xf bank_mask:0xf bound_ctrl:1
	v_cvt_f32_i32_dpp v20, v21 row_shr:4 row_mask:0xf bank_mask:0xf bound_ctrl:1
	v_cvt_i32_f32_e32 v21, v101
	v_add_f32_e32 v14, v14, v19
	v_cvt_f32_i32_dpp v19, v22 row_shr:1 row_mask:0xf bank_mask:0xf bound_ctrl:1
	v_add_f32_e32 v17, v17, v20
	v_cvt_f32_i32_dpp v21, v21 row_shr:8 row_mask:0xf bank_mask:0xf bound_ctrl:1
	v_cvt_i32_f32_e32 v20, v17
	v_add_f32_e32 v16, v16, v19
	v_cvt_i32_f32_e32 v22, v14
	v_add_f32_e32 v21, v101, v21
	v_cvt_f32_i32_dpp v19, v20 row_shr:2 row_mask:0xf bank_mask:0xf bound_ctrl:1
	v_cvt_i32_f32_e32 v20, v16
	v_cvt_i32_f32_e32 v23, v21
	v_add_f32_e32 v17, v17, v19
	v_cvt_f32_i32_dpp v20, v20 row_bcast:15 row_mask:0xf bank_mask:0xf bound_ctrl:1
	v_cvt_f32_i32_dpp v23, v23 row_shr:4 row_mask:0xf bank_mask:0xf bound_ctrl:1
	v_cvt_i32_f32_e32 v24, v17
	v_mov_b32_dpp v19, v22 row_bcast:31 row_mask:0xf bank_mask:0xf bound_ctrl:1
	v_add_f32_e32 v16, v16, v20
	v_add_f32_e32 v20, v21, v23
	v_cvt_f32_i32_dpp v22, v24 row_shr:1 row_mask:0xf bank_mask:0xf bound_ctrl:1
	v_cvt_i32_f32_e32 v21, v20
	v_cvt_i32_f32_e32 v24, v16
	v_add_f32_e32 v17, v17, v22
	v_cvt_i32_f32_e32 v22, v100
	v_cvt_f32_i32_dpp v21, v21 row_shr:2 row_mask:0xf bank_mask:0xf bound_ctrl:1
	v_cvt_i32_f32_e32 v23, v17
	v_cvt_f32_i32_dpp v22, v22 row_shr:8 row_mask:0xf bank_mask:0xf bound_ctrl:1
	v_add_f32_e32 v21, v20, v21
	v_cvt_i32_f32_e32 v25, v21
	v_cvt_f32_i32_dpp v23, v23 row_bcast:15 row_mask:0xf bank_mask:0xf bound_ctrl:1
	v_add_f32_e32 v22, v100, v22
	v_cvt_i32_f32_e32 v26, v22
	v_mov_b32_dpp v20, v24 row_bcast:31 row_mask:0xf bank_mask:0xf bound_ctrl:1
	v_cvt_f32_i32_dpp v24, v25 row_shr:1 row_mask:0xf bank_mask:0xf bound_ctrl:1
	v_add_f32_e32 v17, v17, v23
	v_cvt_f32_i32_dpp v23, v26 row_shr:4 row_mask:0xf bank_mask:0xf bound_ctrl:1
	v_cvt_i32_f32_e32 v25, v17
	v_add_f32_e32 v21, v21, v24
	v_cvt_i32_f32_e32 v24, v99
	v_add_f32_e32 v23, v22, v23
	v_cvt_i32_f32_e32 v26, v23
	v_cvt_i32_f32_e32 v27, v21
	v_cvt_f32_i32_dpp v24, v24 row_shr:8 row_mask:0xf bank_mask:0xf bound_ctrl:1
	v_mov_b32_dpp v22, v25 row_bcast:31 row_mask:0xf bank_mask:0xf bound_ctrl:1
	v_cvt_f32_i32_dpp v25, v26 row_shr:2 row_mask:0xf bank_mask:0xf bound_ctrl:1
	v_cvt_f32_i32_dpp v26, v27 row_bcast:15 row_mask:0xf bank_mask:0xf bound_ctrl:1
	v_add_f32_e32 v24, v99, v24
	v_cvt_i32_f32_e32 v27, v24
	v_add_f32_e32 v23, v23, v25
	v_cvt_i32_f32_e32 v25, v98
	v_cvt_i32_f32_e32 v28, v23
	v_cvt_f32_i32_dpp v27, v27 row_shr:4 row_mask:0xf bank_mask:0xf bound_ctrl:1
	v_add_f32_e32 v21, v21, v26
	v_cvt_f32_i32_dpp v25, v25 row_shr:8 row_mask:0xf bank_mask:0xf bound_ctrl:1
	v_cvt_f32_i32_dpp v26, v28 row_shr:1 row_mask:0xf bank_mask:0xf bound_ctrl:1
	v_add_f32_e32 v24, v24, v27
	v_cvt_i32_f32_e32 v27, v24
	v_add_f32_e32 v25, v98, v25
	v_cvt_i32_f32_e32 v28, v25
	v_add_f32_e32 v23, v23, v26
	v_cvt_f32_i32_dpp v27, v27 row_shr:2 row_mask:0xf bank_mask:0xf bound_ctrl:1
	v_cvt_i32_f32_e32 v29, v21
	v_cvt_f32_i32_dpp v26, v28 row_shr:4 row_mask:0xf bank_mask:0xf bound_ctrl:1
	v_cvt_i32_f32_e32 v28, v23
	v_add_f32_e32 v24, v24, v27
	v_cvt_i32_f32_e32 v27, v24
	v_add_f32_e32 v25, v25, v26
	v_cvt_i32_f32_e32 v26, v25
	v_cvt_f32_i32_dpp v30, v28 row_bcast:15 row_mask:0xf bank_mask:0xf bound_ctrl:1
	v_cvt_f32_i32_dpp v27, v27 row_shr:1 row_mask:0xf bank_mask:0xf bound_ctrl:1
	v_mov_b32_dpp v28, v29 row_bcast:31 row_mask:0xf bank_mask:0xf bound_ctrl:1
	v_cvt_f32_i32_dpp v26, v26 row_shr:2 row_mask:0xf bank_mask:0xf bound_ctrl:1
	v_add_f32_e32 v23, v23, v30
	v_add_f32_e32 v24, v24, v27
	v_cvt_i32_f32_e32 v27, v81
	v_add_f32_e32 v25, v25, v26
	v_cvt_i32_f32_e32 v26, v25
	v_cvt_i32_f32_e32 v29, v24
	v_cvt_f32_i32_dpp v27, v27 row_shr:8 row_mask:0xf bank_mask:0xf bound_ctrl:1
	v_cvt_i32_f32_e32 v30, v23
	v_cvt_f32_i32_dpp v26, v26 row_shr:1 row_mask:0xf bank_mask:0xf bound_ctrl:1
	v_cvt_f32_i32_dpp v29, v29 row_bcast:15 row_mask:0xf bank_mask:0xf bound_ctrl:1
	v_add_f32_e32 v27, v81, v27
	v_cvt_i32_f32_e32 v31, v27
	v_add_f32_e32 v25, v25, v26
	v_cvt_i32_f32_e32 v26, v25
	v_add_f32_e32 v24, v24, v29
	v_cvt_f32_i32_dpp v31, v31 row_shr:4 row_mask:0xf bank_mask:0xf bound_ctrl:1
	v_cvt_i32_f32_e32 v29, v79
	v_cvt_f32_i32_dpp v26, v26 row_bcast:15 row_mask:0xf bank_mask:0xf bound_ctrl:1
	v_cvt_i32_f32_e32 v32, v24
	v_add_f32_e32 v27, v27, v31
	v_cvt_i32_f32_e32 v31, v27
	v_cvt_f32_i32_dpp v29, v29 row_shr:8 row_mask:0xf bank_mask:0xf bound_ctrl:1
	v_add_f32_e32 v25, v25, v26
	v_mov_b32_dpp v30, v30 row_bcast:31 row_mask:0xf bank_mask:0xf bound_ctrl:1
	v_cvt_f32_i32_dpp v26, v31 row_shr:2 row_mask:0xf bank_mask:0xf bound_ctrl:1
	v_add_f32_e32 v29, v79, v29
	v_cvt_i32_f32_e32 v33, v29
	v_cvt_i32_f32_e32 v31, v25
	v_add_f32_e32 v26, v27, v26
	v_cvt_i32_f32_e32 v34, v26
	v_cvt_f32_i32_dpp v33, v33 row_shr:4 row_mask:0xf bank_mask:0xf bound_ctrl:1
	v_mov_b32_dpp v27, v31 row_bcast:31 row_mask:0xf bank_mask:0xf bound_ctrl:1
	v_mov_b32_dpp v32, v32 row_bcast:31 row_mask:0xf bank_mask:0xf bound_ctrl:1
	v_cvt_f32_i32_dpp v31, v34 row_shr:1 row_mask:0xf bank_mask:0xf bound_ctrl:1
	v_cvt_i32_f32_e32 v34, v77
	v_add_f32_e32 v29, v29, v33
	v_cvt_i32_f32_e32 v33, v71
	v_add_f32_e32 v26, v26, v31
	v_cvt_f32_i32_dpp v34, v34 row_shr:8 row_mask:0xf bank_mask:0xf bound_ctrl:1
	v_cvt_i32_f32_e32 v35, v29
	v_cvt_f32_i32_dpp v31, v33 row_shr:8 row_mask:0xf bank_mask:0xf bound_ctrl:1
	v_cvt_i32_f32_e32 v37, v26
	v_add_f32_e32 v34, v77, v34
	v_cvt_f32_i32_dpp v33, v35 row_shr:2 row_mask:0xf bank_mask:0xf bound_ctrl:1
	v_add_f32_e32 v31, v71, v31
	v_cvt_i32_f32_e32 v35, v34
	v_cvt_i32_f32_e32 v36, v31
	v_add_f32_e32 v29, v29, v33
	v_cvt_f32_i32_dpp v37, v37 row_bcast:15 row_mask:0xf bank_mask:0xf bound_ctrl:1
	v_cvt_f32_i32_dpp v35, v35 row_shr:4 row_mask:0xf bank_mask:0xf bound_ctrl:1
	v_cvt_f32_i32_dpp v33, v36 row_shr:4 row_mask:0xf bank_mask:0xf bound_ctrl:1
	v_cvt_i32_f32_e32 v36, v29
	v_add_f32_e32 v34, v34, v35
	v_add_f32_e32 v31, v31, v33
	v_cvt_i32_f32_e32 v35, v34
	v_cvt_i32_f32_e32 v33, v31
	v_cvt_f32_i32_dpp v36, v36 row_shr:1 row_mask:0xf bank_mask:0xf bound_ctrl:1
	v_cvt_f32_i32_dpp v35, v35 row_shr:2 row_mask:0xf bank_mask:0xf bound_ctrl:1
	;; [unrolled: 1-line block ×3, first 2 shown]
	v_add_f32_e32 v29, v29, v36
	v_cvt_i32_f32_e32 v36, v29
	v_add_f32_e32 v34, v34, v35
	v_add_f32_e32 v31, v31, v33
	v_cvt_i32_f32_e32 v35, v34
	v_cvt_i32_f32_e32 v33, v31
	s_waitcnt vmcnt(0)
	v_cvt_f32_i32_dpp v38, v35 row_shr:1 row_mask:0xf bank_mask:0xf bound_ctrl:1
	v_add_f32_e32 v35, v26, v37
	v_cvt_f32_i32_dpp v26, v33 row_shr:1 row_mask:0xf bank_mask:0xf bound_ctrl:1
	v_cvt_f32_i32_dpp v33, v36 row_bcast:15 row_mask:0xf bank_mask:0xf bound_ctrl:1
	v_add_f32_e32 v36, v34, v38
	v_cvt_i32_f32_e32 v34, v36
	v_add_f32_e32 v26, v31, v26
	v_cvt_i32_f32_e32 v31, v26
	v_cvt_i32_f32_e32 v37, v35
	v_cvt_f32_i32_dpp v38, v34 row_bcast:15 row_mask:0xf bank_mask:0xf bound_ctrl:1
	v_add_f32_e32 v34, v29, v33
	v_cvt_f32_i32_dpp v29, v31 row_bcast:15 row_mask:0xf bank_mask:0xf bound_ctrl:1
	v_cvt_i32_f32_e32 v33, v34
	v_add_f32_e32 v31, v36, v38
	v_cvt_i32_f32_e32 v38, v31
	v_add_f32_e32 v26, v26, v29
	v_cvt_i32_f32_e32 v29, v26
	v_mov_b32_dpp v37, v37 row_bcast:31 row_mask:0xf bank_mask:0xf bound_ctrl:1
	v_mov_b32_dpp v36, v33 row_bcast:31 row_mask:0xf bank_mask:0xf bound_ctrl:1
	;; [unrolled: 1-line block ×4, first 2 shown]
	s_and_saveexec_b64 s[30:31], s[0:1]
	s_cbranch_execz .LBB126_72
; %bb.53:                               ;   in Loop: Header=BB126_13 Depth=1
	s_andn2_b64 vcc, exec, s[26:27]
	v_mov_b32_e32 v53, 0
	v_mov_b32_e32 v52, 0
	v_mov_b32_e32 v51, 0
	v_mov_b32_e32 v50, 0
	v_mov_b32_e32 v49, 0
	v_mov_b32_e32 v48, 0
	v_mov_b32_e32 v46, 0
	v_mov_b32_e32 v44, 0
	v_mov_b32_e32 v47, 0
	v_mov_b32_e32 v45, 0
	v_mov_b32_e32 v43, 0
	v_mov_b32_e32 v42, 0
	v_mov_b32_e32 v41, 0
	v_mov_b32_e32 v40, 0
	v_mov_b32_e32 v39, 0
	v_mov_b32_e32 v38, 0
	s_cbranch_vccnz .LBB126_55
; %bb.54:                               ;   in Loop: Header=BB126_13 Depth=1
	v_mul_hi_u32 v38, v70, v1
	v_mul_lo_u32 v38, v38, s10
	v_sub_u32_e32 v38, v70, v38
	v_subrev_u32_e32 v39, s10, v38
	v_cmp_le_u32_e32 vcc, s10, v38
	v_mul_hi_u32 v40, v80, v1
	v_mul_lo_u32 v40, v40, s10
	v_cndmask_b32_e32 v38, v38, v39, vcc
	v_subrev_u32_e32 v39, s10, v38
	v_cmp_le_u32_e32 vcc, s10, v38
	v_sub_u32_e32 v40, v80, v40
	v_subrev_u32_e32 v41, s10, v40
	v_cndmask_b32_e32 v72, v38, v39, vcc
	v_cmp_le_u32_e32 vcc, s10, v40
	v_mov_b32_e32 v51, v73
	v_mov_b32_e32 v55, v73
	v_cndmask_b32_e32 v40, v40, v41, vcc
	v_subrev_u32_e32 v41, s10, v40
	v_cmp_le_u32_e32 vcc, s10, v40
	v_mov_b32_e32 v57, v73
	v_add_u32_e32 v48, s39, v72
	v_cndmask_b32_e32 v40, v40, v41, vcc
	v_mov_b32_e32 v41, v73
	v_lshl_add_u64 v[42:43], v[40:41], 1, s[18:19]
	v_mul_hi_u32 v41, v78, v1
	v_mul_lo_u32 v41, v41, s10
	v_sub_u32_e32 v41, v78, v41
	v_subrev_u32_e32 v44, s10, v41
	v_cmp_le_u32_e32 vcc, s10, v41
	v_add_u32_e32 v50, s39, v40
	v_mov_b32_e32 v49, v73
	v_cndmask_b32_e32 v41, v41, v44, vcc
	v_subrev_u32_e32 v44, s10, v41
	v_cmp_le_u32_e32 vcc, s10, v41
	v_lshl_add_u64 v[58:59], v[50:51], 1, s[18:19]
	v_lshl_add_u64 v[38:39], v[72:73], 1, s[18:19]
	v_cndmask_b32_e32 v54, v41, v44, vcc
	v_mul_hi_u32 v41, v76, v1
	v_mul_lo_u32 v41, v41, s10
	v_sub_u32_e32 v41, v76, v41
	v_subrev_u32_e32 v46, s10, v41
	v_cmp_le_u32_e32 vcc, s10, v41
	v_add_u32_e32 v50, s39, v54
	v_lshl_add_u64 v[44:45], v[54:55], 1, s[18:19]
	v_cndmask_b32_e32 v41, v41, v46, vcc
	v_subrev_u32_e32 v46, s10, v41
	v_cmp_le_u32_e32 vcc, s10, v41
	v_lshl_add_u64 v[48:49], v[48:49], 1, s[18:19]
	v_lshl_add_u64 v[60:61], v[50:51], 1, s[18:19]
	v_cndmask_b32_e32 v56, v41, v46, vcc
	v_lshl_add_u64 v[46:47], v[56:57], 1, s[18:19]
	v_add_u32_e32 v50, s39, v56
	v_lshl_add_u64 v[62:63], v[50:51], 1, s[18:19]
	global_load_ushort v53, v[38:39], off
	global_load_ushort v52, v[42:43], off
	;; [unrolled: 1-line block ×4, first 2 shown]
	s_nop 0
	global_load_ushort v49, v[48:49], off
	s_nop 0
	global_load_ushort v48, v[58:59], off
	global_load_ushort v46, v[60:61], off
                                        ; kill: killed $vgpr58_vgpr59
                                        ; kill: killed $vgpr60_vgpr61
	global_load_ushort v44, v[62:63], off
	v_add_u32_e32 v38, s40, v72
	v_add_u32_e32 v72, s41, v72
	v_lshl_add_u64 v[62:63], v[72:73], 1, s[18:19]
	v_add_u32_e32 v72, s41, v40
	v_mov_b32_e32 v39, v73
	v_add_u32_e32 v42, s40, v40
	v_mov_b32_e32 v43, v73
	v_lshl_add_u64 v[64:65], v[72:73], 1, s[18:19]
	v_add_u32_e32 v72, s41, v54
	v_lshl_add_u64 v[38:39], v[38:39], 1, s[18:19]
	v_lshl_add_u64 v[42:43], v[42:43], 1, s[18:19]
	v_add_u32_e32 v58, s40, v54
	v_mov_b32_e32 v59, v73
	v_add_u32_e32 v60, s40, v56
	v_mov_b32_e32 v61, v73
	v_lshl_add_u64 v[54:55], v[72:73], 1, s[18:19]
	v_add_u32_e32 v72, s41, v56
	v_lshl_add_u64 v[58:59], v[58:59], 1, s[18:19]
	v_lshl_add_u64 v[60:61], v[60:61], 1, s[18:19]
	v_lshl_add_u64 v[56:57], v[72:73], 1, s[18:19]
	global_load_ushort v47, v[38:39], off
	global_load_ushort v45, v[42:43], off
	s_nop 0
	global_load_ushort v43, v[58:59], off
	global_load_ushort v42, v[60:61], off
	;; [unrolled: 1-line block ×6, first 2 shown]
.LBB126_55:                             ;   in Loop: Header=BB126_13 Depth=1
	v_cmp_ne_u32_e32 vcc, 0, v2
	s_and_saveexec_b64 s[4:5], vcc
	s_cbranch_execnz .LBB126_77
; %bb.56:                               ;   in Loop: Header=BB126_13 Depth=1
	s_or_b64 exec, exec, s[4:5]
	v_cmp_ne_u32_e64 s[4:5], 0, v3
	s_and_saveexec_b64 s[6:7], s[4:5]
	s_cbranch_execnz .LBB126_78
.LBB126_57:                             ;   in Loop: Header=BB126_13 Depth=1
	s_or_b64 exec, exec, s[6:7]
	v_cmp_ne_u32_e64 s[6:7], 0, v4
	s_and_saveexec_b64 s[8:9], s[6:7]
	s_cbranch_execnz .LBB126_79
.LBB126_58:                             ;   in Loop: Header=BB126_13 Depth=1
	s_or_b64 exec, exec, s[8:9]
	v_cmp_ne_u32_e64 s[8:9], 0, v5
	s_and_saveexec_b64 s[34:35], s[8:9]
	s_cbranch_execnz .LBB126_80
.LBB126_59:                             ;   in Loop: Header=BB126_13 Depth=1
	s_or_b64 exec, exec, s[34:35]
	v_add_u32_e32 v72, s15, v70
	s_and_saveexec_b64 s[34:35], vcc
	s_cbranch_execnz .LBB126_81
.LBB126_60:                             ;   in Loop: Header=BB126_13 Depth=1
	s_or_b64 exec, exec, s[34:35]
	s_and_saveexec_b64 s[34:35], s[4:5]
	s_cbranch_execnz .LBB126_82
.LBB126_61:                             ;   in Loop: Header=BB126_13 Depth=1
	s_or_b64 exec, exec, s[34:35]
	s_and_saveexec_b64 s[34:35], s[6:7]
	s_cbranch_execnz .LBB126_83
.LBB126_62:                             ;   in Loop: Header=BB126_13 Depth=1
	s_or_b64 exec, exec, s[34:35]
	s_and_saveexec_b64 s[34:35], s[8:9]
	s_cbranch_execnz .LBB126_84
.LBB126_63:                             ;   in Loop: Header=BB126_13 Depth=1
	s_or_b64 exec, exec, s[34:35]
	v_add_u32_e32 v72, s15, v72
	s_and_saveexec_b64 s[34:35], vcc
	s_cbranch_execnz .LBB126_85
.LBB126_64:                             ;   in Loop: Header=BB126_13 Depth=1
	s_or_b64 exec, exec, s[34:35]
	s_and_saveexec_b64 s[34:35], s[4:5]
	s_cbranch_execnz .LBB126_86
.LBB126_65:                             ;   in Loop: Header=BB126_13 Depth=1
	s_or_b64 exec, exec, s[34:35]
	s_and_saveexec_b64 s[34:35], s[6:7]
	s_cbranch_execnz .LBB126_87
.LBB126_66:                             ;   in Loop: Header=BB126_13 Depth=1
	s_or_b64 exec, exec, s[34:35]
	s_and_saveexec_b64 s[34:35], s[8:9]
	s_cbranch_execnz .LBB126_88
.LBB126_67:                             ;   in Loop: Header=BB126_13 Depth=1
	s_or_b64 exec, exec, s[34:35]
	v_add_u32_e32 v72, s15, v72
	s_and_saveexec_b64 s[34:35], vcc
	s_cbranch_execnz .LBB126_89
.LBB126_68:                             ;   in Loop: Header=BB126_13 Depth=1
	s_or_b64 exec, exec, s[34:35]
	s_and_saveexec_b64 s[34:35], s[4:5]
	s_cbranch_execnz .LBB126_90
.LBB126_69:                             ;   in Loop: Header=BB126_13 Depth=1
	s_or_b64 exec, exec, s[34:35]
	s_and_saveexec_b64 s[4:5], s[6:7]
	s_cbranch_execnz .LBB126_91
.LBB126_70:                             ;   in Loop: Header=BB126_13 Depth=1
	s_or_b64 exec, exec, s[4:5]
	s_and_b64 exec, exec, s[8:9]
	s_cbranch_execz .LBB126_72
.LBB126_71:                             ;   in Loop: Header=BB126_13 Depth=1
	v_cvt_f32_i32_e32 v6, v29
	s_waitcnt vmcnt(0)
	v_cvt_f32_f16_e32 v7, v38
	v_add_u32_e32 v72, 3, v72
	v_add_f32_e32 v6, v26, v6
	v_add_f32_e32 v6, v6, v7
	v_cvt_f16_f32_e32 v8, v6
	s_waitcnt lgkmcnt(0)
	v_lshl_add_u64 v[6:7], v[72:73], 1, s[22:23]
	global_store_short v[6:7], v8, off
.LBB126_72:                             ;   in Loop: Header=BB126_13 Depth=1
	s_or_b64 exec, exec, s[30:31]
	v_add_u32_e32 v70, s38, v70
	v_add_u32_e32 v6, 4, v70
	v_cmp_gt_u32_e32 vcc, s15, v70
	v_cmp_le_u32_e64 s[4:5], s15, v6
	s_and_b64 s[4:5], vcc, s[4:5]
	s_and_saveexec_b64 s[6:7], s[4:5]
	s_cbranch_execz .LBB126_12
; %bb.73:                               ;   in Loop: Header=BB126_13 Depth=1
	v_cmp_ne_u32_e32 vcc, s11, v70
	s_and_saveexec_b64 s[8:9], vcc
	s_cbranch_execz .LBB126_11
; %bb.74:                               ;   in Loop: Header=BB126_13 Depth=1
	v_subrev_u32_e32 v6, s11, v70
	v_cmp_lt_u32_e32 vcc, 1, v6
	s_mov_b64 s[30:31], 0
	s_mov_b64 s[34:35], 0
	v_cndmask_b32_e32 v6, 1, v6, vcc
.LBB126_75:                             ;   Parent Loop BB126_13 Depth=1
                                        ; =>  This Inner Loop Header: Depth=2
	s_cmp_lg_u32 s34, 3
	s_cselect_b64 vcc, -1, 0
	s_cmp_lg_u32 s34, 2
	v_cndmask_b32_e32 v5, 0, v5, vcc
	s_cselect_b64 vcc, -1, 0
	s_cmp_lg_u32 s34, 1
	v_cndmask_b32_e32 v4, 0, v4, vcc
	;; [unrolled: 3-line block ×3, first 2 shown]
	s_cselect_b64 vcc, -1, 0
	s_add_u32 s34, s34, 1
	s_addc_u32 s35, s35, 0
	v_cmp_eq_u32_e64 s[4:5], s34, v6
	s_or_b64 s[30:31], s[4:5], s[30:31]
	v_cndmask_b32_e32 v2, 0, v2, vcc
	s_andn2_b64 exec, exec, s[30:31]
	s_cbranch_execnz .LBB126_75
; %bb.76:                               ;   in Loop: Header=BB126_13 Depth=1
	s_or_b64 exec, exec, s[30:31]
	s_branch .LBB126_11
.LBB126_77:                             ;   in Loop: Header=BB126_13 Depth=1
	v_cvt_f32_i32_e32 v11, v11
	s_waitcnt vmcnt(15)
	v_cvt_f32_f16_e32 v53, v53
	v_mov_b32_e32 v71, v73
	s_waitcnt lgkmcnt(0)
	v_lshl_add_u64 v[54:55], v[70:71], 1, s[22:23]
	v_add_f32_e32 v8, v8, v11
	v_add_f32_e32 v8, v8, v53
	v_cvt_f16_f32_e32 v8, v8
	global_store_short v[54:55], v8, off
	s_or_b64 exec, exec, s[4:5]
	v_cmp_ne_u32_e64 s[4:5], 0, v3
	s_and_saveexec_b64 s[6:7], s[4:5]
	s_cbranch_execz .LBB126_57
.LBB126_78:                             ;   in Loop: Header=BB126_13 Depth=1
	v_cvt_f32_i32_e32 v8, v10
	s_waitcnt vmcnt(14)
	v_cvt_f32_f16_e32 v10, v52
	v_mov_b32_e32 v81, v73
	v_add_f32_e32 v6, v6, v8
	v_add_f32_e32 v6, v6, v10
	v_cvt_f16_f32_e32 v6, v6
	s_waitcnt lgkmcnt(0)
	v_lshl_add_u64 v[10:11], v[80:81], 1, s[22:23]
	global_store_short v[10:11], v6, off
	s_or_b64 exec, exec, s[6:7]
	v_cmp_ne_u32_e64 s[6:7], 0, v4
	s_and_saveexec_b64 s[8:9], s[6:7]
	s_cbranch_execz .LBB126_58
.LBB126_79:                             ;   in Loop: Header=BB126_13 Depth=1
	v_cvt_f32_i32_e32 v6, v13
	s_waitcnt vmcnt(13)
	v_cvt_f32_f16_e32 v8, v51
	v_mov_b32_e32 v79, v73
	v_add_f32_e32 v6, v7, v6
	v_add_f32_e32 v6, v6, v8
	v_cvt_f16_f32_e32 v8, v6
	s_waitcnt lgkmcnt(0)
	v_lshl_add_u64 v[6:7], v[78:79], 1, s[22:23]
	global_store_short v[6:7], v8, off
	s_or_b64 exec, exec, s[8:9]
	v_cmp_ne_u32_e64 s[8:9], 0, v5
	s_and_saveexec_b64 s[34:35], s[8:9]
	s_cbranch_execz .LBB126_59
.LBB126_80:                             ;   in Loop: Header=BB126_13 Depth=1
	v_cvt_f32_i32_e32 v6, v15
	s_waitcnt vmcnt(12)
	v_cvt_f32_f16_e32 v7, v50
	v_mov_b32_e32 v77, v73
	v_add_f32_e32 v6, v9, v6
	v_add_f32_e32 v6, v6, v7
	v_cvt_f16_f32_e32 v8, v6
	s_waitcnt lgkmcnt(0)
	v_lshl_add_u64 v[6:7], v[76:77], 1, s[22:23]
	global_store_short v[6:7], v8, off
	s_or_b64 exec, exec, s[34:35]
	v_add_u32_e32 v72, s15, v70
	s_and_saveexec_b64 s[34:35], vcc
	s_cbranch_execz .LBB126_60
.LBB126_81:                             ;   in Loop: Header=BB126_13 Depth=1
	v_cvt_f32_i32_e32 v6, v18
	s_waitcnt vmcnt(11)
	v_cvt_f32_f16_e32 v7, v49
	v_add_f32_e32 v6, v12, v6
	v_add_f32_e32 v6, v6, v7
	v_cvt_f16_f32_e32 v8, v6
	s_waitcnt lgkmcnt(0)
	v_lshl_add_u64 v[6:7], v[72:73], 1, s[22:23]
	global_store_short v[6:7], v8, off
	s_or_b64 exec, exec, s[34:35]
	s_and_saveexec_b64 s[34:35], s[4:5]
	s_cbranch_execz .LBB126_61
.LBB126_82:                             ;   in Loop: Header=BB126_13 Depth=1
	v_cvt_f32_i32_e32 v6, v19
	s_waitcnt vmcnt(10)
	v_cvt_f32_f16_e32 v7, v48
	v_add_f32_e32 v6, v14, v6
	v_add_f32_e32 v6, v6, v7
	v_cvt_f16_f32_e32 v8, v6
	v_add_u32_e32 v6, 1, v72
	v_mov_b32_e32 v7, v73
	s_waitcnt lgkmcnt(0)
	v_lshl_add_u64 v[6:7], v[6:7], 1, s[22:23]
	global_store_short v[6:7], v8, off
	s_or_b64 exec, exec, s[34:35]
	s_and_saveexec_b64 s[34:35], s[6:7]
	s_cbranch_execz .LBB126_62
.LBB126_83:                             ;   in Loop: Header=BB126_13 Depth=1
	v_cvt_f32_i32_e32 v6, v20
	s_waitcnt vmcnt(9)
	v_cvt_f32_f16_e32 v7, v46
	v_add_f32_e32 v6, v16, v6
	v_add_f32_e32 v6, v6, v7
	v_cvt_f16_f32_e32 v8, v6
	v_add_u32_e32 v6, 2, v72
	v_mov_b32_e32 v7, v73
	s_waitcnt lgkmcnt(0)
	v_lshl_add_u64 v[6:7], v[6:7], 1, s[22:23]
	global_store_short v[6:7], v8, off
	s_or_b64 exec, exec, s[34:35]
	s_and_saveexec_b64 s[34:35], s[8:9]
	s_cbranch_execz .LBB126_63
.LBB126_84:                             ;   in Loop: Header=BB126_13 Depth=1
	v_cvt_f32_i32_e32 v6, v22
	s_waitcnt vmcnt(8)
	v_cvt_f32_f16_e32 v7, v44
	v_add_f32_e32 v6, v17, v6
	v_add_f32_e32 v6, v6, v7
	v_cvt_f16_f32_e32 v8, v6
	v_add_u32_e32 v6, 3, v72
	v_mov_b32_e32 v7, v73
	s_waitcnt lgkmcnt(0)
	v_lshl_add_u64 v[6:7], v[6:7], 1, s[22:23]
	global_store_short v[6:7], v8, off
	s_or_b64 exec, exec, s[34:35]
	v_add_u32_e32 v72, s15, v72
	s_and_saveexec_b64 s[34:35], vcc
	s_cbranch_execz .LBB126_64
.LBB126_85:                             ;   in Loop: Header=BB126_13 Depth=1
	v_cvt_f32_i32_e32 v6, v28
	s_waitcnt vmcnt(7)
	v_cvt_f32_f16_e32 v7, v47
	v_add_f32_e32 v6, v21, v6
	v_add_f32_e32 v6, v6, v7
	v_cvt_f16_f32_e32 v8, v6
	s_waitcnt lgkmcnt(0)
	v_lshl_add_u64 v[6:7], v[72:73], 1, s[22:23]
	global_store_short v[6:7], v8, off
	s_or_b64 exec, exec, s[34:35]
	s_and_saveexec_b64 s[34:35], s[4:5]
	s_cbranch_execz .LBB126_65
.LBB126_86:                             ;   in Loop: Header=BB126_13 Depth=1
	v_cvt_f32_i32_e32 v6, v30
	s_waitcnt vmcnt(6)
	v_cvt_f32_f16_e32 v7, v45
	v_add_f32_e32 v6, v23, v6
	v_add_f32_e32 v6, v6, v7
	v_cvt_f16_f32_e32 v8, v6
	v_add_u32_e32 v6, 1, v72
	v_mov_b32_e32 v7, v73
	s_waitcnt lgkmcnt(0)
	v_lshl_add_u64 v[6:7], v[6:7], 1, s[22:23]
	global_store_short v[6:7], v8, off
	s_or_b64 exec, exec, s[34:35]
	s_and_saveexec_b64 s[34:35], s[6:7]
	s_cbranch_execz .LBB126_66
.LBB126_87:                             ;   in Loop: Header=BB126_13 Depth=1
	v_cvt_f32_i32_e32 v6, v32
	s_waitcnt vmcnt(5)
	v_cvt_f32_f16_e32 v7, v43
	v_add_f32_e32 v6, v24, v6
	v_add_f32_e32 v6, v6, v7
	v_cvt_f16_f32_e32 v8, v6
	v_add_u32_e32 v6, 2, v72
	v_mov_b32_e32 v7, v73
	s_waitcnt lgkmcnt(0)
	v_lshl_add_u64 v[6:7], v[6:7], 1, s[22:23]
	global_store_short v[6:7], v8, off
	s_or_b64 exec, exec, s[34:35]
	s_and_saveexec_b64 s[34:35], s[8:9]
	s_cbranch_execz .LBB126_67
.LBB126_88:                             ;   in Loop: Header=BB126_13 Depth=1
	v_cvt_f32_i32_e32 v6, v27
	s_waitcnt vmcnt(4)
	v_cvt_f32_f16_e32 v7, v42
	v_add_f32_e32 v6, v25, v6
	v_add_f32_e32 v6, v6, v7
	v_cvt_f16_f32_e32 v8, v6
	v_add_u32_e32 v6, 3, v72
	v_mov_b32_e32 v7, v73
	s_waitcnt lgkmcnt(0)
	v_lshl_add_u64 v[6:7], v[6:7], 1, s[22:23]
	global_store_short v[6:7], v8, off
	s_or_b64 exec, exec, s[34:35]
	v_add_u32_e32 v72, s15, v72
	s_and_saveexec_b64 s[34:35], vcc
	s_cbranch_execz .LBB126_68
.LBB126_89:                             ;   in Loop: Header=BB126_13 Depth=1
	v_cvt_f32_i32_e32 v6, v37
	s_waitcnt vmcnt(3)
	v_cvt_f32_f16_e32 v7, v41
	v_add_f32_e32 v6, v35, v6
	v_add_f32_e32 v6, v6, v7
	v_cvt_f16_f32_e32 v8, v6
	s_waitcnt lgkmcnt(0)
	v_lshl_add_u64 v[6:7], v[72:73], 1, s[22:23]
	global_store_short v[6:7], v8, off
	s_or_b64 exec, exec, s[34:35]
	s_and_saveexec_b64 s[34:35], s[4:5]
	s_cbranch_execz .LBB126_69
.LBB126_90:                             ;   in Loop: Header=BB126_13 Depth=1
	v_cvt_f32_i32_e32 v6, v36
	s_waitcnt vmcnt(2)
	v_cvt_f32_f16_e32 v7, v40
	v_add_f32_e32 v6, v34, v6
	v_add_f32_e32 v6, v6, v7
	v_cvt_f16_f32_e32 v8, v6
	v_add_u32_e32 v6, 1, v72
	v_mov_b32_e32 v7, v73
	s_waitcnt lgkmcnt(0)
	v_lshl_add_u64 v[6:7], v[6:7], 1, s[22:23]
	global_store_short v[6:7], v8, off
	s_or_b64 exec, exec, s[34:35]
	s_and_saveexec_b64 s[4:5], s[6:7]
	s_cbranch_execz .LBB126_70
.LBB126_91:                             ;   in Loop: Header=BB126_13 Depth=1
	v_cvt_f32_i32_e32 v6, v33
	s_waitcnt vmcnt(1)
	v_cvt_f32_f16_e32 v7, v39
	v_add_f32_e32 v6, v31, v6
	v_add_f32_e32 v6, v6, v7
	v_cvt_f16_f32_e32 v8, v6
	v_add_u32_e32 v6, 2, v72
	v_mov_b32_e32 v7, v73
	s_waitcnt lgkmcnt(0)
	v_lshl_add_u64 v[6:7], v[6:7], 1, s[22:23]
	global_store_short v[6:7], v8, off
	s_or_b64 exec, exec, s[4:5]
	s_and_b64 exec, exec, s[8:9]
	s_cbranch_execnz .LBB126_71
	s_branch .LBB126_72
.LBB126_92:
	s_endpgm
	.section	.rodata,"a",@progbits
	.p2align	6, 0x0
	.amdhsa_kernel _Z12wvSplitK_hf_I6__halfLi64ELi4ELi16ELi8ELi2ELi4EEviiiiiiPKT_S3_S3_PS1_ii
		.amdhsa_group_segment_fixed_size 65536
		.amdhsa_private_segment_fixed_size 0
		.amdhsa_kernarg_size 64
		.amdhsa_user_sgpr_count 2
		.amdhsa_user_sgpr_dispatch_ptr 0
		.amdhsa_user_sgpr_queue_ptr 0
		.amdhsa_user_sgpr_kernarg_segment_ptr 1
		.amdhsa_user_sgpr_dispatch_id 0
		.amdhsa_user_sgpr_kernarg_preload_length 0
		.amdhsa_user_sgpr_kernarg_preload_offset 0
		.amdhsa_user_sgpr_private_segment_size 0
		.amdhsa_uses_dynamic_stack 0
		.amdhsa_enable_private_segment 0
		.amdhsa_system_sgpr_workgroup_id_x 1
		.amdhsa_system_sgpr_workgroup_id_y 0
		.amdhsa_system_sgpr_workgroup_id_z 0
		.amdhsa_system_sgpr_workgroup_info 0
		.amdhsa_system_vgpr_workitem_id 1
		.amdhsa_next_free_vgpr 111
		.amdhsa_next_free_sgpr 44
		.amdhsa_accum_offset 112
		.amdhsa_reserve_vcc 1
		.amdhsa_float_round_mode_32 0
		.amdhsa_float_round_mode_16_64 0
		.amdhsa_float_denorm_mode_32 3
		.amdhsa_float_denorm_mode_16_64 3
		.amdhsa_dx10_clamp 1
		.amdhsa_ieee_mode 1
		.amdhsa_fp16_overflow 0
		.amdhsa_tg_split 0
		.amdhsa_exception_fp_ieee_invalid_op 0
		.amdhsa_exception_fp_denorm_src 0
		.amdhsa_exception_fp_ieee_div_zero 0
		.amdhsa_exception_fp_ieee_overflow 0
		.amdhsa_exception_fp_ieee_underflow 0
		.amdhsa_exception_fp_ieee_inexact 0
		.amdhsa_exception_int_div_zero 0
	.end_amdhsa_kernel
	.section	.text._Z12wvSplitK_hf_I6__halfLi64ELi4ELi16ELi8ELi2ELi4EEviiiiiiPKT_S3_S3_PS1_ii,"axG",@progbits,_Z12wvSplitK_hf_I6__halfLi64ELi4ELi16ELi8ELi2ELi4EEviiiiiiPKT_S3_S3_PS1_ii,comdat
.Lfunc_end126:
	.size	_Z12wvSplitK_hf_I6__halfLi64ELi4ELi16ELi8ELi2ELi4EEviiiiiiPKT_S3_S3_PS1_ii, .Lfunc_end126-_Z12wvSplitK_hf_I6__halfLi64ELi4ELi16ELi8ELi2ELi4EEviiiiiiPKT_S3_S3_PS1_ii
                                        ; -- End function
	.section	.AMDGPU.csdata,"",@progbits
; Kernel info:
; codeLenInByte = 6472
; NumSgprs: 50
; NumVgprs: 111
; NumAgprs: 0
; TotalNumVgprs: 111
; ScratchSize: 0
; MemoryBound: 1
; FloatMode: 240
; IeeeMode: 1
; LDSByteSize: 65536 bytes/workgroup (compile time only)
; SGPRBlocks: 6
; VGPRBlocks: 13
; NumSGPRsForWavesPerEU: 50
; NumVGPRsForWavesPerEU: 111
; AccumOffset: 112
; Occupancy: 4
; WaveLimiterHint : 0
; COMPUTE_PGM_RSRC2:SCRATCH_EN: 0
; COMPUTE_PGM_RSRC2:USER_SGPR: 2
; COMPUTE_PGM_RSRC2:TRAP_HANDLER: 0
; COMPUTE_PGM_RSRC2:TGID_X_EN: 1
; COMPUTE_PGM_RSRC2:TGID_Y_EN: 0
; COMPUTE_PGM_RSRC2:TGID_Z_EN: 0
; COMPUTE_PGM_RSRC2:TIDIG_COMP_CNT: 1
; COMPUTE_PGM_RSRC3_GFX90A:ACCUM_OFFSET: 27
; COMPUTE_PGM_RSRC3_GFX90A:TG_SPLIT: 0
	.section	.text._Z16wvSplitK_hf_big_I6__halfLi64ELi4ELi16ELi8ELi2ELi4EEviiiiiiPKT_S3_S3_PS1_ii,"axG",@progbits,_Z16wvSplitK_hf_big_I6__halfLi64ELi4ELi16ELi8ELi2ELi4EEviiiiiiPKT_S3_S3_PS1_ii,comdat
	.protected	_Z16wvSplitK_hf_big_I6__halfLi64ELi4ELi16ELi8ELi2ELi4EEviiiiiiPKT_S3_S3_PS1_ii ; -- Begin function _Z16wvSplitK_hf_big_I6__halfLi64ELi4ELi16ELi8ELi2ELi4EEviiiiiiPKT_S3_S3_PS1_ii
	.globl	_Z16wvSplitK_hf_big_I6__halfLi64ELi4ELi16ELi8ELi2ELi4EEviiiiiiPKT_S3_S3_PS1_ii
	.p2align	8
	.type	_Z16wvSplitK_hf_big_I6__halfLi64ELi4ELi16ELi8ELi2ELi4EEviiiiiiPKT_S3_S3_PS1_ii,@function
_Z16wvSplitK_hf_big_I6__halfLi64ELi4ELi16ELi8ELi2ELi4EEviiiiiiPKT_S3_S3_PS1_ii: ; @_Z16wvSplitK_hf_big_I6__halfLi64ELi4ELi16ELi8ELi2ELi4EEviiiiiiPKT_S3_S3_PS1_ii
; %bb.0:
	s_load_dwordx2 s[8:9], s[0:1], 0x38
	v_bfe_u32 v7, v0, 10, 10
	s_waitcnt lgkmcnt(0)
	v_cmp_gt_u32_e32 vcc, s8, v7
	s_and_saveexec_b64 s[4:5], vcc
	s_cbranch_execz .LBB127_72
; %bb.1:
	s_load_dwordx4 s[20:23], s[0:1], 0x0
	s_mul_i32 s2, s2, s8
	v_add_lshl_u32 v70, s2, v7, 2
	s_mov_b32 s4, 1
	v_add_u32_e32 v1, 4, v70
	s_mov_b32 s5, s4
	s_waitcnt lgkmcnt(0)
	v_cmp_gt_u32_e32 vcc, s23, v70
	v_cmp_le_u32_e64 s[2:3], s23, v1
	s_mov_b32 s6, s4
	s_mov_b32 s7, s4
	v_mov_b64_e32 v[2:3], s[4:5]
	s_and_b64 s[10:11], vcc, s[2:3]
	v_mov_b64_e32 v[4:5], s[6:7]
	s_and_saveexec_b64 s[2:3], s[10:11]
	s_cbranch_execz .LBB127_7
; %bb.2:
	s_add_i32 s16, s23, -4
	v_mov_b64_e32 v[2:3], s[4:5]
	v_cmp_ne_u32_e32 vcc, s16, v70
	v_mov_b64_e32 v[4:5], s[6:7]
	s_and_saveexec_b64 s[10:11], vcc
	s_cbranch_execz .LBB127_6
; %bb.3:
	v_subrev_u32_e32 v1, s16, v70
	v_cmp_lt_u32_e32 vcc, 1, v1
	s_mov_b64 s[12:13], 0
	s_mov_b64 s[14:15], 0
	v_cndmask_b32_e32 v6, 1, v1, vcc
	s_mov_b32 s5, s4
	s_mov_b32 s6, s4
	;; [unrolled: 1-line block ×3, first 2 shown]
.LBB127_4:                              ; =>This Inner Loop Header: Depth=1
	s_cmp_lg_u32 s14, 3
	s_cselect_b32 s7, s7, 0
	s_cmp_lg_u32 s14, 2
	s_cselect_b32 s6, s6, 0
	;; [unrolled: 2-line block ×4, first 2 shown]
	s_add_u32 s14, s14, 1
	s_addc_u32 s15, s15, 0
	v_cmp_eq_u32_e32 vcc, s14, v6
	v_mov_b64_e32 v[2:3], s[4:5]
	s_or_b64 s[12:13], vcc, s[12:13]
	v_mov_b64_e32 v[4:5], s[6:7]
	s_andn2_b64 exec, exec, s[12:13]
	s_cbranch_execnz .LBB127_4
; %bb.5:
	s_or_b64 exec, exec, s[12:13]
	v_mov_b32_e32 v70, s16
.LBB127_6:
	s_or_b64 exec, exec, s[10:11]
.LBB127_7:
	s_or_b64 exec, exec, s[2:3]
	s_lshl_b32 s2, s8, 2
	s_abs_i32 s3, s2
	v_cvt_f32_u32_e32 v1, s3
	s_sub_i32 s6, 0, s3
	s_abs_i32 s5, s23
	s_ashr_i32 s4, s23, 31
	v_rcp_iflag_f32_e32 v1, v1
	s_nop 0
	v_mul_f32_e32 v1, 0x4f7ffffe, v1
	v_cvt_u32_f32_e32 v1, v1
	s_nop 0
	v_readfirstlane_b32 s7, v1
	s_mul_i32 s6, s6, s7
	s_mul_hi_u32 s6, s7, s6
	s_add_i32 s7, s7, s6
	s_mul_hi_u32 s6, s5, s7
	s_mul_i32 s6, s6, s3
	s_sub_i32 s5, s5, s6
	s_sub_i32 s6, s5, s3
	s_cmp_ge_u32 s5, s3
	s_cselect_b32 s5, s6, s5
	s_sub_i32 s6, s5, s3
	s_cmp_ge_u32 s5, s3
	s_cselect_b32 s3, s6, s5
	s_xor_b32 s3, s3, s4
	s_sub_i32 s3, s3, s4
	s_add_i32 s2, s2, s23
	s_sub_i32 s2, s2, s3
	s_cmp_eq_u32 s3, 0
	s_cselect_b32 s33, s23, s2
	v_cmp_gt_u32_e32 vcc, s33, v70
	s_and_b64 exec, exec, vcc
	s_cbranch_execz .LBB127_72
; %bb.8:
	s_load_dwordx8 s[12:19], s[0:1], 0x10
	s_min_u32 s40, s22, 0x2000
	s_cmp_lg_u32 s20, 0
	s_load_dwordx2 s[24:25], s[0:1], 0x30
	s_cselect_b64 s[2:3], -1, 0
	s_cmp_lg_u32 s22, 0
	s_mul_i32 s0, s9, s8
	s_cselect_b64 s[4:5], -1, 0
	s_lshl_b32 s41, s8, 9
	s_add_i32 s42, s20, -8
	s_add_i32 s43, s23, -1
	s_lshl_b32 s44, s0, 2
	s_waitcnt lgkmcnt(0)
	s_cmp_lg_u64 s[18:19], 0
	s_cselect_b64 s[28:29], -1, 0
	s_abs_i32 s6, s13
	v_cvt_f32_u32_e32 v1, s12
	v_cvt_f32_u32_e32 v6, s6
	s_sub_i32 s7, 0, s12
	s_add_i32 s13, s23, -4
	v_rcp_iflag_f32_e32 v1, v1
	v_rcp_iflag_f32_e32 v6, v6
	v_and_b32_e32 v0, 0x3ff, v0
	v_lshlrev_b32_e32 v73, 3, v0
	v_mul_f32_e32 v1, 0x4f7ffffe, v1
	v_mul_f32_e32 v6, 0x4f7ffffe, v6
	v_cvt_u32_f32_e32 v1, v1
	v_cvt_u32_f32_e32 v6, v6
	v_cmp_eq_u32_e64 s[0:1], 63, v0
	v_lshlrev_b32_e32 v0, 4, v0
	v_mul_lo_u32 v8, s7, v1
	s_sub_i32 s7, 0, s6
	v_readfirstlane_b32 s9, v6
	s_mul_i32 s7, s7, s9
	s_mul_hi_u32 s7, s9, s7
	s_add_i32 s9, s9, s7
	s_sub_i32 s7, 1, s6
	s_cmp_lt_u32 s6, 2
	s_cselect_b32 s7, s7, 1
	s_sub_i32 s10, s7, s6
	s_cmp_ge_u32 s7, s6
	s_cselect_b32 s45, s10, s7
	s_lshr_b32 s7, s9, 31
	s_mul_i32 s7, s7, s6
	s_sub_i32 s7, 2, s7
	s_sub_i32 s10, s7, s6
	s_cmp_ge_u32 s7, s6
	s_cselect_b32 s7, s10, s7
	s_sub_i32 s10, s7, s6
	s_cmp_ge_u32 s7, s6
	s_cselect_b32 s46, s10, s7
	s_mul_hi_u32 s7, s9, 3
	s_mul_i32 s7, s7, s6
	s_sub_i32 s7, 3, s7
	s_sub_i32 s9, s7, s6
	s_cmp_ge_u32 s7, s6
	s_cselect_b32 s7, s9, s7
	s_sub_i32 s9, s7, s6
	s_cmp_ge_u32 s7, s6
	v_lshl_add_u32 v85, v7, 10, v0
	v_lshl_add_u32 v72, v7, 9, v73
	v_cndmask_b32_e64 v0, 0, 1, s[2:3]
	v_mul_hi_u32 v8, v1, v8
	s_cselect_b32 s47, s9, s7
	s_add_u32 s30, s24, 2
	v_mad_u64_u32 v[74:75], s[6:7], s22, 3, v[72:73]
	v_cmp_ne_u32_e64 s[2:3], 1, v0
	v_cndmask_b32_e64 v0, 0, 1, s[4:5]
	s_mov_b64 s[26:27], 0
	v_add_u32_e32 v84, v1, v8
	v_mov_b32_e32 v1, 0
	s_mul_i32 s45, s45, s12
	s_mul_i32 s46, s46, s12
	;; [unrolled: 1-line block ×3, first 2 shown]
	s_addc_u32 s31, s25, 0
	s_mul_i32 s48, s40, 6
	s_lshl_b32 s49, s8, 10
	s_lshl_b32 s50, s40, 2
	;; [unrolled: 1-line block ×3, first 2 shown]
	v_lshl_add_u32 v86, s22, 1, v72
	v_add_u32_e32 v75, s22, v72
	v_cmp_ne_u32_e64 s[4:5], 1, v0
	s_branch .LBB127_12
.LBB127_9:                              ;   in Loop: Header=BB127_12 Depth=1
	s_or_b64 exec, exec, s[10:11]
	v_mov_b32_e32 v70, s13
.LBB127_10:                             ;   in Loop: Header=BB127_12 Depth=1
	s_or_b64 exec, exec, s[8:9]
.LBB127_11:                             ;   in Loop: Header=BB127_12 Depth=1
	s_or_b64 exec, exec, s[34:35]
	v_cmp_le_u32_e32 vcc, s33, v70
	s_or_b64 s[26:27], vcc, s[26:27]
	s_andn2_b64 exec, exec, s[26:27]
	s_cbranch_execz .LBB127_72
.LBB127_12:                             ; =>This Loop Header: Depth=1
                                        ;     Child Loop BB127_17 Depth 2
                                        ;       Child Loop BB127_22 Depth 3
                                        ;     Child Loop BB127_55 Depth 2
	s_mov_b32 s36, 0
	s_and_b64 vcc, exec, s[2:3]
	v_mov_b32_e32 v101, v1
	v_mov_b32_e32 v100, v1
	v_mov_b32_e32 v99, v1
	v_mov_b32_e32 v98, v1
	v_mov_b32_e32 v97, v1
	v_mov_b32_e32 v96, v1
	v_mov_b32_e32 v95, v1
	v_mov_b32_e32 v94, v1
	v_mov_b32_e32 v71, v1
	v_mov_b32_e32 v87, v1
	v_mov_b32_e32 v88, v1
	v_mov_b32_e32 v89, v1
	v_mov_b32_e32 v90, v1
	v_mov_b32_e32 v91, v1
	v_mov_b32_e32 v92, v1
	v_mov_b32_e32 v93, v1
	s_cbranch_vccnz .LBB127_29
; %bb.13:                               ;   in Loop: Header=BB127_12 Depth=1
	v_add_u32_e32 v6, 1, v70
	v_add_u32_e32 v8, 2, v70
	;; [unrolled: 1-line block ×3, first 2 shown]
	v_min_u32_e32 v0, s43, v70
	v_min_u32_e32 v6, s43, v6
	;; [unrolled: 1-line block ×4, first 2 shown]
	v_mul_lo_u32 v0, v0, s21
	v_mul_lo_u32 v6, v6, s21
	v_mov_b32_e32 v7, v1
	v_mul_lo_u32 v8, v8, s21
	v_mov_b32_e32 v9, v1
	;; [unrolled: 2-line block ×3, first 2 shown]
	v_cmp_gt_u32_e64 s[6:7], s23, v70
	v_mov_b32_e32 v93, 0
	v_lshlrev_b64 v[76:77], 1, v[0:1]
	v_lshlrev_b64 v[78:79], 1, v[6:7]
	;; [unrolled: 1-line block ×4, first 2 shown]
	v_mov_b32_e32 v92, 0
	v_mov_b32_e32 v91, 0
	v_mov_b32_e32 v90, 0
	v_mov_b32_e32 v89, 0
	v_mov_b32_e32 v88, 0
	v_mov_b32_e32 v87, 0
	v_mov_b32_e32 v71, 0
	v_mov_b32_e32 v94, 0
	v_mov_b32_e32 v95, 0
	v_mov_b32_e32 v96, 0
	v_mov_b32_e32 v97, 0
	v_mov_b32_e32 v98, 0
	v_mov_b32_e32 v99, 0
	v_mov_b32_e32 v100, 0
	v_mov_b32_e32 v101, 0
	s_mov_b32 s37, 0
	s_branch .LBB127_17
.LBB127_14:                             ;   in Loop: Header=BB127_17 Depth=2
	s_or_b64 exec, exec, s[34:35]
.LBB127_15:                             ;   in Loop: Header=BB127_17 Depth=2
	s_or_b64 exec, exec, s[10:11]
	s_waitcnt vmcnt(7) lgkmcnt(3)
	;;#ASMSTART
	v_dot2c_f32_f16 v101, v66, v50
	;;#ASMEND
	s_waitcnt vmcnt(6)
	;;#ASMSTART
	v_dot2c_f32_f16 v100, v66, v46
	;;#ASMEND
	s_waitcnt vmcnt(5)
	;;#ASMSTART
	v_dot2c_f32_f16 v99, v66, v42
	;;#ASMEND
	s_waitcnt vmcnt(4)
	;;#ASMSTART
	v_dot2c_f32_f16 v98, v66, v38
	;;#ASMEND
	s_waitcnt lgkmcnt(2)
	;;#ASMSTART
	v_dot2c_f32_f16 v97, v62, v50
	;;#ASMEND
	;;#ASMSTART
	v_dot2c_f32_f16 v96, v62, v46
	;;#ASMEND
	;;#ASMSTART
	v_dot2c_f32_f16 v95, v62, v42
	;;#ASMEND
	;;#ASMSTART
	v_dot2c_f32_f16 v94, v62, v38
	;;#ASMEND
	s_waitcnt lgkmcnt(1)
	;;#ASMSTART
	v_dot2c_f32_f16 v93, v58, v50
	;;#ASMEND
	;;#ASMSTART
	v_dot2c_f32_f16 v92, v58, v46
	;;#ASMEND
	;;#ASMSTART
	v_dot2c_f32_f16 v91, v58, v42
	;;#ASMEND
	;; [unrolled: 13-line block ×3, first 2 shown]
	;;#ASMSTART
	v_dot2c_f32_f16 v71, v54, v38
	;;#ASMEND
	;;#ASMSTART
	v_dot2c_f32_f16 v101, v67, v51
	;;#ASMEND
	;;#ASMSTART
	v_dot2c_f32_f16 v100, v67, v47
	;;#ASMEND
	;;#ASMSTART
	v_dot2c_f32_f16 v99, v67, v43
	;;#ASMEND
	;;#ASMSTART
	v_dot2c_f32_f16 v98, v67, v39
	;;#ASMEND
	;;#ASMSTART
	v_dot2c_f32_f16 v97, v63, v51
	;;#ASMEND
	;;#ASMSTART
	v_dot2c_f32_f16 v96, v63, v47
	;;#ASMEND
	;;#ASMSTART
	v_dot2c_f32_f16 v95, v63, v43
	;;#ASMEND
	;;#ASMSTART
	v_dot2c_f32_f16 v94, v63, v39
	;;#ASMEND
	;;#ASMSTART
	v_dot2c_f32_f16 v93, v59, v51
	;;#ASMEND
	;;#ASMSTART
	v_dot2c_f32_f16 v92, v59, v47
	;;#ASMEND
	;;#ASMSTART
	v_dot2c_f32_f16 v91, v59, v43
	;;#ASMEND
	;;#ASMSTART
	v_dot2c_f32_f16 v90, v59, v39
	;;#ASMEND
	s_nop 0
	;;#ASMSTART
	v_dot2c_f32_f16 v89, v55, v51
	;;#ASMEND
	;;#ASMSTART
	v_dot2c_f32_f16 v88, v55, v47
	;;#ASMEND
	;;#ASMSTART
	v_dot2c_f32_f16 v87, v55, v43
	;;#ASMEND
	;;#ASMSTART
	v_dot2c_f32_f16 v71, v55, v39
	;;#ASMEND
	;;#ASMSTART
	v_dot2c_f32_f16 v101, v68, v52
	;;#ASMEND
	;;#ASMSTART
	v_dot2c_f32_f16 v100, v68, v48
	;;#ASMEND
	;;#ASMSTART
	v_dot2c_f32_f16 v99, v68, v44
	;;#ASMEND
	;;#ASMSTART
	v_dot2c_f32_f16 v98, v68, v40
	;;#ASMEND
	;;#ASMSTART
	v_dot2c_f32_f16 v97, v64, v52
	;;#ASMEND
	;;#ASMSTART
	v_dot2c_f32_f16 v96, v64, v48
	;;#ASMEND
	;;#ASMSTART
	v_dot2c_f32_f16 v95, v64, v44
	;;#ASMEND
	;;#ASMSTART
	v_dot2c_f32_f16 v94, v64, v40
	;;#ASMEND
	;;#ASMSTART
	v_dot2c_f32_f16 v93, v60, v52
	;;#ASMEND
	;;#ASMSTART
	v_dot2c_f32_f16 v92, v60, v48
	;;#ASMEND
	;;#ASMSTART
	v_dot2c_f32_f16 v91, v60, v44
	;;#ASMEND
	;;#ASMSTART
	v_dot2c_f32_f16 v90, v60, v40
	;;#ASMEND
	s_nop 0
	;;#ASMSTART
	v_dot2c_f32_f16 v89, v56, v52
	;;#ASMEND
	;;#ASMSTART
	v_dot2c_f32_f16 v88, v56, v48
	;;#ASMEND
	;;#ASMSTART
	v_dot2c_f32_f16 v87, v56, v44
	;;#ASMEND
	;; [unrolled: 49-line block ×3, first 2 shown]
	;;#ASMSTART
	v_dot2c_f32_f16 v71, v57, v41
	;;#ASMEND
	s_waitcnt vmcnt(3)
	;;#ASMSTART
	v_dot2c_f32_f16 v101, v34, v18
	;;#ASMEND
	s_waitcnt vmcnt(2)
	;; [unrolled: 4-line block ×4, first 2 shown]
	;;#ASMSTART
	v_dot2c_f32_f16 v98, v34, v6
	;;#ASMEND
	;;#ASMSTART
	v_dot2c_f32_f16 v97, v30, v18
	;;#ASMEND
	;;#ASMSTART
	v_dot2c_f32_f16 v96, v30, v14
	;;#ASMEND
	;;#ASMSTART
	v_dot2c_f32_f16 v95, v30, v10
	;;#ASMEND
	;;#ASMSTART
	v_dot2c_f32_f16 v94, v30, v6
	;;#ASMEND
	;;#ASMSTART
	v_dot2c_f32_f16 v93, v26, v18
	;;#ASMEND
	;;#ASMSTART
	v_dot2c_f32_f16 v92, v26, v14
	;;#ASMEND
	;;#ASMSTART
	v_dot2c_f32_f16 v91, v26, v10
	;;#ASMEND
	;;#ASMSTART
	v_dot2c_f32_f16 v90, v26, v6
	;;#ASMEND
	;;#ASMSTART
	v_dot2c_f32_f16 v89, v22, v18
	;;#ASMEND
	;;#ASMSTART
	v_dot2c_f32_f16 v88, v22, v14
	;;#ASMEND
	;;#ASMSTART
	v_dot2c_f32_f16 v87, v22, v10
	;;#ASMEND
	;;#ASMSTART
	v_dot2c_f32_f16 v71, v22, v6
	;;#ASMEND
	;;#ASMSTART
	v_dot2c_f32_f16 v101, v35, v19
	;;#ASMEND
	;;#ASMSTART
	v_dot2c_f32_f16 v100, v35, v15
	;;#ASMEND
	;;#ASMSTART
	v_dot2c_f32_f16 v99, v35, v11
	;;#ASMEND
	s_nop 0
	;;#ASMSTART
	v_dot2c_f32_f16 v98, v35, v7
	;;#ASMEND
	;;#ASMSTART
	v_dot2c_f32_f16 v97, v31, v19
	;;#ASMEND
	;;#ASMSTART
	v_dot2c_f32_f16 v96, v31, v15
	;;#ASMEND
	;;#ASMSTART
	v_dot2c_f32_f16 v95, v31, v11
	;;#ASMEND
	;;#ASMSTART
	v_dot2c_f32_f16 v94, v31, v7
	;;#ASMEND
	;;#ASMSTART
	v_dot2c_f32_f16 v93, v27, v19
	;;#ASMEND
	;;#ASMSTART
	v_dot2c_f32_f16 v92, v27, v15
	;;#ASMEND
	;;#ASMSTART
	v_dot2c_f32_f16 v91, v27, v11
	;;#ASMEND
	;;#ASMSTART
	v_dot2c_f32_f16 v90, v27, v7
	;;#ASMEND
	;;#ASMSTART
	v_dot2c_f32_f16 v89, v23, v19
	;;#ASMEND
	;;#ASMSTART
	v_dot2c_f32_f16 v88, v23, v15
	;;#ASMEND
	;;#ASMSTART
	v_dot2c_f32_f16 v87, v23, v11
	;;#ASMEND
	;;#ASMSTART
	v_dot2c_f32_f16 v71, v23, v7
	;;#ASMEND
	;;#ASMSTART
	v_dot2c_f32_f16 v101, v36, v20
	;;#ASMEND
	;;#ASMSTART
	v_dot2c_f32_f16 v100, v36, v16
	;;#ASMEND
	;;#ASMSTART
	v_dot2c_f32_f16 v99, v36, v12
	;;#ASMEND
	s_nop 0
	;; [unrolled: 49-line block ×3, first 2 shown]
	;;#ASMSTART
	v_dot2c_f32_f16 v98, v37, v9
	;;#ASMEND
	;;#ASMSTART
	v_dot2c_f32_f16 v97, v33, v21
	;;#ASMEND
	;;#ASMSTART
	v_dot2c_f32_f16 v96, v33, v17
	;;#ASMEND
	;;#ASMSTART
	v_dot2c_f32_f16 v95, v33, v13
	;;#ASMEND
	;;#ASMSTART
	v_dot2c_f32_f16 v94, v33, v9
	;;#ASMEND
	;;#ASMSTART
	v_dot2c_f32_f16 v93, v29, v21
	;;#ASMEND
	;;#ASMSTART
	v_dot2c_f32_f16 v92, v29, v17
	;;#ASMEND
	;;#ASMSTART
	v_dot2c_f32_f16 v91, v29, v13
	;;#ASMEND
	;;#ASMSTART
	v_dot2c_f32_f16 v90, v29, v9
	;;#ASMEND
	;;#ASMSTART
	v_dot2c_f32_f16 v89, v25, v21
	;;#ASMEND
	;;#ASMSTART
	v_dot2c_f32_f16 v88, v25, v17
	;;#ASMEND
	;;#ASMSTART
	v_dot2c_f32_f16 v87, v25, v13
	;;#ASMEND
	;;#ASMSTART
	v_dot2c_f32_f16 v71, v25, v9
	;;#ASMEND
.LBB127_16:                             ;   in Loop: Header=BB127_17 Depth=2
	s_or_b64 exec, exec, s[8:9]
	s_addk_i32 s37, 0x400
	s_cmp_ge_u32 s37, s20
	s_cbranch_scc1 .LBB127_29
.LBB127_17:                             ;   Parent Loop BB127_12 Depth=1
                                        ; =>  This Loop Header: Depth=2
                                        ;       Child Loop BB127_22 Depth 3
	s_cmp_eq_u32 s37, 0
	s_cselect_b64 s[8:9], -1, 0
	s_add_i32 s10, s36, s40
	s_cmp_eq_u32 s37, s10
	s_cselect_b64 s[34:35], -1, 0
	s_or_b64 s[34:35], s[8:9], s[34:35]
	s_andn2_b64 vcc, exec, s[34:35]
	s_cbranch_vccz .LBB127_19
; %bb.18:                               ;   in Loop: Header=BB127_17 Depth=2
	s_and_saveexec_b64 s[8:9], s[6:7]
	s_cbranch_execz .LBB127_16
	s_branch .LBB127_26
.LBB127_19:                             ;   in Loop: Header=BB127_17 Depth=2
	s_and_b64 s[8:9], s[8:9], exec
	s_cselect_b32 s36, s36, s10
	s_and_b64 vcc, exec, s[4:5]
	s_barrier
	s_cbranch_vccnz .LBB127_25
; %bb.20:                               ;   in Loop: Header=BB127_17 Depth=2
	v_add_u32_e32 v6, s36, v86
	v_add_u32_e32 v7, s36, v74
	;; [unrolled: 1-line block ×4, first 2 shown]
	s_mov_b32 s38, 0
	s_mov_b64 s[10:11], 0
	v_mov_b32_e32 v10, v85
                                        ; implicit-def: $sgpr34_sgpr35
	s_branch .LBB127_22
.LBB127_21:                             ;   in Loop: Header=BB127_22 Depth=3
	s_or_b64 exec, exec, s[8:9]
	s_and_b64 s[8:9], exec, s[34:35]
	s_or_b64 s[10:11], s[8:9], s[10:11]
	s_andn2_b64 exec, exec, s[10:11]
	s_cbranch_execz .LBB127_24
.LBB127_22:                             ;   Parent Loop BB127_12 Depth=1
                                        ;     Parent Loop BB127_17 Depth=2
                                        ; =>    This Inner Loop Header: Depth=3
	v_add_u32_e32 v11, s38, v72
	v_add_u32_e32 v0, s38, v9
	v_cmp_gt_u32_e32 vcc, s22, v0
	v_cmp_gt_u32_e64 s[8:9], s40, v11
	s_and_b64 s[52:53], s[8:9], vcc
	s_or_b64 s[34:35], s[34:35], exec
	s_and_saveexec_b64 s[8:9], s[52:53]
	s_cbranch_execz .LBB127_21
; %bb.23:                               ;   in Loop: Header=BB127_22 Depth=3
	v_lshl_add_u64 v[12:13], v[0:1], 1, s[16:17]
	v_add_u32_e32 v0, s38, v8
	v_lshl_add_u64 v[16:17], v[0:1], 1, s[16:17]
	v_add_u32_e32 v0, s38, v6
	global_load_dwordx4 v[12:15], v[12:13], off
	s_nop 0
	global_load_dwordx4 v[16:19], v[16:17], off
	v_lshl_add_u64 v[20:21], v[0:1], 1, s[16:17]
	v_add_u32_e32 v0, s38, v7
	global_load_dwordx4 v[20:23], v[20:21], off
	v_lshl_add_u64 v[24:25], v[0:1], 1, s[16:17]
	global_load_dwordx4 v[24:27], v[24:25], off
	s_add_i32 s38, s38, s41
	s_cmp_ge_u32 s38, s40
	s_cselect_b64 s[52:53], -1, 0
	s_andn2_b64 s[34:35], s[34:35], exec
	s_and_b64 s[52:53], s[52:53], exec
	v_add_u32_e32 v0, s51, v10
	v_add_u32_e32 v11, s50, v10
	;; [unrolled: 1-line block ×3, first 2 shown]
	s_or_b64 s[34:35], s[34:35], s[52:53]
	s_waitcnt vmcnt(3)
	ds_write_b128 v10, v[12:15]
	v_add_u32_e32 v10, s49, v10
	s_waitcnt vmcnt(2)
	ds_write2_b64 v0, v[16:17], v[18:19] offset1:1
	s_waitcnt vmcnt(1)
	ds_write2_b32 v11, v20, v21 offset1:1
	ds_write2_b32 v11, v22, v23 offset0:2 offset1:3
	s_waitcnt vmcnt(0)
	ds_write2_b64 v28, v[24:25], v[26:27] offset1:1
	s_branch .LBB127_21
.LBB127_24:                             ;   in Loop: Header=BB127_17 Depth=2
	s_or_b64 exec, exec, s[10:11]
.LBB127_25:                             ;   in Loop: Header=BB127_17 Depth=2
	s_waitcnt lgkmcnt(0)
	s_barrier
	s_and_saveexec_b64 s[8:9], s[6:7]
	s_cbranch_execz .LBB127_16
.LBB127_26:                             ;   in Loop: Header=BB127_17 Depth=2
	v_add_u32_e32 v102, s37, v73
	v_min_u32_e32 v0, s42, v102
	v_lshl_add_u64 v[6:7], v[0:1], 1, s[14:15]
	v_lshl_add_u64 v[8:9], v[6:7], 0, v[76:77]
	v_add_u32_e32 v103, 0x200, v102
	v_lshl_add_u64 v[10:11], v[6:7], 0, v[78:79]
	global_load_dwordx4 v[50:53], v[8:9], off nt
	global_load_dwordx4 v[46:49], v[10:11], off nt
	v_lshl_add_u64 v[8:9], v[6:7], 0, v[80:81]
	v_lshl_add_u64 v[6:7], v[6:7], 0, v[82:83]
	v_min_u32_e32 v0, s42, v103
	global_load_dwordx4 v[42:45], v[8:9], off nt
	global_load_dwordx4 v[38:41], v[6:7], off nt
	v_lshl_add_u64 v[6:7], v[0:1], 1, s[14:15]
	v_lshl_add_u64 v[8:9], v[6:7], 0, v[76:77]
	v_lshl_add_u64 v[10:11], v[6:7], 0, v[78:79]
	global_load_dwordx4 v[18:21], v[8:9], off nt
	global_load_dwordx4 v[14:17], v[10:11], off nt
	v_lshl_add_u64 v[8:9], v[6:7], 0, v[80:81]
	v_lshl_add_u64 v[6:7], v[6:7], 0, v[82:83]
	global_load_dwordx4 v[10:13], v[8:9], off nt
	s_nop 0
	global_load_dwordx4 v[6:9], v[6:7], off nt
	v_cmp_gt_u32_e32 vcc, s20, v102
	v_mov_b32_e32 v66, 0
	v_mov_b32_e32 v67, 0
	;; [unrolled: 1-line block ×12, first 2 shown]
	s_waitcnt vmcnt(22)
	v_mov_b32_e32 v54, 0
	v_mov_b32_e32 v55, 0
	;; [unrolled: 1-line block ×20, first 2 shown]
	s_and_saveexec_b64 s[10:11], vcc
	s_cbranch_execz .LBB127_15
; %bb.27:                               ;   in Loop: Header=BB127_17 Depth=2
	v_subrev_u32_e32 v0, s36, v102
	v_lshlrev_b32_e32 v105, 1, v0
	v_add_u32_e32 v104, s51, v105
	v_add_u32_e32 v102, s51, v104
	ds_read_b128 v[66:69], v105
	ds_read_b128 v[62:65], v104
	v_add_u32_e32 v0, s51, v102
	ds_read_b128 v[58:61], v102
	ds_read_b128 v[54:57], v0
	v_cmp_gt_u32_e32 vcc, s20, v103
	v_mov_b32_e32 v25, 0
	v_mov_b32_e32 v24, 0
	v_mov_b32_e32 v23, 0
	v_mov_b32_e32 v22, 0
	v_mov_b32_e32 v29, 0
	v_mov_b32_e32 v28, 0
	v_mov_b32_e32 v27, 0
	v_mov_b32_e32 v26, 0
	v_mov_b32_e32 v33, 0
	v_mov_b32_e32 v32, 0
	v_mov_b32_e32 v31, 0
	v_mov_b32_e32 v30, 0
	v_mov_b32_e32 v37, 0
	v_mov_b32_e32 v36, 0
	v_mov_b32_e32 v35, 0
	v_mov_b32_e32 v34, 0
	s_and_saveexec_b64 s[34:35], vcc
	s_cbranch_execz .LBB127_14
; %bb.28:                               ;   in Loop: Header=BB127_17 Depth=2
	ds_read_b128 v[34:37], v105 offset:1024
	ds_read_b128 v[30:33], v104 offset:1024
	;; [unrolled: 1-line block ×4, first 2 shown]
	s_branch .LBB127_14
.LBB127_29:                             ;   in Loop: Header=BB127_12 Depth=1
	v_cmp_le_u32_e32 vcc, s23, v70
	s_and_saveexec_b64 s[6:7], vcc
	s_xor_b64 s[6:7], exec, s[6:7]
; %bb.30:                               ;   in Loop: Header=BB127_12 Depth=1
	v_add_u32_e32 v70, s44, v70
                                        ; implicit-def: $vgpr101
                                        ; implicit-def: $vgpr100
                                        ; implicit-def: $vgpr99
                                        ; implicit-def: $vgpr98
                                        ; implicit-def: $vgpr97
                                        ; implicit-def: $vgpr96
                                        ; implicit-def: $vgpr95
                                        ; implicit-def: $vgpr94
                                        ; implicit-def: $vgpr71
                                        ; implicit-def: $vgpr87
                                        ; implicit-def: $vgpr88
                                        ; implicit-def: $vgpr89
                                        ; implicit-def: $vgpr90
                                        ; implicit-def: $vgpr91
                                        ; implicit-def: $vgpr92
                                        ; implicit-def: $vgpr93
; %bb.31:                               ;   in Loop: Header=BB127_12 Depth=1
	s_andn2_saveexec_b64 s[34:35], s[6:7]
	s_cbranch_execz .LBB127_11
; %bb.32:                               ;   in Loop: Header=BB127_12 Depth=1
	v_cvt_i32_f32_e32 v0, v101
	v_cvt_i32_f32_e32 v6, v100
	;; [unrolled: 1-line block ×4, first 2 shown]
	v_cvt_f32_i32_dpp v0, v0 row_shr:8 row_mask:0xf bank_mask:0xf bound_ctrl:1
	v_cvt_f32_i32_dpp v6, v6 row_shr:8 row_mask:0xf bank_mask:0xf bound_ctrl:1
	;; [unrolled: 1-line block ×4, first 2 shown]
	v_add_f32_e32 v0, v101, v0
	v_cvt_i32_f32_e32 v9, v0
	v_add_f32_e32 v6, v100, v6
	v_cvt_i32_f32_e32 v10, v6
	v_add_f32_e32 v7, v99, v7
	v_cvt_f32_i32_dpp v9, v9 row_shr:4 row_mask:0xf bank_mask:0xf bound_ctrl:1
	v_cvt_i32_f32_e32 v11, v7
	v_cvt_f32_i32_dpp v10, v10 row_shr:4 row_mask:0xf bank_mask:0xf bound_ctrl:1
	v_add_f32_e32 v8, v98, v8
	v_add_f32_e32 v0, v0, v9
	v_cvt_i32_f32_e32 v9, v0
	v_add_f32_e32 v6, v6, v10
	v_cvt_i32_f32_e32 v10, v6
	v_cvt_f32_i32_dpp v11, v11 row_shr:4 row_mask:0xf bank_mask:0xf bound_ctrl:1
	v_cvt_f32_i32_dpp v9, v9 row_shr:2 row_mask:0xf bank_mask:0xf bound_ctrl:1
	v_cvt_i32_f32_e32 v12, v8
	v_cvt_f32_i32_dpp v10, v10 row_shr:2 row_mask:0xf bank_mask:0xf bound_ctrl:1
	v_add_f32_e32 v7, v7, v11
	v_add_f32_e32 v0, v0, v9
	v_cvt_i32_f32_e32 v9, v0
	v_add_f32_e32 v6, v6, v10
	v_cvt_i32_f32_e32 v10, v6
	v_cvt_i32_f32_e32 v11, v7
	v_cvt_f32_i32_dpp v9, v9 row_shr:1 row_mask:0xf bank_mask:0xf bound_ctrl:1
	v_cvt_f32_i32_dpp v12, v12 row_shr:4 row_mask:0xf bank_mask:0xf bound_ctrl:1
	;; [unrolled: 1-line block ×4, first 2 shown]
	v_add_f32_e32 v0, v0, v9
	v_cvt_i32_f32_e32 v9, v0
	v_add_f32_e32 v6, v6, v10
	v_cvt_i32_f32_e32 v10, v6
	v_add_f32_e32 v11, v7, v11
	v_cvt_f32_i32_dpp v9, v9 row_bcast:15 row_mask:0xf bank_mask:0xf bound_ctrl:1
	v_cvt_i32_f32_e32 v7, v11
	v_add_f32_e32 v8, v8, v12
	v_cvt_f32_i32_dpp v12, v10 row_bcast:15 row_mask:0xf bank_mask:0xf bound_ctrl:1
	v_add_f32_e32 v10, v0, v9
	v_cvt_i32_f32_e32 v0, v10
	v_cvt_f32_i32_dpp v9, v7 row_shr:1 row_mask:0xf bank_mask:0xf bound_ctrl:1
	v_add_f32_e32 v7, v6, v12
	v_cvt_i32_f32_e32 v6, v7
	v_mov_b32_dpp v13, v0 row_bcast:31 row_mask:0xf bank_mask:0xf bound_ctrl:1
	v_cvt_i32_f32_e32 v0, v8
	v_add_f32_e32 v9, v11, v9
	v_cvt_i32_f32_e32 v11, v97
	v_mov_b32_dpp v12, v6 row_bcast:31 row_mask:0xf bank_mask:0xf bound_ctrl:1
	v_cvt_f32_i32_dpp v0, v0 row_shr:2 row_mask:0xf bank_mask:0xf bound_ctrl:1
	v_cvt_i32_f32_e32 v14, v9
	v_cvt_f32_i32_dpp v6, v11 row_shr:8 row_mask:0xf bank_mask:0xf bound_ctrl:1
	v_add_f32_e32 v0, v8, v0
	v_cvt_f32_i32_dpp v11, v14 row_bcast:15 row_mask:0xf bank_mask:0xf bound_ctrl:1
	v_add_f32_e32 v6, v97, v6
	v_cvt_i32_f32_e32 v8, v0
	v_cvt_i32_f32_e32 v14, v6
	v_add_f32_e32 v9, v9, v11
	v_cvt_i32_f32_e32 v11, v96
	v_cvt_f32_i32_dpp v8, v8 row_shr:1 row_mask:0xf bank_mask:0xf bound_ctrl:1
	v_cvt_f32_i32_dpp v14, v14 row_shr:4 row_mask:0xf bank_mask:0xf bound_ctrl:1
	v_cvt_i32_f32_e32 v15, v9
	v_add_f32_e32 v0, v0, v8
	v_cvt_f32_i32_dpp v8, v11 row_shr:8 row_mask:0xf bank_mask:0xf bound_ctrl:1
	v_add_f32_e32 v6, v6, v14
	v_cvt_i32_f32_e32 v11, v6
	v_cvt_i32_f32_e32 v14, v0
	v_add_f32_e32 v8, v96, v8
	v_cvt_i32_f32_e32 v16, v8
	v_cvt_f32_i32_dpp v11, v11 row_shr:2 row_mask:0xf bank_mask:0xf bound_ctrl:1
	v_cvt_f32_i32_dpp v14, v14 row_bcast:15 row_mask:0xf bank_mask:0xf bound_ctrl:1
	v_mov_b32_dpp v15, v15 row_bcast:31 row_mask:0xf bank_mask:0xf bound_ctrl:1
	v_cvt_f32_i32_dpp v16, v16 row_shr:4 row_mask:0xf bank_mask:0xf bound_ctrl:1
	v_add_f32_e32 v6, v6, v11
	v_cvt_i32_f32_e32 v17, v6
	v_add_f32_e32 v11, v0, v14
	v_add_f32_e32 v0, v8, v16
	v_cvt_i32_f32_e32 v8, v0
	v_cvt_f32_i32_dpp v14, v17 row_shr:1 row_mask:0xf bank_mask:0xf bound_ctrl:1
	v_cvt_i32_f32_e32 v16, v95
	v_cvt_i32_f32_e32 v17, v11
	v_cvt_f32_i32_dpp v8, v8 row_shr:2 row_mask:0xf bank_mask:0xf bound_ctrl:1
	v_add_f32_e32 v6, v6, v14
	v_cvt_f32_i32_dpp v14, v16 row_shr:8 row_mask:0xf bank_mask:0xf bound_ctrl:1
	v_cvt_i32_f32_e32 v16, v6
	v_add_f32_e32 v0, v0, v8
	v_cvt_i32_f32_e32 v8, v0
	v_add_f32_e32 v18, v95, v14
	v_cvt_i32_f32_e32 v14, v18
	v_cvt_f32_i32_dpp v16, v16 row_bcast:15 row_mask:0xf bank_mask:0xf bound_ctrl:1
	v_cvt_f32_i32_dpp v8, v8 row_shr:1 row_mask:0xf bank_mask:0xf bound_ctrl:1
	v_mov_b32_dpp v17, v17 row_bcast:31 row_mask:0xf bank_mask:0xf bound_ctrl:1
	v_cvt_f32_i32_dpp v19, v14 row_shr:4 row_mask:0xf bank_mask:0xf bound_ctrl:1
	v_add_f32_e32 v14, v6, v16
	v_cvt_i32_f32_e32 v6, v94
	v_add_f32_e32 v0, v0, v8
	v_add_f32_e32 v8, v18, v19
	v_cvt_i32_f32_e32 v16, v8
	v_cvt_f32_i32_dpp v6, v6 row_shr:8 row_mask:0xf bank_mask:0xf bound_ctrl:1
	v_cvt_i32_f32_e32 v18, v0
	v_cvt_i32_f32_e32 v19, v14
	v_cvt_f32_i32_dpp v16, v16 row_shr:2 row_mask:0xf bank_mask:0xf bound_ctrl:1
	v_add_f32_e32 v6, v94, v6
	v_cvt_i32_f32_e32 v21, v6
	v_cvt_f32_i32_dpp v18, v18 row_bcast:15 row_mask:0xf bank_mask:0xf bound_ctrl:1
	v_add_f32_e32 v8, v8, v16
	v_mov_b32_dpp v20, v19 row_bcast:31 row_mask:0xf bank_mask:0xf bound_ctrl:1
	v_cvt_f32_i32_dpp v19, v21 row_shr:4 row_mask:0xf bank_mask:0xf bound_ctrl:1
	v_cvt_i32_f32_e32 v22, v8
	v_add_f32_e32 v16, v0, v18
	v_cvt_i32_f32_e32 v18, v93
	v_add_f32_e32 v6, v6, v19
	v_cvt_f32_i32_dpp v0, v22 row_shr:1 row_mask:0xf bank_mask:0xf bound_ctrl:1
	v_cvt_i32_f32_e32 v19, v6
	v_cvt_f32_i32_dpp v18, v18 row_shr:8 row_mask:0xf bank_mask:0xf bound_ctrl:1
	v_cvt_i32_f32_e32 v21, v16
	v_add_f32_e32 v0, v8, v0
	v_cvt_f32_i32_dpp v8, v19 row_shr:2 row_mask:0xf bank_mask:0xf bound_ctrl:1
	v_add_f32_e32 v22, v93, v18
	v_cvt_i32_f32_e32 v19, v0
	v_cvt_i32_f32_e32 v18, v22
	v_add_f32_e32 v6, v6, v8
	v_cvt_i32_f32_e32 v8, v6
	v_cvt_f32_i32_dpp v19, v19 row_bcast:15 row_mask:0xf bank_mask:0xf bound_ctrl:1
	v_cvt_f32_i32_dpp v23, v18 row_shr:4 row_mask:0xf bank_mask:0xf bound_ctrl:1
	v_mov_b32_dpp v21, v21 row_bcast:31 row_mask:0xf bank_mask:0xf bound_ctrl:1
	v_cvt_f32_i32_dpp v8, v8 row_shr:1 row_mask:0xf bank_mask:0xf bound_ctrl:1
	v_add_f32_e32 v18, v0, v19
	v_add_f32_e32 v0, v22, v23
	v_cvt_i32_f32_e32 v19, v0
	v_add_f32_e32 v6, v6, v8
	v_cvt_i32_f32_e32 v8, v92
	v_cvt_i32_f32_e32 v22, v6
	v_cvt_f32_i32_dpp v19, v19 row_shr:2 row_mask:0xf bank_mask:0xf bound_ctrl:1
	v_cvt_i32_f32_e32 v23, v18
	v_cvt_f32_i32_dpp v8, v8 row_shr:8 row_mask:0xf bank_mask:0xf bound_ctrl:1
	v_cvt_f32_i32_dpp v24, v22 row_bcast:15 row_mask:0xf bank_mask:0xf bound_ctrl:1
	v_add_f32_e32 v0, v0, v19
	v_cvt_i32_f32_e32 v19, v0
	v_add_f32_e32 v8, v92, v8
	v_cvt_i32_f32_e32 v25, v8
	v_mov_b32_dpp v22, v23 row_bcast:31 row_mask:0xf bank_mask:0xf bound_ctrl:1
	v_cvt_f32_i32_dpp v23, v19 row_shr:1 row_mask:0xf bank_mask:0xf bound_ctrl:1
	v_add_f32_e32 v19, v6, v24
	v_cvt_f32_i32_dpp v6, v25 row_shr:4 row_mask:0xf bank_mask:0xf bound_ctrl:1
	v_cvt_i32_f32_e32 v24, v19
	v_add_f32_e32 v0, v0, v23
	v_cvt_i32_f32_e32 v23, v91
	v_add_f32_e32 v6, v8, v6
	v_cvt_i32_f32_e32 v8, v6
	v_cvt_i32_f32_e32 v25, v0
	v_cvt_f32_i32_dpp v23, v23 row_shr:8 row_mask:0xf bank_mask:0xf bound_ctrl:1
	v_mov_b32_dpp v24, v24 row_bcast:31 row_mask:0xf bank_mask:0xf bound_ctrl:1
	v_cvt_f32_i32_dpp v8, v8 row_shr:2 row_mask:0xf bank_mask:0xf bound_ctrl:1
	v_cvt_f32_i32_dpp v25, v25 row_bcast:15 row_mask:0xf bank_mask:0xf bound_ctrl:1
	v_add_f32_e32 v26, v91, v23
	v_cvt_i32_f32_e32 v23, v26
	v_add_f32_e32 v6, v6, v8
	v_cvt_i32_f32_e32 v8, v90
	v_cvt_i32_f32_e32 v27, v6
	v_cvt_f32_i32_dpp v28, v23 row_shr:4 row_mask:0xf bank_mask:0xf bound_ctrl:1
	v_add_f32_e32 v23, v0, v25
	v_cvt_f32_i32_dpp v0, v8 row_shr:8 row_mask:0xf bank_mask:0xf bound_ctrl:1
	v_cvt_f32_i32_dpp v8, v27 row_shr:1 row_mask:0xf bank_mask:0xf bound_ctrl:1
	v_add_f32_e32 v25, v26, v28
	v_cvt_i32_f32_e32 v26, v25
	v_add_f32_e32 v0, v90, v0
	v_cvt_i32_f32_e32 v27, v0
	v_add_f32_e32 v6, v6, v8
	v_cvt_f32_i32_dpp v26, v26 row_shr:2 row_mask:0xf bank_mask:0xf bound_ctrl:1
	v_cvt_i32_f32_e32 v28, v23
	v_cvt_f32_i32_dpp v8, v27 row_shr:4 row_mask:0xf bank_mask:0xf bound_ctrl:1
	v_cvt_i32_f32_e32 v27, v6
	v_add_f32_e32 v26, v25, v26
	v_cvt_i32_f32_e32 v25, v26
	v_add_f32_e32 v0, v0, v8
	v_cvt_i32_f32_e32 v8, v0
	v_cvt_f32_i32_dpp v27, v27 row_bcast:15 row_mask:0xf bank_mask:0xf bound_ctrl:1
	v_cvt_f32_i32_dpp v29, v25 row_shr:1 row_mask:0xf bank_mask:0xf bound_ctrl:1
	v_mov_b32_dpp v30, v28 row_bcast:31 row_mask:0xf bank_mask:0xf bound_ctrl:1
	v_cvt_f32_i32_dpp v8, v8 row_shr:2 row_mask:0xf bank_mask:0xf bound_ctrl:1
	v_add_f32_e32 v25, v6, v27
	v_add_f32_e32 v6, v26, v29
	v_cvt_i32_f32_e32 v26, v89
	v_add_f32_e32 v0, v0, v8
	v_cvt_i32_f32_e32 v8, v0
	v_cvt_i32_f32_e32 v27, v6
	v_cvt_f32_i32_dpp v26, v26 row_shr:8 row_mask:0xf bank_mask:0xf bound_ctrl:1
	v_cvt_i32_f32_e32 v28, v25
	v_cvt_f32_i32_dpp v8, v8 row_shr:1 row_mask:0xf bank_mask:0xf bound_ctrl:1
	v_cvt_f32_i32_dpp v27, v27 row_bcast:15 row_mask:0xf bank_mask:0xf bound_ctrl:1
	v_add_f32_e32 v29, v89, v26
	v_cvt_i32_f32_e32 v26, v29
	v_add_f32_e32 v0, v0, v8
	v_cvt_i32_f32_e32 v8, v0
	v_mov_b32_dpp v32, v28 row_bcast:31 row_mask:0xf bank_mask:0xf bound_ctrl:1
	v_cvt_f32_i32_dpp v28, v26 row_shr:4 row_mask:0xf bank_mask:0xf bound_ctrl:1
	v_add_f32_e32 v26, v6, v27
	v_cvt_f32_i32_dpp v6, v8 row_bcast:15 row_mask:0xf bank_mask:0xf bound_ctrl:1
	v_cvt_i32_f32_e32 v8, v88
	v_add_f32_e32 v28, v29, v28
	v_cvt_i32_f32_e32 v29, v28
	v_add_f32_e32 v27, v0, v6
	v_cvt_f32_i32_dpp v8, v8 row_shr:8 row_mask:0xf bank_mask:0xf bound_ctrl:1
	v_cvt_i32_f32_e32 v31, v26
	v_cvt_f32_i32_dpp v0, v29 row_shr:2 row_mask:0xf bank_mask:0xf bound_ctrl:1
	v_cvt_i32_f32_e32 v6, v27
	v_add_f32_e32 v8, v88, v8
	v_cvt_i32_f32_e32 v29, v8
	v_add_f32_e32 v0, v28, v0
	v_cvt_i32_f32_e32 v28, v0
	v_mov_b32_dpp v34, v31 row_bcast:31 row_mask:0xf bank_mask:0xf bound_ctrl:1
	v_cvt_f32_i32_dpp v31, v29 row_shr:4 row_mask:0xf bank_mask:0xf bound_ctrl:1
	v_mov_b32_dpp v29, v6 row_bcast:31 row_mask:0xf bank_mask:0xf bound_ctrl:1
	v_cvt_f32_i32_dpp v6, v28 row_shr:1 row_mask:0xf bank_mask:0xf bound_ctrl:1
	v_cvt_i32_f32_e32 v28, v87
	v_add_f32_e32 v8, v8, v31
	v_cvt_i32_f32_e32 v31, v71
	v_add_f32_e32 v0, v0, v6
	v_cvt_f32_i32_dpp v28, v28 row_shr:8 row_mask:0xf bank_mask:0xf bound_ctrl:1
	v_cvt_i32_f32_e32 v33, v8
	v_cvt_f32_i32_dpp v6, v31 row_shr:8 row_mask:0xf bank_mask:0xf bound_ctrl:1
	v_cvt_i32_f32_e32 v36, v0
	v_add_f32_e32 v28, v87, v28
	v_cvt_f32_i32_dpp v31, v33 row_shr:2 row_mask:0xf bank_mask:0xf bound_ctrl:1
	v_add_f32_e32 v6, v71, v6
	v_cvt_i32_f32_e32 v33, v28
	v_cvt_i32_f32_e32 v35, v6
	v_add_f32_e32 v8, v8, v31
	v_cvt_f32_i32_dpp v36, v36 row_bcast:15 row_mask:0xf bank_mask:0xf bound_ctrl:1
	v_cvt_f32_i32_dpp v33, v33 row_shr:4 row_mask:0xf bank_mask:0xf bound_ctrl:1
	v_cvt_f32_i32_dpp v31, v35 row_shr:4 row_mask:0xf bank_mask:0xf bound_ctrl:1
	v_cvt_i32_f32_e32 v35, v8
	v_add_f32_e32 v37, v0, v36
	v_add_f32_e32 v28, v28, v33
	;; [unrolled: 1-line block ×3, first 2 shown]
	v_cvt_i32_f32_e32 v33, v28
	v_cvt_i32_f32_e32 v31, v6
	v_cvt_f32_i32_dpp v35, v35 row_shr:1 row_mask:0xf bank_mask:0xf bound_ctrl:1
	v_cvt_f32_i32_dpp v33, v33 row_shr:2 row_mask:0xf bank_mask:0xf bound_ctrl:1
	;; [unrolled: 1-line block ×3, first 2 shown]
	v_add_f32_e32 v8, v8, v35
	v_cvt_i32_f32_e32 v35, v8
	v_add_f32_e32 v28, v28, v33
	v_add_f32_e32 v6, v6, v31
	v_cvt_i32_f32_e32 v33, v28
	v_cvt_i32_f32_e32 v31, v6
	s_nop 0
	v_cvt_f32_i32_dpp v33, v33 row_shr:1 row_mask:0xf bank_mask:0xf bound_ctrl:1
	v_cvt_f32_i32_dpp v0, v31 row_shr:1 row_mask:0xf bank_mask:0xf bound_ctrl:1
	v_cvt_f32_i32_dpp v31, v35 row_bcast:15 row_mask:0xf bank_mask:0xf bound_ctrl:1
	v_cvt_i32_f32_e32 v35, v37
	v_add_f32_e32 v28, v28, v33
	v_add_f32_e32 v0, v6, v0
	v_cvt_i32_f32_e32 v33, v28
	v_cvt_i32_f32_e32 v6, v0
	v_add_f32_e32 v36, v8, v31
	v_cvt_i32_f32_e32 v8, v36
	v_cvt_f32_i32_dpp v33, v33 row_bcast:15 row_mask:0xf bank_mask:0xf bound_ctrl:1
	v_cvt_f32_i32_dpp v6, v6 row_bcast:15 row_mask:0xf bank_mask:0xf bound_ctrl:1
	v_mov_b32_dpp v39, v35 row_bcast:31 row_mask:0xf bank_mask:0xf bound_ctrl:1
	v_mov_b32_dpp v38, v8 row_bcast:31 row_mask:0xf bank_mask:0xf bound_ctrl:1
	v_add_f32_e32 v33, v28, v33
	v_add_f32_e32 v28, v0, v6
	v_cvt_i32_f32_e32 v31, v33
	v_cvt_i32_f32_e32 v0, v28
	s_nop 0
	v_mov_b32_dpp v35, v31 row_bcast:31 row_mask:0xf bank_mask:0xf bound_ctrl:1
	v_mov_b32_dpp v31, v0 row_bcast:31 row_mask:0xf bank_mask:0xf bound_ctrl:1
	s_and_saveexec_b64 s[36:37], s[0:1]
	s_cbranch_execz .LBB127_52
; %bb.33:                               ;   in Loop: Header=BB127_12 Depth=1
	s_andn2_b64 vcc, exec, s[28:29]
	s_waitcnt vmcnt(15)
	v_mov_b32_e32 v55, 0
	v_add_u32_e32 v8, 2, v70
	v_add_u32_e32 v6, 3, v70
	s_waitcnt vmcnt(14)
	v_mov_b32_e32 v54, 0
	s_waitcnt vmcnt(13)
	v_mov_b32_e32 v53, 0
	;; [unrolled: 2-line block ×15, first 2 shown]
	s_cbranch_vccnz .LBB127_35
; %bb.34:                               ;   in Loop: Header=BB127_12 Depth=1
	v_mul_hi_u32 v0, v70, v84
	v_mul_lo_u32 v0, v0, s12
	v_sub_u32_e32 v0, v70, v0
	v_add_u32_e32 v42, 1, v70
	v_subrev_u32_e32 v40, s12, v0
	v_cmp_le_u32_e32 vcc, s12, v0
	v_mul_hi_u32 v43, v42, v84
	v_mul_lo_u32 v43, v43, s12
	v_cndmask_b32_e32 v0, v0, v40, vcc
	v_subrev_u32_e32 v40, s12, v0
	v_cmp_le_u32_e32 vcc, s12, v0
	v_sub_u32_e32 v42, v42, v43
	v_subrev_u32_e32 v43, s12, v42
	v_cndmask_b32_e32 v0, v0, v40, vcc
	v_cmp_le_u32_e32 vcc, s12, v42
	v_mov_b32_e32 v53, v1
	v_mov_b32_e32 v57, v1
	v_cndmask_b32_e32 v42, v42, v43, vcc
	v_subrev_u32_e32 v43, s12, v42
	v_cmp_le_u32_e32 vcc, s12, v42
	v_mov_b32_e32 v59, v1
	v_add_u32_e32 v50, s45, v0
	v_cndmask_b32_e32 v42, v42, v43, vcc
	v_mov_b32_e32 v43, v1
	v_lshl_add_u64 v[44:45], v[42:43], 1, s[18:19]
	v_mul_hi_u32 v43, v8, v84
	v_mul_lo_u32 v43, v43, s12
	v_sub_u32_e32 v43, v8, v43
	v_subrev_u32_e32 v46, s12, v43
	v_cmp_le_u32_e32 vcc, s12, v43
	v_add_u32_e32 v52, s45, v42
	v_mov_b32_e32 v51, v1
	v_cndmask_b32_e32 v43, v43, v46, vcc
	v_subrev_u32_e32 v46, s12, v43
	v_cmp_le_u32_e32 vcc, s12, v43
	v_lshl_add_u64 v[60:61], v[52:53], 1, s[18:19]
	v_lshl_add_u64 v[40:41], v[0:1], 1, s[18:19]
	v_cndmask_b32_e32 v56, v43, v46, vcc
	v_mul_hi_u32 v43, v6, v84
	v_mul_lo_u32 v43, v43, s12
	v_sub_u32_e32 v43, v6, v43
	v_subrev_u32_e32 v48, s12, v43
	v_cmp_le_u32_e32 vcc, s12, v43
	v_add_u32_e32 v52, s45, v56
	v_lshl_add_u64 v[46:47], v[56:57], 1, s[18:19]
	v_cndmask_b32_e32 v43, v43, v48, vcc
	v_subrev_u32_e32 v48, s12, v43
	v_cmp_le_u32_e32 vcc, s12, v43
	v_lshl_add_u64 v[50:51], v[50:51], 1, s[18:19]
	v_lshl_add_u64 v[62:63], v[52:53], 1, s[18:19]
	v_cndmask_b32_e32 v58, v43, v48, vcc
	v_lshl_add_u64 v[48:49], v[58:59], 1, s[18:19]
	v_add_u32_e32 v52, s45, v58
	v_lshl_add_u64 v[64:65], v[52:53], 1, s[18:19]
	global_load_ushort v55, v[40:41], off
	global_load_ushort v54, v[44:45], off
	;; [unrolled: 1-line block ×4, first 2 shown]
	s_nop 0
	global_load_ushort v51, v[50:51], off
	s_nop 0
	global_load_ushort v50, v[60:61], off
	global_load_ushort v48, v[62:63], off
                                        ; kill: killed $vgpr60_vgpr61
                                        ; kill: killed $vgpr62_vgpr63
	global_load_ushort v46, v[64:65], off
	v_add_u32_e32 v40, s46, v0
	v_add_u32_e32 v0, s47, v0
	v_lshl_add_u64 v[64:65], v[0:1], 1, s[18:19]
	v_add_u32_e32 v0, s47, v42
	v_mov_b32_e32 v41, v1
	v_add_u32_e32 v44, s46, v42
	v_mov_b32_e32 v45, v1
	v_lshl_add_u64 v[66:67], v[0:1], 1, s[18:19]
	v_add_u32_e32 v0, s47, v56
	v_lshl_add_u64 v[40:41], v[40:41], 1, s[18:19]
	v_lshl_add_u64 v[44:45], v[44:45], 1, s[18:19]
	v_add_u32_e32 v60, s46, v56
	v_mov_b32_e32 v61, v1
	v_add_u32_e32 v62, s46, v58
	v_mov_b32_e32 v63, v1
	v_lshl_add_u64 v[56:57], v[0:1], 1, s[18:19]
	v_add_u32_e32 v0, s47, v58
	v_lshl_add_u64 v[60:61], v[60:61], 1, s[18:19]
	v_lshl_add_u64 v[62:63], v[62:63], 1, s[18:19]
	v_lshl_add_u64 v[58:59], v[0:1], 1, s[18:19]
	global_load_ushort v49, v[40:41], off
	global_load_ushort v47, v[44:45], off
	s_nop 0
	global_load_ushort v45, v[60:61], off
	global_load_ushort v44, v[62:63], off
	global_load_ushort v43, v[64:65], off
	global_load_ushort v42, v[66:67], off
	global_load_ushort v41, v[56:57], off
	global_load_ushort v40, v[58:59], off
.LBB127_35:                             ;   in Loop: Header=BB127_12 Depth=1
	v_cmp_ne_u32_e32 vcc, 0, v2
	s_and_saveexec_b64 s[6:7], vcc
	s_cbranch_execnz .LBB127_57
; %bb.36:                               ;   in Loop: Header=BB127_12 Depth=1
	s_or_b64 exec, exec, s[6:7]
	v_cmp_ne_u32_e64 s[6:7], 0, v3
	s_and_saveexec_b64 s[8:9], s[6:7]
	s_cbranch_execnz .LBB127_58
.LBB127_37:                             ;   in Loop: Header=BB127_12 Depth=1
	s_or_b64 exec, exec, s[8:9]
	v_cmp_ne_u32_e64 s[8:9], 0, v4
	s_and_saveexec_b64 s[10:11], s[8:9]
	s_cbranch_execnz .LBB127_59
.LBB127_38:                             ;   in Loop: Header=BB127_12 Depth=1
	s_or_b64 exec, exec, s[10:11]
	v_cmp_ne_u32_e64 s[10:11], 0, v5
	s_and_saveexec_b64 s[38:39], s[10:11]
	s_cbranch_execnz .LBB127_60
.LBB127_39:                             ;   in Loop: Header=BB127_12 Depth=1
	s_or_b64 exec, exec, s[38:39]
	v_add_u32_e32 v0, s23, v70
	s_and_saveexec_b64 s[38:39], vcc
	s_cbranch_execnz .LBB127_61
.LBB127_40:                             ;   in Loop: Header=BB127_12 Depth=1
	s_or_b64 exec, exec, s[38:39]
	s_and_saveexec_b64 s[38:39], s[6:7]
	s_cbranch_execnz .LBB127_62
.LBB127_41:                             ;   in Loop: Header=BB127_12 Depth=1
	s_or_b64 exec, exec, s[38:39]
	s_and_saveexec_b64 s[38:39], s[8:9]
	s_cbranch_execnz .LBB127_63
.LBB127_42:                             ;   in Loop: Header=BB127_12 Depth=1
	s_or_b64 exec, exec, s[38:39]
	s_and_saveexec_b64 s[38:39], s[10:11]
	s_cbranch_execnz .LBB127_64
.LBB127_43:                             ;   in Loop: Header=BB127_12 Depth=1
	s_or_b64 exec, exec, s[38:39]
	v_add_u32_e32 v0, s23, v0
	s_and_saveexec_b64 s[38:39], vcc
	s_cbranch_execnz .LBB127_65
.LBB127_44:                             ;   in Loop: Header=BB127_12 Depth=1
	s_or_b64 exec, exec, s[38:39]
	s_and_saveexec_b64 s[38:39], s[6:7]
	s_cbranch_execnz .LBB127_66
.LBB127_45:                             ;   in Loop: Header=BB127_12 Depth=1
	s_or_b64 exec, exec, s[38:39]
	s_and_saveexec_b64 s[38:39], s[8:9]
	s_cbranch_execnz .LBB127_67
.LBB127_46:                             ;   in Loop: Header=BB127_12 Depth=1
	s_or_b64 exec, exec, s[38:39]
	s_and_saveexec_b64 s[38:39], s[10:11]
	s_cbranch_execnz .LBB127_68
.LBB127_47:                             ;   in Loop: Header=BB127_12 Depth=1
	s_or_b64 exec, exec, s[38:39]
	v_add_u32_e32 v0, s23, v0
	s_and_saveexec_b64 s[38:39], vcc
	s_cbranch_execnz .LBB127_69
.LBB127_48:                             ;   in Loop: Header=BB127_12 Depth=1
	s_or_b64 exec, exec, s[38:39]
	s_and_saveexec_b64 s[38:39], s[6:7]
	s_cbranch_execnz .LBB127_70
.LBB127_49:                             ;   in Loop: Header=BB127_12 Depth=1
	s_or_b64 exec, exec, s[38:39]
	s_and_saveexec_b64 s[6:7], s[8:9]
	s_cbranch_execnz .LBB127_71
.LBB127_50:                             ;   in Loop: Header=BB127_12 Depth=1
	s_or_b64 exec, exec, s[6:7]
	s_and_b64 exec, exec, s[10:11]
	s_cbranch_execz .LBB127_52
.LBB127_51:                             ;   in Loop: Header=BB127_12 Depth=1
	v_cvt_f32_i32_e32 v6, v31
	s_waitcnt vmcnt(0)
	v_cvt_f32_f16_e32 v7, v40
	v_add_u32_e32 v0, 3, v0
	v_add_f32_e32 v6, v28, v6
	v_add_f32_e32 v6, v6, v7
	v_cvt_f16_f32_e32 v8, v6
	v_lshl_add_u64 v[6:7], v[0:1], 1, s[24:25]
	global_store_short v[6:7], v8, off
.LBB127_52:                             ;   in Loop: Header=BB127_12 Depth=1
	s_or_b64 exec, exec, s[36:37]
	v_add_u32_e32 v70, s44, v70
	v_add_u32_e32 v0, 4, v70
	v_cmp_gt_u32_e32 vcc, s23, v70
	v_cmp_le_u32_e64 s[6:7], s23, v0
	s_and_b64 s[6:7], vcc, s[6:7]
	s_and_saveexec_b64 s[8:9], s[6:7]
	s_cbranch_execz .LBB127_10
; %bb.53:                               ;   in Loop: Header=BB127_12 Depth=1
	v_cmp_ne_u32_e32 vcc, s13, v70
	s_and_saveexec_b64 s[10:11], vcc
	s_cbranch_execz .LBB127_9
; %bb.54:                               ;   in Loop: Header=BB127_12 Depth=1
	v_subrev_u32_e32 v0, s13, v70
	v_cmp_lt_u32_e32 vcc, 1, v0
	s_mov_b64 s[36:37], 0
	s_mov_b64 s[38:39], 0
	v_cndmask_b32_e32 v0, 1, v0, vcc
.LBB127_55:                             ;   Parent Loop BB127_12 Depth=1
                                        ; =>  This Inner Loop Header: Depth=2
	s_cmp_lg_u32 s38, 3
	s_cselect_b64 vcc, -1, 0
	s_cmp_lg_u32 s38, 2
	v_cndmask_b32_e32 v5, 0, v5, vcc
	s_cselect_b64 vcc, -1, 0
	s_cmp_lg_u32 s38, 1
	v_cndmask_b32_e32 v4, 0, v4, vcc
	;; [unrolled: 3-line block ×3, first 2 shown]
	s_cselect_b64 vcc, -1, 0
	s_add_u32 s38, s38, 1
	s_addc_u32 s39, s39, 0
	v_cmp_eq_u32_e64 s[6:7], s38, v0
	s_or_b64 s[36:37], s[6:7], s[36:37]
	v_cndmask_b32_e32 v2, 0, v2, vcc
	s_andn2_b64 exec, exec, s[36:37]
	s_cbranch_execnz .LBB127_55
; %bb.56:                               ;   in Loop: Header=BB127_12 Depth=1
	s_or_b64 exec, exec, s[36:37]
	s_branch .LBB127_9
.LBB127_57:                             ;   in Loop: Header=BB127_12 Depth=1
	v_cvt_f32_i32_e32 v0, v13
	s_waitcnt vmcnt(15)
	v_cvt_f32_f16_e32 v13, v55
	v_mov_b32_e32 v71, v1
	v_lshl_add_u64 v[56:57], v[70:71], 1, s[24:25]
	v_add_f32_e32 v0, v10, v0
	v_add_f32_e32 v0, v0, v13
	v_cvt_f16_f32_e32 v0, v0
	global_store_short v[56:57], v0, off
	s_or_b64 exec, exec, s[6:7]
	v_cmp_ne_u32_e64 s[6:7], 0, v3
	s_and_saveexec_b64 s[8:9], s[6:7]
	s_cbranch_execz .LBB127_37
.LBB127_58:                             ;   in Loop: Header=BB127_12 Depth=1
	v_cvt_f32_i32_e32 v0, v12
	s_waitcnt vmcnt(14)
	v_cvt_f32_f16_e32 v10, v54
	v_mov_b32_e32 v71, v1
	v_lshl_add_u64 v[12:13], v[70:71], 1, s[30:31]
	v_add_f32_e32 v0, v7, v0
	v_add_f32_e32 v0, v0, v10
	v_cvt_f16_f32_e32 v0, v0
	global_store_short v[12:13], v0, off
	s_or_b64 exec, exec, s[8:9]
	v_cmp_ne_u32_e64 s[8:9], 0, v4
	s_and_saveexec_b64 s[10:11], s[8:9]
	s_cbranch_execz .LBB127_38
.LBB127_59:                             ;   in Loop: Header=BB127_12 Depth=1
	v_cvt_f32_i32_e32 v0, v15
	s_waitcnt vmcnt(13)
	v_cvt_f32_f16_e32 v7, v53
	v_add_f32_e32 v0, v9, v0
	v_add_f32_e32 v0, v0, v7
	v_cvt_f16_f32_e32 v0, v0
	v_mov_b32_e32 v9, v1
	v_lshl_add_u64 v[8:9], v[8:9], 1, s[24:25]
	global_store_short v[8:9], v0, off
	s_or_b64 exec, exec, s[10:11]
	v_cmp_ne_u32_e64 s[10:11], 0, v5
	s_and_saveexec_b64 s[38:39], s[10:11]
	s_cbranch_execz .LBB127_39
.LBB127_60:                             ;   in Loop: Header=BB127_12 Depth=1
	v_cvt_f32_i32_e32 v0, v17
	s_waitcnt vmcnt(12)
	v_cvt_f32_f16_e32 v7, v52
	v_add_f32_e32 v0, v11, v0
	v_add_f32_e32 v0, v0, v7
	v_cvt_f16_f32_e32 v0, v0
	v_mov_b32_e32 v7, v1
	v_lshl_add_u64 v[6:7], v[6:7], 1, s[24:25]
	global_store_short v[6:7], v0, off
	s_or_b64 exec, exec, s[38:39]
	v_add_u32_e32 v0, s23, v70
	s_and_saveexec_b64 s[38:39], vcc
	s_cbranch_execz .LBB127_40
.LBB127_61:                             ;   in Loop: Header=BB127_12 Depth=1
	v_cvt_f32_i32_e32 v6, v20
	s_waitcnt vmcnt(11)
	v_cvt_f32_f16_e32 v7, v51
	v_add_f32_e32 v6, v14, v6
	v_add_f32_e32 v6, v6, v7
	v_cvt_f16_f32_e32 v8, v6
	v_lshl_add_u64 v[6:7], v[0:1], 1, s[24:25]
	global_store_short v[6:7], v8, off
	s_or_b64 exec, exec, s[38:39]
	s_and_saveexec_b64 s[38:39], s[6:7]
	s_cbranch_execz .LBB127_41
.LBB127_62:                             ;   in Loop: Header=BB127_12 Depth=1
	v_cvt_f32_i32_e32 v6, v21
	s_waitcnt vmcnt(10)
	v_cvt_f32_f16_e32 v7, v50
	v_add_f32_e32 v6, v16, v6
	v_add_f32_e32 v6, v6, v7
	v_cvt_f16_f32_e32 v8, v6
	v_add_u32_e32 v6, 1, v0
	v_mov_b32_e32 v7, v1
	v_lshl_add_u64 v[6:7], v[6:7], 1, s[24:25]
	global_store_short v[6:7], v8, off
	s_or_b64 exec, exec, s[38:39]
	s_and_saveexec_b64 s[38:39], s[8:9]
	s_cbranch_execz .LBB127_42
.LBB127_63:                             ;   in Loop: Header=BB127_12 Depth=1
	v_cvt_f32_i32_e32 v6, v22
	s_waitcnt vmcnt(9)
	v_cvt_f32_f16_e32 v7, v48
	v_add_f32_e32 v6, v18, v6
	v_add_f32_e32 v6, v6, v7
	v_cvt_f16_f32_e32 v8, v6
	v_add_u32_e32 v6, 2, v0
	v_mov_b32_e32 v7, v1
	v_lshl_add_u64 v[6:7], v[6:7], 1, s[24:25]
	global_store_short v[6:7], v8, off
	s_or_b64 exec, exec, s[38:39]
	s_and_saveexec_b64 s[38:39], s[10:11]
	s_cbranch_execz .LBB127_43
.LBB127_64:                             ;   in Loop: Header=BB127_12 Depth=1
	v_cvt_f32_i32_e32 v6, v24
	s_waitcnt vmcnt(8)
	v_cvt_f32_f16_e32 v7, v46
	v_add_f32_e32 v6, v19, v6
	v_add_f32_e32 v6, v6, v7
	v_cvt_f16_f32_e32 v8, v6
	v_add_u32_e32 v6, 3, v0
	v_mov_b32_e32 v7, v1
	v_lshl_add_u64 v[6:7], v[6:7], 1, s[24:25]
	global_store_short v[6:7], v8, off
	s_or_b64 exec, exec, s[38:39]
	v_add_u32_e32 v0, s23, v0
	s_and_saveexec_b64 s[38:39], vcc
	s_cbranch_execz .LBB127_44
.LBB127_65:                             ;   in Loop: Header=BB127_12 Depth=1
	v_cvt_f32_i32_e32 v6, v30
	s_waitcnt vmcnt(7)
	v_cvt_f32_f16_e32 v7, v49
	v_add_f32_e32 v6, v23, v6
	v_add_f32_e32 v6, v6, v7
	v_cvt_f16_f32_e32 v8, v6
	v_lshl_add_u64 v[6:7], v[0:1], 1, s[24:25]
	global_store_short v[6:7], v8, off
	s_or_b64 exec, exec, s[38:39]
	s_and_saveexec_b64 s[38:39], s[6:7]
	s_cbranch_execz .LBB127_45
.LBB127_66:                             ;   in Loop: Header=BB127_12 Depth=1
	v_cvt_f32_i32_e32 v6, v32
	s_waitcnt vmcnt(6)
	v_cvt_f32_f16_e32 v7, v47
	v_add_f32_e32 v6, v25, v6
	v_add_f32_e32 v6, v6, v7
	v_cvt_f16_f32_e32 v8, v6
	v_add_u32_e32 v6, 1, v0
	v_mov_b32_e32 v7, v1
	v_lshl_add_u64 v[6:7], v[6:7], 1, s[24:25]
	global_store_short v[6:7], v8, off
	s_or_b64 exec, exec, s[38:39]
	s_and_saveexec_b64 s[38:39], s[8:9]
	s_cbranch_execz .LBB127_46
.LBB127_67:                             ;   in Loop: Header=BB127_12 Depth=1
	v_cvt_f32_i32_e32 v6, v34
	s_waitcnt vmcnt(5)
	v_cvt_f32_f16_e32 v7, v45
	v_add_f32_e32 v6, v26, v6
	v_add_f32_e32 v6, v6, v7
	v_cvt_f16_f32_e32 v8, v6
	v_add_u32_e32 v6, 2, v0
	v_mov_b32_e32 v7, v1
	v_lshl_add_u64 v[6:7], v[6:7], 1, s[24:25]
	global_store_short v[6:7], v8, off
	s_or_b64 exec, exec, s[38:39]
	s_and_saveexec_b64 s[38:39], s[10:11]
	s_cbranch_execz .LBB127_47
.LBB127_68:                             ;   in Loop: Header=BB127_12 Depth=1
	v_cvt_f32_i32_e32 v6, v29
	s_waitcnt vmcnt(4)
	v_cvt_f32_f16_e32 v7, v44
	v_add_f32_e32 v6, v27, v6
	v_add_f32_e32 v6, v6, v7
	v_cvt_f16_f32_e32 v8, v6
	v_add_u32_e32 v6, 3, v0
	v_mov_b32_e32 v7, v1
	v_lshl_add_u64 v[6:7], v[6:7], 1, s[24:25]
	global_store_short v[6:7], v8, off
	s_or_b64 exec, exec, s[38:39]
	v_add_u32_e32 v0, s23, v0
	s_and_saveexec_b64 s[38:39], vcc
	s_cbranch_execz .LBB127_48
.LBB127_69:                             ;   in Loop: Header=BB127_12 Depth=1
	v_cvt_f32_i32_e32 v6, v39
	s_waitcnt vmcnt(3)
	v_cvt_f32_f16_e32 v7, v43
	v_add_f32_e32 v6, v37, v6
	v_add_f32_e32 v6, v6, v7
	v_cvt_f16_f32_e32 v8, v6
	v_lshl_add_u64 v[6:7], v[0:1], 1, s[24:25]
	global_store_short v[6:7], v8, off
	s_or_b64 exec, exec, s[38:39]
	s_and_saveexec_b64 s[38:39], s[6:7]
	s_cbranch_execz .LBB127_49
.LBB127_70:                             ;   in Loop: Header=BB127_12 Depth=1
	v_cvt_f32_i32_e32 v6, v38
	s_waitcnt vmcnt(2)
	v_cvt_f32_f16_e32 v7, v42
	v_add_f32_e32 v6, v36, v6
	v_add_f32_e32 v6, v6, v7
	v_cvt_f16_f32_e32 v8, v6
	v_add_u32_e32 v6, 1, v0
	v_mov_b32_e32 v7, v1
	v_lshl_add_u64 v[6:7], v[6:7], 1, s[24:25]
	global_store_short v[6:7], v8, off
	s_or_b64 exec, exec, s[38:39]
	s_and_saveexec_b64 s[6:7], s[8:9]
	s_cbranch_execz .LBB127_50
.LBB127_71:                             ;   in Loop: Header=BB127_12 Depth=1
	v_cvt_f32_i32_e32 v6, v35
	s_waitcnt vmcnt(1)
	v_cvt_f32_f16_e32 v7, v41
	v_add_f32_e32 v6, v33, v6
	v_add_f32_e32 v6, v6, v7
	v_cvt_f16_f32_e32 v8, v6
	v_add_u32_e32 v6, 2, v0
	v_mov_b32_e32 v7, v1
	v_lshl_add_u64 v[6:7], v[6:7], 1, s[24:25]
	global_store_short v[6:7], v8, off
	s_or_b64 exec, exec, s[6:7]
	s_and_b64 exec, exec, s[10:11]
	s_cbranch_execnz .LBB127_51
	s_branch .LBB127_52
.LBB127_72:
	s_endpgm
	.section	.rodata,"a",@progbits
	.p2align	6, 0x0
	.amdhsa_kernel _Z16wvSplitK_hf_big_I6__halfLi64ELi4ELi16ELi8ELi2ELi4EEviiiiiiPKT_S3_S3_PS1_ii
		.amdhsa_group_segment_fixed_size 65536
		.amdhsa_private_segment_fixed_size 0
		.amdhsa_kernarg_size 64
		.amdhsa_user_sgpr_count 2
		.amdhsa_user_sgpr_dispatch_ptr 0
		.amdhsa_user_sgpr_queue_ptr 0
		.amdhsa_user_sgpr_kernarg_segment_ptr 1
		.amdhsa_user_sgpr_dispatch_id 0
		.amdhsa_user_sgpr_kernarg_preload_length 0
		.amdhsa_user_sgpr_kernarg_preload_offset 0
		.amdhsa_user_sgpr_private_segment_size 0
		.amdhsa_uses_dynamic_stack 0
		.amdhsa_enable_private_segment 0
		.amdhsa_system_sgpr_workgroup_id_x 1
		.amdhsa_system_sgpr_workgroup_id_y 0
		.amdhsa_system_sgpr_workgroup_id_z 0
		.amdhsa_system_sgpr_workgroup_info 0
		.amdhsa_system_vgpr_workitem_id 1
		.amdhsa_next_free_vgpr 106
		.amdhsa_next_free_sgpr 54
		.amdhsa_accum_offset 108
		.amdhsa_reserve_vcc 1
		.amdhsa_float_round_mode_32 0
		.amdhsa_float_round_mode_16_64 0
		.amdhsa_float_denorm_mode_32 3
		.amdhsa_float_denorm_mode_16_64 3
		.amdhsa_dx10_clamp 1
		.amdhsa_ieee_mode 1
		.amdhsa_fp16_overflow 0
		.amdhsa_tg_split 0
		.amdhsa_exception_fp_ieee_invalid_op 0
		.amdhsa_exception_fp_denorm_src 0
		.amdhsa_exception_fp_ieee_div_zero 0
		.amdhsa_exception_fp_ieee_overflow 0
		.amdhsa_exception_fp_ieee_underflow 0
		.amdhsa_exception_fp_ieee_inexact 0
		.amdhsa_exception_int_div_zero 0
	.end_amdhsa_kernel
	.section	.text._Z16wvSplitK_hf_big_I6__halfLi64ELi4ELi16ELi8ELi2ELi4EEviiiiiiPKT_S3_S3_PS1_ii,"axG",@progbits,_Z16wvSplitK_hf_big_I6__halfLi64ELi4ELi16ELi8ELi2ELi4EEviiiiiiPKT_S3_S3_PS1_ii,comdat
.Lfunc_end127:
	.size	_Z16wvSplitK_hf_big_I6__halfLi64ELi4ELi16ELi8ELi2ELi4EEviiiiiiPKT_S3_S3_PS1_ii, .Lfunc_end127-_Z16wvSplitK_hf_big_I6__halfLi64ELi4ELi16ELi8ELi2ELi4EEviiiiiiPKT_S3_S3_PS1_ii
                                        ; -- End function
	.section	.AMDGPU.csdata,"",@progbits
; Kernel info:
; codeLenInByte = 6532
; NumSgprs: 60
; NumVgprs: 106
; NumAgprs: 0
; TotalNumVgprs: 106
; ScratchSize: 0
; MemoryBound: 0
; FloatMode: 240
; IeeeMode: 1
; LDSByteSize: 65536 bytes/workgroup (compile time only)
; SGPRBlocks: 7
; VGPRBlocks: 13
; NumSGPRsForWavesPerEU: 60
; NumVGPRsForWavesPerEU: 106
; AccumOffset: 108
; Occupancy: 4
; WaveLimiterHint : 0
; COMPUTE_PGM_RSRC2:SCRATCH_EN: 0
; COMPUTE_PGM_RSRC2:USER_SGPR: 2
; COMPUTE_PGM_RSRC2:TRAP_HANDLER: 0
; COMPUTE_PGM_RSRC2:TGID_X_EN: 1
; COMPUTE_PGM_RSRC2:TGID_Y_EN: 0
; COMPUTE_PGM_RSRC2:TGID_Z_EN: 0
; COMPUTE_PGM_RSRC2:TIDIG_COMP_CNT: 1
; COMPUTE_PGM_RSRC3_GFX90A:ACCUM_OFFSET: 26
; COMPUTE_PGM_RSRC3_GFX90A:TG_SPLIT: 0
	.section	.text._Z16wvSplitK_hf_sml_I6__halfLi32ELi1ELi16ELi8ELi4ELi5EEviiiiiiPKT_S3_S3_PS1_ii,"axG",@progbits,_Z16wvSplitK_hf_sml_I6__halfLi32ELi1ELi16ELi8ELi4ELi5EEviiiiiiPKT_S3_S3_PS1_ii,comdat
	.protected	_Z16wvSplitK_hf_sml_I6__halfLi32ELi1ELi16ELi8ELi4ELi5EEviiiiiiPKT_S3_S3_PS1_ii ; -- Begin function _Z16wvSplitK_hf_sml_I6__halfLi32ELi1ELi16ELi8ELi4ELi5EEviiiiiiPKT_S3_S3_PS1_ii
	.globl	_Z16wvSplitK_hf_sml_I6__halfLi32ELi1ELi16ELi8ELi4ELi5EEviiiiiiPKT_S3_S3_PS1_ii
	.p2align	8
	.type	_Z16wvSplitK_hf_sml_I6__halfLi32ELi1ELi16ELi8ELi4ELi5EEviiiiiiPKT_S3_S3_PS1_ii,@function
_Z16wvSplitK_hf_sml_I6__halfLi32ELi1ELi16ELi8ELi4ELi5EEviiiiiiPKT_S3_S3_PS1_ii: ; @_Z16wvSplitK_hf_sml_I6__halfLi32ELi1ELi16ELi8ELi4ELi5EEviiiiiiPKT_S3_S3_PS1_ii
; %bb.0:
	s_load_dwordx4 s[4:7], s[0:1], 0x0
	v_and_b32_e32 v4, 0x3ff, v0
	v_bfe_u32 v5, v0, 10, 10
	v_lshlrev_b32_e32 v102, 3, v4
	v_lshl_add_u32 v6, v5, 8, v102
	s_waitcnt lgkmcnt(0)
	s_mul_i32 s3, s6, 5
	s_min_u32 s3, s3, 0x8000
	v_cmp_gt_u32_e32 vcc, s3, v6
	s_and_saveexec_b64 s[8:9], vcc
	s_cbranch_execz .LBB128_9
; %bb.1:
	s_load_dwordx2 s[10:11], s[0:1], 0x20
	v_lshlrev_b32_e32 v0, 1, v6
	v_add_u32_e32 v1, 0x1000, v6
	v_cmp_gt_u32_e32 vcc, s3, v1
	s_waitcnt lgkmcnt(0)
	global_load_dwordx4 v[8:11], v0, s[10:11]
	s_waitcnt vmcnt(0)
	ds_write_b128 v0, v[8:11]
	s_and_saveexec_b64 s[12:13], vcc
	s_xor_b64 s[12:13], exec, s[12:13]
	s_cbranch_execz .LBB128_9
; %bb.2:
	v_mov_b32_e32 v1, 0
	v_lshl_add_u64 v[2:3], s[10:11], 0, v[0:1]
	v_add_co_u32_e32 v8, vcc, 0x2000, v2
	v_add_u32_e32 v1, 0x2000, v6
	s_nop 0
	v_addc_co_u32_e32 v9, vcc, 0, v3, vcc
	global_load_dwordx4 v[8:11], v[8:9], off
	v_cmp_gt_u32_e32 vcc, s3, v1
	s_waitcnt vmcnt(0)
	ds_write_b128 v0, v[8:11] offset:8192
	s_and_saveexec_b64 s[10:11], vcc
	s_xor_b64 s[10:11], exec, s[10:11]
	s_cbranch_execz .LBB128_9
; %bb.3:
	v_add_co_u32_e32 v8, vcc, 0x4000, v2
	v_add_u32_e32 v1, 0x3000, v6
	s_nop 0
	v_addc_co_u32_e32 v9, vcc, 0, v3, vcc
	global_load_dwordx4 v[8:11], v[8:9], off
	v_cmp_gt_u32_e32 vcc, s3, v1
	s_waitcnt vmcnt(0)
	ds_write_b128 v0, v[8:11] offset:16384
	s_and_saveexec_b64 s[10:11], vcc
	s_xor_b64 s[10:11], exec, s[10:11]
	s_cbranch_execz .LBB128_9
; %bb.4:
	;; [unrolled: 12-line block ×6, first 2 shown]
	v_add_co_u32_e32 v2, vcc, 0xe000, v2
	s_nop 1
	v_addc_co_u32_e32 v3, vcc, 0, v3, vcc
	global_load_dwordx4 v[6:9], v[2:3], off
	s_waitcnt vmcnt(0)
	ds_write_b128 v0, v[6:9] offset:57344
.LBB128_9:
	s_or_b64 exec, exec, s[8:9]
	s_load_dwordx2 s[20:21], s[0:1], 0x38
	s_waitcnt lgkmcnt(0)
	s_barrier
	v_cmp_gt_u32_e32 vcc, s20, v5
	s_and_saveexec_b64 s[8:9], vcc
	s_cbranch_execz .LBB128_30
; %bb.10:
	s_load_dwordx2 s[12:13], s[0:1], 0x10
	s_mul_i32 s2, s2, s20
	v_add_u32_e32 v80, s2, v5
	v_cmp_gt_u32_e32 vcc, s7, v80
	s_and_b64 exec, exec, vcc
	s_cbranch_execz .LBB128_30
; %bb.11:
	s_load_dwordx4 s[8:11], s[0:1], 0x28
	s_load_dwordx2 s[14:15], s[0:1], 0x18
	s_cmp_lg_u32 s4, 0
	s_cselect_b64 s[2:3], -1, 0
	s_add_i32 s28, s4, -8
	s_add_i32 s29, s7, -1
	s_waitcnt lgkmcnt(0)
	s_cmp_lg_u64 s[8:9], 0
	s_cselect_b64 s[18:19], -1, 0
	s_abs_i32 s22, s13
	v_cvt_f32_u32_e32 v0, s12
	v_cvt_f32_u32_e32 v1, s22
	s_mul_i32 s13, s21, s20
	s_sub_i32 s20, 0, s12
	v_rcp_iflag_f32_e32 v0, v0
	v_rcp_iflag_f32_e32 v1, v1
	v_cmp_eq_u32_e64 s[0:1], 31, v4
	s_mov_b64 s[16:17], 0
	v_mul_f32_e32 v0, 0x4f7ffffe, v0
	v_mul_f32_e32 v1, 0x4f7ffffe, v1
	v_cvt_u32_f32_e32 v0, v0
	v_cvt_u32_f32_e32 v1, v1
	v_mov_b32_e32 v83, 0
	v_lshlrev_b32_e32 v104, 4, v4
	v_mul_lo_u32 v2, s20, v0
	s_sub_i32 s20, 0, s22
	v_readfirstlane_b32 s21, v1
	s_mul_i32 s20, s20, s21
	s_mul_hi_u32 s20, s21, s20
	s_add_i32 s21, s21, s20
	s_sub_i32 s20, 1, s22
	s_cmp_lt_u32 s22, 2
	s_cselect_b32 s20, s20, 1
	s_sub_i32 s23, s20, s22
	s_cmp_ge_u32 s20, s22
	s_cselect_b32 s30, s23, s20
	s_lshr_b32 s20, s21, 31
	s_mul_i32 s20, s20, s22
	s_sub_i32 s20, 2, s20
	s_sub_i32 s23, s20, s22
	s_cmp_ge_u32 s20, s22
	s_cselect_b32 s20, s23, s20
	s_sub_i32 s23, s20, s22
	s_cmp_ge_u32 s20, s22
	s_cselect_b32 s31, s23, s20
	s_mul_hi_u32 s20, s21, 3
	s_mul_i32 s20, s20, s22
	s_sub_i32 s20, 3, s20
	s_sub_i32 s23, s20, s22
	s_cmp_ge_u32 s20, s22
	s_cselect_b32 s20, s23, s20
	s_sub_i32 s23, s20, s22
	s_cmp_ge_u32 s20, s22
	s_cselect_b32 s33, s23, s20
	s_lshr_b32 s20, s21, 30
	s_mul_i32 s20, s20, s22
	s_sub_i32 s20, 4, s20
	s_sub_i32 s21, s20, s22
	s_cmp_ge_u32 s20, s22
	s_cselect_b32 s20, s21, s20
	s_sub_i32 s21, s20, s22
	v_mul_hi_u32 v2, v0, v2
	s_cmp_ge_u32 s20, s22
	v_add_u32_e32 v103, v0, v2
	s_cselect_b32 s34, s21, s20
	v_cndmask_b32_e64 v0, 0, 1, s[2:3]
	s_mul_i32 s30, s30, s12
	s_mul_i32 s31, s31, s12
	;; [unrolled: 1-line block ×4, first 2 shown]
	s_lshl_b32 s35, s6, 3
	s_mul_i32 s36, s6, 6
	s_lshl_b32 s37, s6, 2
	s_lshl_b32 s6, s6, 1
	v_cmp_ne_u32_e64 s[2:3], 1, v0
	s_branch .LBB128_14
.LBB128_12:                             ;   in Loop: Header=BB128_14 Depth=1
	v_cvt_f32_i32_e32 v1, v1
	v_cvt_f32_i32_e32 v8, v8
	;; [unrolled: 1-line block ×4, first 2 shown]
	v_add_f32_e32 v0, v0, v1
	s_waitcnt vmcnt(4)
	v_cvt_f32_f16_e32 v1, v14
	v_add_f32_e32 v4, v4, v8
	v_add_f32_e32 v5, v5, v7
	s_waitcnt vmcnt(3)
	v_cvt_f32_f16_e32 v8, v13
	v_add_f32_e32 v0, v0, v1
	v_cvt_f16_f32_e32 v7, v0
	v_cvt_f32_i32_e32 v6, v6
	v_add_f32_e32 v2, v2, v9
	v_lshl_add_u64 v[0:1], v[80:81], 1, s[10:11]
	global_store_short v[0:1], v7, off
	v_add_f32_e32 v0, v2, v8
	v_add_f32_e32 v3, v3, v6
	v_cvt_f16_f32_e32 v2, v0
	s_waitcnt vmcnt(3)
	v_cvt_f32_f16_e32 v6, v12
	v_add_u32_e32 v82, s7, v80
	v_lshl_add_u64 v[0:1], v[82:83], 1, s[10:11]
	global_store_short v[0:1], v2, off
	v_add_f32_e32 v0, v4, v6
	v_cvt_f16_f32_e32 v2, v0
	v_add_u32_e32 v82, s7, v82
	s_waitcnt vmcnt(3)
	v_cvt_f32_f16_e32 v4, v11
	v_lshl_add_u64 v[0:1], v[82:83], 1, s[10:11]
	global_store_short v[0:1], v2, off
	s_waitcnt vmcnt(3)
	v_cvt_f32_f16_e32 v2, v10
	v_add_f32_e32 v0, v5, v4
	v_cvt_f16_f32_e32 v4, v0
	v_add_u32_e32 v82, s7, v82
	v_add_f32_e32 v2, v3, v2
	v_cvt_f16_f32_e32 v2, v2
	v_lshl_add_u64 v[0:1], v[82:83], 1, s[10:11]
	v_add_u32_e32 v82, s7, v82
	global_store_short v[0:1], v4, off
	v_lshl_add_u64 v[0:1], v[82:83], 1, s[10:11]
	global_store_short v[0:1], v2, off
.LBB128_13:                             ;   in Loop: Header=BB128_14 Depth=1
	s_or_b64 exec, exec, s[20:21]
	v_add_u32_e32 v80, s13, v80
	v_cmp_le_u32_e32 vcc, s7, v80
	s_or_b64 s[16:17], vcc, s[16:17]
	s_andn2_b64 exec, exec, s[16:17]
	s_cbranch_execz .LBB128_30
.LBB128_14:                             ; =>This Loop Header: Depth=1
                                        ;     Child Loop BB128_20 Depth 2
	s_mov_b32 s38, 0
	s_and_b64 vcc, exec, s[2:3]
	v_mov_b32_e32 v108, v83
	v_mov_b32_e32 v107, v83
	;; [unrolled: 1-line block ×5, first 2 shown]
	s_cbranch_vccnz .LBB128_25
; %bb.15:                               ;   in Loop: Header=BB128_14 Depth=1
	v_min_u32_e32 v0, s29, v80
	v_mul_lo_u32 v82, v0, s5
	v_lshl_add_u64 v[84:85], v[82:83], 1, s[14:15]
	v_mov_b32_e32 v81, 0
	v_mov_b32_e32 v109, v104
	;; [unrolled: 1-line block ×6, first 2 shown]
	s_branch .LBB128_20
.LBB128_16:                             ;   in Loop: Header=BB128_20 Depth=2
	s_or_b64 exec, exec, s[26:27]
.LBB128_17:                             ;   in Loop: Header=BB128_20 Depth=2
	s_or_b64 exec, exec, s[24:25]
.LBB128_18:                             ;   in Loop: Header=BB128_20 Depth=2
	s_or_b64 exec, exec, s[22:23]
.LBB128_19:                             ;   in Loop: Header=BB128_20 Depth=2
	s_or_b64 exec, exec, s[20:21]
	s_waitcnt vmcnt(3) lgkmcnt(1)
	;;#ASMSTART
	v_dot2c_f32_f16 v108, v48, v12
	;;#ASMEND
	;;#ASMSTART
	v_dot2c_f32_f16 v107, v32, v12
	;;#ASMEND
	;; [unrolled: 3-line block ×4, first 2 shown]
	s_waitcnt lgkmcnt(0)
	;;#ASMSTART
	v_dot2c_f32_f16 v81, v24, v12
	;;#ASMEND
	s_addk_i32 s38, 0x400
	;;#ASMSTART
	v_dot2c_f32_f16 v108, v49, v13
	;;#ASMEND
	;;#ASMSTART
	v_dot2c_f32_f16 v107, v33, v13
	;;#ASMEND
	;; [unrolled: 3-line block ×5, first 2 shown]
	s_cmp_ge_u32 s38, s4
	;;#ASMSTART
	v_dot2c_f32_f16 v108, v50, v14
	;;#ASMEND
	;;#ASMSTART
	v_dot2c_f32_f16 v107, v34, v14
	;;#ASMEND
	;; [unrolled: 3-line block ×5, first 2 shown]
	v_add_u32_e32 v109, 0x800, v109
	;;#ASMSTART
	v_dot2c_f32_f16 v108, v51, v15
	;;#ASMEND
	;;#ASMSTART
	v_dot2c_f32_f16 v107, v35, v15
	;;#ASMEND
	;;#ASMSTART
	v_dot2c_f32_f16 v106, v93, v15
	;;#ASMEND
	;;#ASMSTART
	v_dot2c_f32_f16 v105, v31, v15
	;;#ASMEND
	;;#ASMSTART
	v_dot2c_f32_f16 v81, v27, v15
	;;#ASMEND
	s_waitcnt vmcnt(2)
	;;#ASMSTART
	v_dot2c_f32_f16 v108, v76, v8
	;;#ASMEND
	;;#ASMSTART
	v_dot2c_f32_f16 v107, v64, v8
	;;#ASMEND
	;;#ASMSTART
	v_dot2c_f32_f16 v106, v100, v8
	;;#ASMEND
	;;#ASMSTART
	v_dot2c_f32_f16 v105, v60, v8
	;;#ASMEND
	;;#ASMSTART
	v_dot2c_f32_f16 v81, v52, v8
	;;#ASMEND
	s_nop 0
	;;#ASMSTART
	v_dot2c_f32_f16 v108, v77, v9
	;;#ASMEND
	;;#ASMSTART
	v_dot2c_f32_f16 v107, v65, v9
	;;#ASMEND
	;;#ASMSTART
	v_dot2c_f32_f16 v106, v101, v9
	;;#ASMEND
	;;#ASMSTART
	v_dot2c_f32_f16 v105, v61, v9
	;;#ASMEND
	;;#ASMSTART
	v_dot2c_f32_f16 v81, v53, v9
	;;#ASMEND
	s_nop 0
	;;#ASMSTART
	v_dot2c_f32_f16 v108, v78, v10
	;;#ASMEND
	;;#ASMSTART
	v_dot2c_f32_f16 v107, v66, v10
	;;#ASMEND
	;;#ASMSTART
	v_dot2c_f32_f16 v106, v96, v10
	;;#ASMEND
	;;#ASMSTART
	v_dot2c_f32_f16 v105, v62, v10
	;;#ASMEND
	;;#ASMSTART
	v_dot2c_f32_f16 v81, v54, v10
	;;#ASMEND
	s_nop 0
	;;#ASMSTART
	v_dot2c_f32_f16 v108, v79, v11
	;;#ASMEND
	;;#ASMSTART
	v_dot2c_f32_f16 v107, v67, v11
	;;#ASMEND
	;;#ASMSTART
	v_dot2c_f32_f16 v106, v97, v11
	;;#ASMEND
	;;#ASMSTART
	v_dot2c_f32_f16 v105, v63, v11
	;;#ASMEND
	;;#ASMSTART
	v_dot2c_f32_f16 v81, v55, v11
	;;#ASMEND
	s_waitcnt vmcnt(1)
	;;#ASMSTART
	v_dot2c_f32_f16 v108, v72, v4
	;;#ASMEND
	;;#ASMSTART
	v_dot2c_f32_f16 v107, v68, v4
	;;#ASMEND
	;;#ASMSTART
	v_dot2c_f32_f16 v106, v98, v4
	;;#ASMEND
	;;#ASMSTART
	v_dot2c_f32_f16 v105, v44, v4
	;;#ASMEND
	;;#ASMSTART
	v_dot2c_f32_f16 v81, v40, v4
	;;#ASMEND
	s_nop 0
	;;#ASMSTART
	v_dot2c_f32_f16 v108, v73, v5
	;;#ASMEND
	;;#ASMSTART
	v_dot2c_f32_f16 v107, v69, v5
	;;#ASMEND
	;;#ASMSTART
	v_dot2c_f32_f16 v106, v99, v5
	;;#ASMEND
	;;#ASMSTART
	v_dot2c_f32_f16 v105, v45, v5
	;;#ASMEND
	;;#ASMSTART
	v_dot2c_f32_f16 v81, v41, v5
	;;#ASMEND
	s_nop 0
	;;#ASMSTART
	v_dot2c_f32_f16 v108, v74, v6
	;;#ASMEND
	;;#ASMSTART
	v_dot2c_f32_f16 v107, v70, v6
	;;#ASMEND
	;;#ASMSTART
	v_dot2c_f32_f16 v106, v94, v6
	;;#ASMEND
	;;#ASMSTART
	v_dot2c_f32_f16 v105, v46, v6
	;;#ASMEND
	;;#ASMSTART
	v_dot2c_f32_f16 v81, v42, v6
	;;#ASMEND
	s_nop 0
	;;#ASMSTART
	v_dot2c_f32_f16 v108, v75, v7
	;;#ASMEND
	;;#ASMSTART
	v_dot2c_f32_f16 v107, v71, v7
	;;#ASMEND
	;;#ASMSTART
	v_dot2c_f32_f16 v106, v95, v7
	;;#ASMEND
	;;#ASMSTART
	v_dot2c_f32_f16 v105, v47, v7
	;;#ASMEND
	;;#ASMSTART
	v_dot2c_f32_f16 v81, v43, v7
	;;#ASMEND
	s_waitcnt vmcnt(0)
	;;#ASMSTART
	v_dot2c_f32_f16 v108, v56, v0
	;;#ASMEND
	;;#ASMSTART
	v_dot2c_f32_f16 v107, v36, v0
	;;#ASMEND
	;;#ASMSTART
	v_dot2c_f32_f16 v106, v88, v0
	;;#ASMEND
	;;#ASMSTART
	v_dot2c_f32_f16 v105, v20, v0
	;;#ASMEND
	;;#ASMSTART
	v_dot2c_f32_f16 v81, v16, v0
	;;#ASMEND
	s_nop 0
	;;#ASMSTART
	v_dot2c_f32_f16 v108, v57, v1
	;;#ASMEND
	;;#ASMSTART
	v_dot2c_f32_f16 v107, v37, v1
	;;#ASMEND
	;;#ASMSTART
	v_dot2c_f32_f16 v106, v89, v1
	;;#ASMEND
	;;#ASMSTART
	v_dot2c_f32_f16 v105, v21, v1
	;;#ASMEND
	;;#ASMSTART
	v_dot2c_f32_f16 v81, v17, v1
	;;#ASMEND
	s_nop 0
	;;#ASMSTART
	v_dot2c_f32_f16 v108, v58, v2
	;;#ASMEND
	;;#ASMSTART
	v_dot2c_f32_f16 v107, v38, v2
	;;#ASMEND
	;;#ASMSTART
	v_dot2c_f32_f16 v106, v86, v2
	;;#ASMEND
	;;#ASMSTART
	v_dot2c_f32_f16 v105, v22, v2
	;;#ASMEND
	;;#ASMSTART
	v_dot2c_f32_f16 v81, v18, v2
	;;#ASMEND
	s_nop 0
	;;#ASMSTART
	v_dot2c_f32_f16 v108, v59, v3
	;;#ASMEND
	;;#ASMSTART
	v_dot2c_f32_f16 v107, v39, v3
	;;#ASMEND
	;; [unrolled: 3-line block ×5, first 2 shown]
	s_cbranch_scc1 .LBB128_25
.LBB128_20:                             ;   Parent Loop BB128_14 Depth=1
                                        ; =>  This Inner Loop Header: Depth=2
	v_add_u32_e32 v20, s38, v102
	v_min_u32_e32 v82, s28, v20
	v_add_u32_e32 v115, 0x100, v20
	v_lshl_add_u64 v[0:1], v[82:83], 1, v[84:85]
	v_min_u32_e32 v82, s28, v115
	v_add_u32_e32 v111, 0x200, v20
	v_lshl_add_u64 v[2:3], v[82:83], 1, v[84:85]
	;; [unrolled: 3-line block ×3, first 2 shown]
	v_min_u32_e32 v82, s28, v110
	global_load_dwordx4 v[12:15], v[0:1], off nt
	global_load_dwordx4 v[8:11], v[2:3], off nt
	v_lshl_add_u64 v[18:19], v[82:83], 1, v[84:85]
	global_load_dwordx4 v[4:7], v[16:17], off nt
	global_load_dwordx4 v[0:3], v[18:19], off nt
	v_cmp_gt_u32_e32 vcc, s4, v20
	v_mov_b32_e32 v48, 0
	v_mov_b32_e32 v49, 0
	;; [unrolled: 1-line block ×80, first 2 shown]
	s_and_saveexec_b64 s[20:21], vcc
	s_cbranch_execz .LBB128_19
; %bb.21:                               ;   in Loop: Header=BB128_20 Depth=2
	v_add_u32_e32 v82, s6, v109
	v_add_u32_e32 v113, s37, v109
	ds_read_b128 v[32:35], v82
	ds_read2_b32 v[90:91], v113 offset1:1
	v_add_u32_e32 v114, s36, v109
	ds_read2_b32 v[92:93], v113 offset0:2 offset1:3
	ds_read_b128 v[28:31], v114
	v_add_u32_e32 v112, s35, v109
	ds_read_b128 v[48:51], v109
	ds_read2_b64 v[24:27], v112 offset1:1
	v_cmp_gt_u32_e32 vcc, s4, v115
	v_mov_b32_e32 v19, 0
	v_mov_b32_e32 v18, 0
	;; [unrolled: 1-line block ×60, first 2 shown]
	s_and_saveexec_b64 s[22:23], vcc
	s_cbranch_execz .LBB128_18
; %bb.22:                               ;   in Loop: Header=BB128_20 Depth=2
	ds_read_b128 v[64:67], v82 offset:512
	ds_read2_b32 v[100:101], v113 offset0:128 offset1:129
	ds_read2_b32 v[96:97], v113 offset0:130 offset1:131
	ds_read_b128 v[60:63], v114 offset:512
	ds_read_b128 v[76:79], v109 offset:512
	ds_read2_b64 v[52:55], v112 offset0:64 offset1:65
	v_cmp_gt_u32_e32 vcc, s4, v111
	v_mov_b32_e32 v19, 0
	v_mov_b32_e32 v18, 0
	;; [unrolled: 1-line block ×40, first 2 shown]
	s_and_saveexec_b64 s[24:25], vcc
	s_cbranch_execz .LBB128_17
; %bb.23:                               ;   in Loop: Header=BB128_20 Depth=2
	v_add_u32_e32 v16, 0x400, v113
	v_add_u32_e32 v17, 0x408, v113
	ds_read_b128 v[72:75], v109 offset:1024
	ds_read2_b32 v[94:95], v17 offset1:1
	ds_read_b128 v[68:71], v82 offset:1024
	ds_read_b128 v[44:47], v114 offset:1024
	ds_read2_b32 v[98:99], v16 offset1:1
	ds_read2_b64 v[40:43], v112 offset0:128 offset1:129
	v_cmp_gt_u32_e32 vcc, s4, v110
	v_mov_b32_e32 v19, 0
	v_mov_b32_e32 v18, 0
	;; [unrolled: 1-line block ×20, first 2 shown]
	s_and_saveexec_b64 s[26:27], vcc
	s_cbranch_execz .LBB128_16
; %bb.24:                               ;   in Loop: Header=BB128_20 Depth=2
	v_add_u32_e32 v16, 0x600, v113
	v_add_u32_e32 v17, 0x608, v113
	ds_read_b128 v[56:59], v109 offset:1536
	ds_read2_b32 v[86:87], v17 offset1:1
	ds_read_b128 v[36:39], v82 offset:1536
	ds_read_b128 v[20:23], v114 offset:1536
	ds_read2_b32 v[88:89], v16 offset1:1
	ds_read2_b64 v[16:19], v112 offset0:192 offset1:193
	s_branch .LBB128_16
.LBB128_25:                             ;   in Loop: Header=BB128_14 Depth=1
	; sched_barrier mask(0x00000000)
	v_cvt_i32_f32_e32 v0, v108
	v_cvt_i32_f32_e32 v1, v107
	;; [unrolled: 1-line block ×4, first 2 shown]
	v_cvt_f32_i32_dpp v0, v0 row_shr:8 row_mask:0xf bank_mask:0xf bound_ctrl:1
	v_cvt_f32_i32_dpp v1, v1 row_shr:8 row_mask:0xf bank_mask:0xf bound_ctrl:1
	;; [unrolled: 1-line block ×3, first 2 shown]
	v_cvt_i32_f32_e32 v4, v81
	v_add_f32_e32 v0, v108, v0
	v_cvt_i32_f32_e32 v5, v0
	v_add_f32_e32 v1, v107, v1
	;; [unrolled: 2-line block ×3, first 2 shown]
	v_cvt_f32_i32_dpp v5, v5 row_shr:4 row_mask:0xf bank_mask:0xf bound_ctrl:1
	v_cvt_i32_f32_e32 v7, v2
	v_cvt_f32_i32_dpp v6, v6 row_shr:4 row_mask:0xf bank_mask:0xf bound_ctrl:1
	v_cvt_f32_i32_dpp v3, v3 row_shr:8 row_mask:0xf bank_mask:0xf bound_ctrl:1
	v_add_f32_e32 v0, v0, v5
	v_cvt_i32_f32_e32 v5, v0
	v_add_f32_e32 v1, v1, v6
	v_cvt_i32_f32_e32 v6, v1
	v_cvt_f32_i32_dpp v4, v4 row_shr:8 row_mask:0xf bank_mask:0xf bound_ctrl:1
	v_cvt_f32_i32_dpp v5, v5 row_shr:2 row_mask:0xf bank_mask:0xf bound_ctrl:1
	;; [unrolled: 1-line block ×4, first 2 shown]
	v_add_f32_e32 v3, v105, v3
	v_add_f32_e32 v0, v0, v5
	v_cvt_i32_f32_e32 v5, v0
	v_add_f32_e32 v4, v81, v4
	v_cvt_i32_f32_e32 v8, v3
	v_cvt_i32_f32_e32 v9, v4
	v_cvt_f32_i32_dpp v5, v5 row_shr:1 row_mask:0xf bank_mask:0xf bound_ctrl:1
	v_add_f32_e32 v2, v2, v7
	v_add_f32_e32 v1, v1, v6
	v_cvt_i32_f32_e32 v7, v2
	v_add_f32_e32 v0, v0, v5
	v_cvt_i32_f32_e32 v5, v0
	v_cvt_i32_f32_e32 v6, v1
	v_cvt_f32_i32_dpp v8, v8 row_shr:4 row_mask:0xf bank_mask:0xf bound_ctrl:1
	v_cvt_f32_i32_dpp v9, v9 row_shr:4 row_mask:0xf bank_mask:0xf bound_ctrl:1
	v_cvt_f32_i32_dpp v5, v5 row_bcast:15 row_mask:0xf bank_mask:0xf bound_ctrl:1
	v_cvt_f32_i32_dpp v7, v7 row_shr:2 row_mask:0xf bank_mask:0xf bound_ctrl:1
	v_cvt_f32_i32_dpp v6, v6 row_shr:1 row_mask:0xf bank_mask:0xf bound_ctrl:1
	v_add_f32_e32 v3, v3, v8
	v_add_f32_e32 v0, v0, v5
	v_cvt_i32_f32_e32 v5, v0
	v_add_f32_e32 v4, v4, v9
	v_add_f32_e32 v2, v2, v7
	;; [unrolled: 1-line block ×3, first 2 shown]
	v_mov_b32_dpp v1, v5 row_bcast:31 row_mask:0xf bank_mask:0xf bound_ctrl:1
	v_cvt_i32_f32_e32 v5, v3
	v_cvt_i32_f32_e32 v8, v4
	;; [unrolled: 1-line block ×4, first 2 shown]
	v_cvt_f32_i32_dpp v5, v5 row_shr:2 row_mask:0xf bank_mask:0xf bound_ctrl:1
	v_cvt_f32_i32_dpp v8, v8 row_shr:2 row_mask:0xf bank_mask:0xf bound_ctrl:1
	;; [unrolled: 1-line block ×3, first 2 shown]
	v_cvt_f32_i32_dpp v9, v10 row_bcast:15 row_mask:0xf bank_mask:0xf bound_ctrl:1
	v_add_f32_e32 v3, v3, v5
	v_add_f32_e32 v4, v4, v8
	;; [unrolled: 1-line block ×3, first 2 shown]
	v_cvt_i32_f32_e32 v2, v3
	v_cvt_i32_f32_e32 v5, v4
	v_cvt_i32_f32_e32 v8, v7
	v_cvt_f32_i32_dpp v10, v2 row_shr:1 row_mask:0xf bank_mask:0xf bound_ctrl:1
	v_cvt_f32_i32_dpp v5, v5 row_shr:1 row_mask:0xf bank_mask:0xf bound_ctrl:1
	v_add_f32_e32 v2, v6, v9
	v_cvt_f32_i32_dpp v6, v8 row_bcast:15 row_mask:0xf bank_mask:0xf bound_ctrl:1
	v_add_f32_e32 v3, v3, v10
	v_add_f32_e32 v9, v4, v5
	v_cvt_i32_f32_e32 v8, v3
	v_cvt_i32_f32_e32 v5, v9
	v_add_f32_e32 v4, v7, v6
	v_cvt_i32_f32_e32 v10, v2
	v_cvt_f32_i32_dpp v8, v8 row_bcast:15 row_mask:0xf bank_mask:0xf bound_ctrl:1
	v_cvt_f32_i32_dpp v6, v5 row_bcast:15 row_mask:0xf bank_mask:0xf bound_ctrl:1
	v_cvt_i32_f32_e32 v7, v4
	v_add_f32_e32 v5, v3, v8
	v_add_f32_e32 v3, v9, v6
	v_cvt_i32_f32_e32 v11, v5
	v_cvt_i32_f32_e32 v6, v3
	v_mov_b32_dpp v9, v10 row_bcast:31 row_mask:0xf bank_mask:0xf bound_ctrl:1
	v_mov_b32_dpp v8, v7 row_bcast:31 row_mask:0xf bank_mask:0xf bound_ctrl:1
	;; [unrolled: 1-line block ×4, first 2 shown]
	s_and_saveexec_b64 s[20:21], s[0:1]
	s_cbranch_execz .LBB128_13
; %bb.26:                               ;   in Loop: Header=BB128_14 Depth=1
	s_and_b64 vcc, exec, s[18:19]
	s_cbranch_vccz .LBB128_28
; %bb.27:                               ;   in Loop: Header=BB128_14 Depth=1
	v_mul_hi_u32 v10, v80, v103
	v_mul_lo_u32 v10, v10, s12
	v_sub_u32_e32 v10, v80, v10
	v_subrev_u32_e32 v11, s12, v10
	v_cmp_le_u32_e32 vcc, s12, v10
	v_mov_b32_e32 v81, v83
	s_nop 0
	v_cndmask_b32_e32 v10, v10, v11, vcc
	v_subrev_u32_e32 v11, s12, v10
	v_cmp_le_u32_e32 vcc, s12, v10
	s_nop 1
	v_cndmask_b32_e32 v82, v10, v11, vcc
	v_add_u32_e32 v10, s30, v82
	v_mov_b32_e32 v11, v83
	v_lshl_add_u64 v[18:19], v[10:11], 1, s[8:9]
	v_add_u32_e32 v10, s31, v82
	v_lshl_add_u64 v[16:17], v[82:83], 1, s[8:9]
	v_lshl_add_u64 v[20:21], v[10:11], 1, s[8:9]
	v_add_u32_e32 v10, s33, v82
	v_add_u32_e32 v82, s34, v82
	v_lshl_add_u64 v[22:23], v[10:11], 1, s[8:9]
	v_lshl_add_u64 v[24:25], v[82:83], 1, s[8:9]
	global_load_ushort v14, v[16:17], off
	global_load_ushort v13, v[18:19], off
	;; [unrolled: 1-line block ×5, first 2 shown]
	s_cbranch_execnz .LBB128_12
	s_branch .LBB128_29
.LBB128_28:                             ;   in Loop: Header=BB128_14 Depth=1
                                        ; implicit-def: $vgpr10
                                        ; implicit-def: $vgpr11
                                        ; implicit-def: $vgpr12
                                        ; implicit-def: $vgpr13
                                        ; implicit-def: $vgpr14
.LBB128_29:                             ;   in Loop: Header=BB128_14 Depth=1
	v_mov_b32_e32 v81, v83
	s_waitcnt vmcnt(4)
	v_mov_b32_e32 v14, 0
	s_waitcnt vmcnt(3)
	;; [unrolled: 2-line block ×5, first 2 shown]
	v_mov_b32_e32 v10, 0
	s_branch .LBB128_12
.LBB128_30:
	s_endpgm
	.section	.rodata,"a",@progbits
	.p2align	6, 0x0
	.amdhsa_kernel _Z16wvSplitK_hf_sml_I6__halfLi32ELi1ELi16ELi8ELi4ELi5EEviiiiiiPKT_S3_S3_PS1_ii
		.amdhsa_group_segment_fixed_size 65536
		.amdhsa_private_segment_fixed_size 0
		.amdhsa_kernarg_size 64
		.amdhsa_user_sgpr_count 2
		.amdhsa_user_sgpr_dispatch_ptr 0
		.amdhsa_user_sgpr_queue_ptr 0
		.amdhsa_user_sgpr_kernarg_segment_ptr 1
		.amdhsa_user_sgpr_dispatch_id 0
		.amdhsa_user_sgpr_kernarg_preload_length 0
		.amdhsa_user_sgpr_kernarg_preload_offset 0
		.amdhsa_user_sgpr_private_segment_size 0
		.amdhsa_uses_dynamic_stack 0
		.amdhsa_enable_private_segment 0
		.amdhsa_system_sgpr_workgroup_id_x 1
		.amdhsa_system_sgpr_workgroup_id_y 0
		.amdhsa_system_sgpr_workgroup_id_z 0
		.amdhsa_system_sgpr_workgroup_info 0
		.amdhsa_system_vgpr_workitem_id 1
		.amdhsa_next_free_vgpr 116
		.amdhsa_next_free_sgpr 39
		.amdhsa_accum_offset 116
		.amdhsa_reserve_vcc 1
		.amdhsa_float_round_mode_32 0
		.amdhsa_float_round_mode_16_64 0
		.amdhsa_float_denorm_mode_32 3
		.amdhsa_float_denorm_mode_16_64 3
		.amdhsa_dx10_clamp 1
		.amdhsa_ieee_mode 1
		.amdhsa_fp16_overflow 0
		.amdhsa_tg_split 0
		.amdhsa_exception_fp_ieee_invalid_op 0
		.amdhsa_exception_fp_denorm_src 0
		.amdhsa_exception_fp_ieee_div_zero 0
		.amdhsa_exception_fp_ieee_overflow 0
		.amdhsa_exception_fp_ieee_underflow 0
		.amdhsa_exception_fp_ieee_inexact 0
		.amdhsa_exception_int_div_zero 0
	.end_amdhsa_kernel
	.section	.text._Z16wvSplitK_hf_sml_I6__halfLi32ELi1ELi16ELi8ELi4ELi5EEviiiiiiPKT_S3_S3_PS1_ii,"axG",@progbits,_Z16wvSplitK_hf_sml_I6__halfLi32ELi1ELi16ELi8ELi4ELi5EEviiiiiiPKT_S3_S3_PS1_ii,comdat
.Lfunc_end128:
	.size	_Z16wvSplitK_hf_sml_I6__halfLi32ELi1ELi16ELi8ELi4ELi5EEviiiiiiPKT_S3_S3_PS1_ii, .Lfunc_end128-_Z16wvSplitK_hf_sml_I6__halfLi32ELi1ELi16ELi8ELi4ELi5EEviiiiiiPKT_S3_S3_PS1_ii
                                        ; -- End function
	.section	.AMDGPU.csdata,"",@progbits
; Kernel info:
; codeLenInByte = 3876
; NumSgprs: 45
; NumVgprs: 116
; NumAgprs: 0
; TotalNumVgprs: 116
; ScratchSize: 0
; MemoryBound: 0
; FloatMode: 240
; IeeeMode: 1
; LDSByteSize: 65536 bytes/workgroup (compile time only)
; SGPRBlocks: 5
; VGPRBlocks: 14
; NumSGPRsForWavesPerEU: 45
; NumVGPRsForWavesPerEU: 116
; AccumOffset: 116
; Occupancy: 2
; WaveLimiterHint : 0
; COMPUTE_PGM_RSRC2:SCRATCH_EN: 0
; COMPUTE_PGM_RSRC2:USER_SGPR: 2
; COMPUTE_PGM_RSRC2:TRAP_HANDLER: 0
; COMPUTE_PGM_RSRC2:TGID_X_EN: 1
; COMPUTE_PGM_RSRC2:TGID_Y_EN: 0
; COMPUTE_PGM_RSRC2:TGID_Z_EN: 0
; COMPUTE_PGM_RSRC2:TIDIG_COMP_CNT: 1
; COMPUTE_PGM_RSRC3_GFX90A:ACCUM_OFFSET: 28
; COMPUTE_PGM_RSRC3_GFX90A:TG_SPLIT: 0
	.section	.text._Z12wvSplitK_hf_I6__halfLi32ELi1ELi16ELi8ELi4ELi5EEviiiiiiPKT_S3_S3_PS1_ii,"axG",@progbits,_Z12wvSplitK_hf_I6__halfLi32ELi1ELi16ELi8ELi4ELi5EEviiiiiiPKT_S3_S3_PS1_ii,comdat
	.protected	_Z12wvSplitK_hf_I6__halfLi32ELi1ELi16ELi8ELi4ELi5EEviiiiiiPKT_S3_S3_PS1_ii ; -- Begin function _Z12wvSplitK_hf_I6__halfLi32ELi1ELi16ELi8ELi4ELi5EEviiiiiiPKT_S3_S3_PS1_ii
	.globl	_Z12wvSplitK_hf_I6__halfLi32ELi1ELi16ELi8ELi4ELi5EEviiiiiiPKT_S3_S3_PS1_ii
	.p2align	8
	.type	_Z12wvSplitK_hf_I6__halfLi32ELi1ELi16ELi8ELi4ELi5EEviiiiiiPKT_S3_S3_PS1_ii,@function
_Z12wvSplitK_hf_I6__halfLi32ELi1ELi16ELi8ELi4ELi5EEviiiiiiPKT_S3_S3_PS1_ii: ; @_Z12wvSplitK_hf_I6__halfLi32ELi1ELi16ELi8ELi4ELi5EEviiiiiiPKT_S3_S3_PS1_ii
; %bb.0:
	s_load_dwordx2 s[4:5], s[0:1], 0x38
	s_load_dwordx2 s[16:17], s[0:1], 0x20
	s_load_dwordx4 s[8:11], s[0:1], 0x0
	s_load_dwordx2 s[18:19], s[0:1], 0x10
	v_bfe_u32 v5, v0, 10, 10
	s_waitcnt lgkmcnt(0)
	s_mul_i32 s2, s2, s4
	v_add_u32_e32 v96, s2, v5
	v_add_u32_e32 v1, 1, v96
	v_cmp_gt_u32_e32 vcc, s11, v96
	v_cmp_le_u32_e64 s[2:3], s11, v1
	s_and_b64 s[6:7], vcc, s[2:3]
	v_mov_b32_e32 v99, 1
	s_and_saveexec_b64 s[2:3], s[6:7]
; %bb.1:
	v_subrev_u32_e32 v1, s11, v96
	v_cmp_eq_u32_e32 vcc, -1, v1
	s_add_i32 s6, s11, -1
	v_mov_b32_e32 v96, s6
	v_cndmask_b32_e64 v99, 0, 1, vcc
; %bb.2:
	s_or_b64 exec, exec, s[2:3]
	v_and_b32_e32 v4, 0x3ff, v0
	v_lshlrev_b32_e32 v98, 3, v4
	s_mul_i32 s2, s10, 5
	v_lshl_add_u32 v6, v5, 8, v98
	s_min_u32 s6, s2, 0x8000
	v_cmp_gt_u32_e32 vcc, s6, v6
	s_and_saveexec_b64 s[2:3], vcc
	s_cbranch_execz .LBB129_11
; %bb.3:
	v_lshlrev_b32_e32 v0, 1, v6
	global_load_dwordx4 v[8:11], v0, s[16:17]
	v_add_u32_e32 v1, 0x1000, v6
	v_cmp_gt_u32_e32 vcc, s6, v1
	s_waitcnt vmcnt(0)
	ds_write_b128 v0, v[8:11]
	s_and_saveexec_b64 s[12:13], vcc
	s_xor_b64 s[12:13], exec, s[12:13]
	s_cbranch_execz .LBB129_11
; %bb.4:
	v_mov_b32_e32 v1, 0
	v_lshl_add_u64 v[2:3], s[16:17], 0, v[0:1]
	v_add_co_u32_e32 v8, vcc, 0x2000, v2
	v_add_u32_e32 v1, 0x2000, v6
	s_nop 0
	v_addc_co_u32_e32 v9, vcc, 0, v3, vcc
	global_load_dwordx4 v[8:11], v[8:9], off
	v_cmp_gt_u32_e32 vcc, s6, v1
	s_waitcnt vmcnt(0)
	ds_write_b128 v0, v[8:11] offset:8192
	s_and_saveexec_b64 s[12:13], vcc
	s_xor_b64 s[12:13], exec, s[12:13]
	s_cbranch_execz .LBB129_11
; %bb.5:
	v_add_co_u32_e32 v8, vcc, 0x4000, v2
	v_add_u32_e32 v1, 0x3000, v6
	s_nop 0
	v_addc_co_u32_e32 v9, vcc, 0, v3, vcc
	global_load_dwordx4 v[8:11], v[8:9], off
	v_cmp_gt_u32_e32 vcc, s6, v1
	s_waitcnt vmcnt(0)
	ds_write_b128 v0, v[8:11] offset:16384
	s_and_saveexec_b64 s[12:13], vcc
	s_xor_b64 s[12:13], exec, s[12:13]
	s_cbranch_execz .LBB129_11
; %bb.6:
	;; [unrolled: 12-line block ×6, first 2 shown]
	v_add_co_u32_e32 v2, vcc, 0xe000, v2
	s_nop 1
	v_addc_co_u32_e32 v3, vcc, 0, v3, vcc
	global_load_dwordx4 v[6:9], v[2:3], off
	s_waitcnt vmcnt(0)
	ds_write_b128 v0, v[6:9] offset:57344
.LBB129_11:
	s_or_b64 exec, exec, s[2:3]
	v_cmp_gt_u32_e32 vcc, s4, v5
	v_cmp_gt_u32_e64 s[2:3], s11, v96
	s_and_b64 s[2:3], vcc, s[2:3]
	s_waitcnt lgkmcnt(0)
	s_barrier
	s_and_saveexec_b64 s[6:7], s[2:3]
	s_cbranch_execz .LBB129_110
; %bb.12:
	s_load_dwordx4 s[12:15], s[0:1], 0x28
	s_load_dwordx2 s[20:21], s[0:1], 0x18
	s_cmp_lg_u32 s8, 0
	s_cselect_b64 s[2:3], -1, 0
	s_add_i32 s33, s8, -8
	s_add_i32 s36, s11, -1
	s_waitcnt lgkmcnt(0)
	s_cmp_lg_u64 s[12:13], 0
	s_cselect_b64 s[24:25], -1, 0
	s_mul_i32 s37, s5, s4
	s_abs_i32 s4, s19
	v_cvt_f32_u32_e32 v0, s18
	v_cvt_f32_u32_e32 v1, s4
	s_sub_i32 s5, 0, s18
	s_sub_i32 s38, s37, s11
	v_rcp_iflag_f32_e32 v0, v0
	v_rcp_iflag_f32_e32 v1, v1
	s_add_i32 s38, s38, 2
	s_lshl_b32 s39, s10, 1
	v_mul_f32_e32 v0, 0x4f7ffffe, v0
	v_mul_f32_e32 v1, 0x4f7ffffe, v1
	v_cvt_u32_f32_e32 v0, v0
	v_cvt_u32_f32_e32 v1, v1
	s_lshl_b32 s19, s10, 2
	v_cmp_eq_u32_e64 s[0:1], 31, v4
	v_mul_lo_u32 v2, s5, v0
	s_sub_i32 s5, 0, s4
	v_readfirstlane_b32 s6, v1
	s_mul_i32 s5, s5, s6
	s_mul_hi_u32 s5, s6, s5
	s_add_i32 s6, s6, s5
	s_sub_i32 s5, 1, s4
	s_cmp_lt_u32 s4, 2
	s_cselect_b32 s5, s5, 1
	s_sub_i32 s7, s5, s4
	s_cmp_ge_u32 s5, s4
	s_cselect_b32 s40, s7, s5
	s_lshr_b32 s5, s6, 31
	s_mul_i32 s5, s5, s4
	s_sub_i32 s5, 2, s5
	s_sub_i32 s7, s5, s4
	s_cmp_ge_u32 s5, s4
	s_cselect_b32 s5, s7, s5
	s_sub_i32 s7, s5, s4
	s_cmp_ge_u32 s5, s4
	s_cselect_b32 s41, s7, s5
	s_mul_hi_u32 s5, s6, 3
	s_mul_i32 s5, s5, s4
	s_sub_i32 s5, 3, s5
	s_sub_i32 s7, s5, s4
	s_cmp_ge_u32 s5, s4
	s_cselect_b32 s5, s7, s5
	s_sub_i32 s7, s5, s4
	s_cmp_ge_u32 s5, s4
	s_cselect_b32 s42, s7, s5
	s_lshr_b32 s5, s6, 30
	s_mul_i32 s5, s5, s4
	s_sub_i32 s5, 4, s5
	s_sub_i32 s6, s5, s4
	s_cmp_ge_u32 s5, s4
	s_cselect_b32 s5, s6, s5
	s_sub_i32 s6, s5, s4
	v_mul_hi_u32 v2, v0, v2
	s_cmp_ge_u32 s5, s4
	v_add_u32_e32 v118, v0, v2
	s_cselect_b32 s43, s6, s5
	v_mad_u64_u32 v[102:103], s[4:5], s10, 3, v[98:99]
	v_cndmask_b32_e64 v0, 0, 1, s[2:3]
	s_mov_b64 s[22:23], 0
	v_mov_b32_e32 v101, 0
	s_mul_i32 s40, s40, s18
	s_mul_i32 s41, s41, s18
	;; [unrolled: 1-line block ×4, first 2 shown]
	v_lshlrev_b32_e32 v119, 4, v4
	s_lshl_b32 s44, s10, 3
	s_mul_i32 s45, s10, 6
	v_add_u32_e32 v120, s39, v98
	v_add_u32_e32 v103, s19, v98
	;; [unrolled: 1-line block ×3, first 2 shown]
	v_cmp_ne_u32_e64 s[2:3], 1, v0
	s_movk_i32 s10, 0x7fff
	s_mov_b32 s26, 0
	s_branch .LBB129_14
.LBB129_13:                             ;   in Loop: Header=BB129_14 Depth=1
	s_or_b64 exec, exec, s[4:5]
	v_add_u32_e32 v0, s37, v96
	v_add_u32_e32 v1, 1, v0
	v_cmp_le_u32_e32 vcc, s11, v0
	v_cmp_gt_u32_e64 s[4:5], s11, v1
	v_add_u32_e32 v1, s38, v96
	v_cmp_eq_u32_e64 s[6:7], 1, v1
	v_mov_b32_e32 v1, s36
	s_or_b64 vcc, vcc, s[4:5]
	v_cndmask_b32_e32 v96, v1, v0, vcc
	v_cmp_le_u32_e64 s[4:5], s11, v96
	s_or_b64 vcc, vcc, s[6:7]
	s_or_b64 s[22:23], s[4:5], s[22:23]
	v_cndmask_b32_e32 v99, 0, v99, vcc
	s_andn2_b64 exec, exec, s[22:23]
	s_cbranch_execz .LBB129_110
.LBB129_14:                             ; =>This Loop Header: Depth=1
                                        ;     Child Loop BB129_21 Depth 2
	s_and_b64 vcc, exec, s[2:3]
	v_mov_b32_e32 v125, v101
	v_mov_b32_e32 v124, v101
	;; [unrolled: 1-line block ×5, first 2 shown]
	s_cbranch_vccnz .LBB129_105
; %bb.15:                               ;   in Loop: Header=BB129_14 Depth=1
	v_min_u32_e32 v0, s36, v96
	v_mul_lo_u32 v100, v0, s9
	v_lshl_add_u64 v[104:105], v[100:101], 1, s[20:21]
	v_mov_b32_e32 v97, 0
	v_mov_b32_e32 v126, v119
	;; [unrolled: 1-line block ×6, first 2 shown]
	s_mov_b32 s46, s26
	s_branch .LBB129_21
.LBB129_16:                             ;   in Loop: Header=BB129_21 Depth=2
	s_or_b64 exec, exec, s[34:35]
.LBB129_17:                             ;   in Loop: Header=BB129_21 Depth=2
	s_or_b64 exec, exec, s[30:31]
.LBB129_18:                             ;   in Loop: Header=BB129_21 Depth=2
	s_or_b64 exec, exec, s[28:29]
.LBB129_19:                             ;   in Loop: Header=BB129_21 Depth=2
	s_or_b64 exec, exec, s[6:7]
.LBB129_20:                             ;   in Loop: Header=BB129_21 Depth=2
	s_or_b64 exec, exec, s[4:5]
	s_waitcnt vmcnt(0) lgkmcnt(0)
	;;#ASMSTART
	v_dot2c_f32_f16 v125, v32, v12
	;;#ASMEND
	;;#ASMSTART
	v_dot2c_f32_f16 v124, v28, v12
	;;#ASMEND
	;;#ASMSTART
	v_dot2c_f32_f16 v123, v20, v12
	;;#ASMEND
	;;#ASMSTART
	v_dot2c_f32_f16 v122, v16, v12
	;;#ASMEND
	;;#ASMSTART
	v_dot2c_f32_f16 v97, v24, v12
	;;#ASMEND
	s_addk_i32 s46, 0x400
	;;#ASMSTART
	v_dot2c_f32_f16 v125, v33, v13
	;;#ASMEND
	;;#ASMSTART
	v_dot2c_f32_f16 v124, v29, v13
	;;#ASMEND
	;; [unrolled: 3-line block ×5, first 2 shown]
	s_cmp_ge_u32 s46, s8
	;;#ASMSTART
	v_dot2c_f32_f16 v125, v34, v14
	;;#ASMEND
	;;#ASMSTART
	v_dot2c_f32_f16 v124, v30, v14
	;;#ASMEND
	;; [unrolled: 3-line block ×5, first 2 shown]
	v_add_u32_e32 v126, 0x800, v126
	;;#ASMSTART
	v_dot2c_f32_f16 v125, v35, v15
	;;#ASMEND
	;;#ASMSTART
	v_dot2c_f32_f16 v124, v31, v15
	;;#ASMEND
	;;#ASMSTART
	v_dot2c_f32_f16 v123, v23, v15
	;;#ASMEND
	;;#ASMSTART
	v_dot2c_f32_f16 v122, v19, v15
	;;#ASMEND
	;;#ASMSTART
	v_dot2c_f32_f16 v97, v27, v15
	;;#ASMEND
	s_nop 0
	;;#ASMSTART
	v_dot2c_f32_f16 v125, v52, v4
	;;#ASMEND
	;;#ASMSTART
	v_dot2c_f32_f16 v124, v48, v4
	;;#ASMEND
	;;#ASMSTART
	v_dot2c_f32_f16 v123, v44, v4
	;;#ASMEND
	;;#ASMSTART
	v_dot2c_f32_f16 v122, v36, v4
	;;#ASMEND
	;;#ASMSTART
	v_dot2c_f32_f16 v97, v40, v4
	;;#ASMEND
	s_nop 0
	;; [unrolled: 16-line block ×12, first 2 shown]
	;;#ASMSTART
	v_dot2c_f32_f16 v125, v95, v3
	;;#ASMEND
	;;#ASMSTART
	v_dot2c_f32_f16 v124, v87, v3
	;;#ASMEND
	;;#ASMSTART
	v_dot2c_f32_f16 v123, v91, v3
	;;#ASMEND
	;;#ASMSTART
	v_dot2c_f32_f16 v122, v79, v3
	;;#ASMEND
	;;#ASMSTART
	v_dot2c_f32_f16 v97, v83, v3
	;;#ASMEND
	s_cbranch_scc1 .LBB129_105
.LBB129_21:                             ;   Parent Loop BB129_14 Depth=1
                                        ; =>  This Inner Loop Header: Depth=2
	v_add_u32_e32 v108, s46, v98
	v_min_u32_e32 v100, s33, v108
	v_add_u32_e32 v116, 0x100, v108
	v_lshl_add_u64 v[0:1], v[100:101], 1, v[104:105]
	v_min_u32_e32 v100, s33, v116
	v_add_u32_e32 v114, 0x200, v108
	v_lshl_add_u64 v[2:3], v[100:101], 1, v[104:105]
	v_min_u32_e32 v100, s33, v114
	v_add_u32_e32 v106, 0x300, v108
	v_lshl_add_u64 v[16:17], v[100:101], 1, v[104:105]
	v_min_u32_e32 v100, s33, v106
	global_load_dwordx4 v[12:15], v[0:1], off nt
	global_load_dwordx4 v[4:7], v[2:3], off nt
	v_lshl_add_u64 v[18:19], v[100:101], 1, v[104:105]
	global_load_dwordx4 v[8:11], v[16:17], off nt
	global_load_dwordx4 v[0:3], v[18:19], off nt
	s_mov_b32 s27, s26
	v_cmp_gt_u32_e32 vcc, s8, v108
	v_mov_b64_e32 v[78:79], s[26:27]
	v_mov_b32_e32 v83, 0
	v_mov_b32_e32 v82, 0
	;; [unrolled: 1-line block ×4, first 2 shown]
	v_mov_b64_e32 v[76:77], s[26:27]
	v_mov_b64_e32 v[90:91], s[26:27]
	;; [unrolled: 1-line block ×37, first 2 shown]
	s_and_saveexec_b64 s[4:5], vcc
	s_cbranch_execz .LBB129_20
; %bb.22:                               ;   in Loop: Header=BB129_21 Depth=2
	v_cmp_lt_u32_e32 vcc, s10, v108
                                        ; implicit-def: $vgpr34_vgpr35
	s_and_saveexec_b64 s[6:7], vcc
	s_xor_b64 s[6:7], exec, s[6:7]
	s_cbranch_execz .LBB129_24
; %bb.23:                               ;   in Loop: Header=BB129_21 Depth=2
	v_mov_b32_e32 v109, v101
	v_lshl_add_u64 v[16:17], v[108:109], 1, s[16:17]
	global_load_dwordx4 v[32:35], v[16:17], off
.LBB129_24:                             ;   in Loop: Header=BB129_21 Depth=2
	s_andn2_saveexec_b64 s[6:7], s[6:7]
	s_cbranch_execz .LBB129_26
; %bb.25:                               ;   in Loop: Header=BB129_21 Depth=2
	s_waitcnt vmcnt(0)
	ds_read_b128 v[32:35], v126
.LBB129_26:                             ;   in Loop: Header=BB129_21 Depth=2
	s_or_b64 exec, exec, s[6:7]
	v_add_u32_e32 v100, s46, v121
	v_cmp_lt_u32_e32 vcc, s10, v100
                                        ; implicit-def: $vgpr30_vgpr31
	s_and_saveexec_b64 s[6:7], vcc
	s_xor_b64 s[6:7], exec, s[6:7]
	s_cbranch_execz .LBB129_28
; %bb.27:                               ;   in Loop: Header=BB129_21 Depth=2
	v_lshl_add_u64 v[16:17], v[100:101], 1, s[16:17]
	global_load_dwordx4 v[28:31], v[16:17], off
.LBB129_28:                             ;   in Loop: Header=BB129_21 Depth=2
	s_andn2_saveexec_b64 s[6:7], s[6:7]
	s_cbranch_execz .LBB129_30
; %bb.29:                               ;   in Loop: Header=BB129_21 Depth=2
	v_add_u32_e32 v16, s39, v126
	s_waitcnt vmcnt(0)
	ds_read_b128 v[28:31], v16
.LBB129_30:                             ;   in Loop: Header=BB129_21 Depth=2
	s_or_b64 exec, exec, s[6:7]
	v_add_u32_e32 v112, s46, v120
	v_cmp_lt_u32_e32 vcc, s10, v112
                                        ; implicit-def: $vgpr22_vgpr23
	s_and_saveexec_b64 s[6:7], vcc
	s_xor_b64 s[6:7], exec, s[6:7]
	s_cbranch_execz .LBB129_32
; %bb.31:                               ;   in Loop: Header=BB129_21 Depth=2
	v_mov_b32_e32 v113, v101
	v_lshl_add_u64 v[16:17], v[112:113], 1, s[16:17]
	global_load_dwordx4 v[20:23], v[16:17], off
.LBB129_32:                             ;   in Loop: Header=BB129_21 Depth=2
	s_andn2_saveexec_b64 s[6:7], s[6:7]
	s_cbranch_execz .LBB129_34
; %bb.33:                               ;   in Loop: Header=BB129_21 Depth=2
	v_add_u32_e32 v16, s19, v126
	s_waitcnt vmcnt(0)
	ds_read2_b32 v[20:21], v16 offset1:1
	ds_read2_b32 v[22:23], v16 offset0:2 offset1:3
.LBB129_34:                             ;   in Loop: Header=BB129_21 Depth=2
	s_or_b64 exec, exec, s[6:7]
	v_add_u32_e32 v110, s46, v102
	v_cmp_lt_u32_e32 vcc, s10, v110
                                        ; implicit-def: $vgpr18_vgpr19
	s_and_saveexec_b64 s[6:7], vcc
	s_xor_b64 s[6:7], exec, s[6:7]
	s_cbranch_execz .LBB129_36
; %bb.35:                               ;   in Loop: Header=BB129_21 Depth=2
	v_mov_b32_e32 v111, v101
	v_lshl_add_u64 v[16:17], v[110:111], 1, s[16:17]
	global_load_dwordx4 v[16:19], v[16:17], off
.LBB129_36:                             ;   in Loop: Header=BB129_21 Depth=2
	s_andn2_saveexec_b64 s[6:7], s[6:7]
	s_cbranch_execz .LBB129_38
; %bb.37:                               ;   in Loop: Header=BB129_21 Depth=2
	s_waitcnt vmcnt(0)
	v_add_u32_e32 v16, s45, v126
	ds_read_b128 v[16:19], v16
.LBB129_38:                             ;   in Loop: Header=BB129_21 Depth=2
	s_or_b64 exec, exec, s[6:7]
	v_add_u32_e32 v108, s46, v103
	v_cmp_lt_u32_e32 vcc, s10, v108
                                        ; implicit-def: $vgpr26_vgpr27
	s_and_saveexec_b64 s[6:7], vcc
	s_xor_b64 s[6:7], exec, s[6:7]
	s_cbranch_execz .LBB129_40
; %bb.39:                               ;   in Loop: Header=BB129_21 Depth=2
	v_mov_b32_e32 v109, v101
	v_lshl_add_u64 v[24:25], v[108:109], 1, s[16:17]
	global_load_dwordx4 v[24:27], v[24:25], off
.LBB129_40:                             ;   in Loop: Header=BB129_21 Depth=2
	s_andn2_saveexec_b64 s[6:7], s[6:7]
	s_cbranch_execz .LBB129_42
; %bb.41:                               ;   in Loop: Header=BB129_21 Depth=2
	s_waitcnt vmcnt(0)
	v_add_u32_e32 v24, s44, v126
	ds_read2_b64 v[24:27], v24 offset1:1
.LBB129_42:                             ;   in Loop: Header=BB129_21 Depth=2
	s_or_b64 exec, exec, s[6:7]
	s_mov_b32 s27, s26
	v_cmp_gt_u32_e32 vcc, s8, v116
	v_mov_b32_e32 v83, 0
	v_mov_b64_e32 v[78:79], s[26:27]
	v_mov_b32_e32 v82, 0
	v_mov_b32_e32 v81, 0
	;; [unrolled: 1-line block ×3, first 2 shown]
	v_mov_b64_e32 v[76:77], s[26:27]
	v_mov_b64_e32 v[90:91], s[26:27]
	;; [unrolled: 1-line block ×27, first 2 shown]
	s_and_saveexec_b64 s[6:7], vcc
	s_cbranch_execz .LBB129_19
; %bb.43:                               ;   in Loop: Header=BB129_21 Depth=2
	v_cmp_lt_u32_e32 vcc, s10, v116
                                        ; implicit-def: $vgpr54_vgpr55
	s_and_saveexec_b64 s[28:29], vcc
	s_xor_b64 s[28:29], exec, s[28:29]
	s_cbranch_execz .LBB129_45
; %bb.44:                               ;   in Loop: Header=BB129_21 Depth=2
	v_mov_b32_e32 v117, v101
	v_lshl_add_u64 v[36:37], v[116:117], 1, s[16:17]
	global_load_dwordx4 v[52:55], v[36:37], off
.LBB129_45:                             ;   in Loop: Header=BB129_21 Depth=2
	s_andn2_saveexec_b64 s[28:29], s[28:29]
	s_cbranch_execz .LBB129_47
; %bb.46:                               ;   in Loop: Header=BB129_21 Depth=2
	s_waitcnt vmcnt(0)
	ds_read_b128 v[52:55], v126 offset:512
.LBB129_47:                             ;   in Loop: Header=BB129_21 Depth=2
	s_or_b64 exec, exec, s[28:29]
	v_add_u32_e32 v36, 0x100, v100
	v_cmp_lt_u32_e32 vcc, s10, v36
                                        ; implicit-def: $vgpr50_vgpr51
	s_and_saveexec_b64 s[28:29], vcc
	s_xor_b64 s[28:29], exec, s[28:29]
	s_cbranch_execz .LBB129_49
; %bb.48:                               ;   in Loop: Header=BB129_21 Depth=2
	v_mov_b32_e32 v37, v101
	v_lshl_add_u64 v[36:37], v[36:37], 1, s[16:17]
	global_load_dwordx4 v[48:51], v[36:37], off
.LBB129_49:                             ;   in Loop: Header=BB129_21 Depth=2
	s_andn2_saveexec_b64 s[28:29], s[28:29]
	s_cbranch_execz .LBB129_51
; %bb.50:                               ;   in Loop: Header=BB129_21 Depth=2
	v_add_u32_e32 v36, s39, v126
	s_waitcnt vmcnt(0)
	ds_read_b128 v[48:51], v36 offset:512
.LBB129_51:                             ;   in Loop: Header=BB129_21 Depth=2
	s_or_b64 exec, exec, s[28:29]
	v_add_u32_e32 v36, 0x100, v112
	v_cmp_lt_u32_e32 vcc, s10, v36
                                        ; implicit-def: $vgpr46_vgpr47
	s_and_saveexec_b64 s[28:29], vcc
	s_xor_b64 s[28:29], exec, s[28:29]
	s_cbranch_execz .LBB129_53
; %bb.52:                               ;   in Loop: Header=BB129_21 Depth=2
	v_mov_b32_e32 v37, v101
	v_lshl_add_u64 v[36:37], v[36:37], 1, s[16:17]
	global_load_dwordx4 v[44:47], v[36:37], off
.LBB129_53:                             ;   in Loop: Header=BB129_21 Depth=2
	s_andn2_saveexec_b64 s[28:29], s[28:29]
	s_cbranch_execz .LBB129_55
; %bb.54:                               ;   in Loop: Header=BB129_21 Depth=2
	v_add_u32_e32 v36, s19, v126
	s_waitcnt vmcnt(0)
	ds_read2_b32 v[44:45], v36 offset0:128 offset1:129
	ds_read2_b32 v[46:47], v36 offset0:130 offset1:131
.LBB129_55:                             ;   in Loop: Header=BB129_21 Depth=2
	s_or_b64 exec, exec, s[28:29]
	v_add_u32_e32 v36, 0x100, v110
	v_cmp_lt_u32_e32 vcc, s10, v36
                                        ; implicit-def: $vgpr38_vgpr39
	s_and_saveexec_b64 s[28:29], vcc
	s_xor_b64 s[28:29], exec, s[28:29]
	s_cbranch_execz .LBB129_57
; %bb.56:                               ;   in Loop: Header=BB129_21 Depth=2
	v_mov_b32_e32 v37, v101
	v_lshl_add_u64 v[36:37], v[36:37], 1, s[16:17]
	global_load_dwordx4 v[36:39], v[36:37], off
.LBB129_57:                             ;   in Loop: Header=BB129_21 Depth=2
	s_andn2_saveexec_b64 s[28:29], s[28:29]
	s_cbranch_execz .LBB129_59
; %bb.58:                               ;   in Loop: Header=BB129_21 Depth=2
	s_waitcnt vmcnt(0)
	v_add_u32_e32 v36, s45, v126
	ds_read_b128 v[36:39], v36 offset:512
.LBB129_59:                             ;   in Loop: Header=BB129_21 Depth=2
	s_or_b64 exec, exec, s[28:29]
	v_add_u32_e32 v40, 0x100, v108
	v_cmp_lt_u32_e32 vcc, s10, v40
                                        ; implicit-def: $vgpr42_vgpr43
	s_and_saveexec_b64 s[28:29], vcc
	s_xor_b64 s[28:29], exec, s[28:29]
	s_cbranch_execz .LBB129_61
; %bb.60:                               ;   in Loop: Header=BB129_21 Depth=2
	v_mov_b32_e32 v41, v101
	v_lshl_add_u64 v[40:41], v[40:41], 1, s[16:17]
	global_load_dwordx4 v[40:43], v[40:41], off
.LBB129_61:                             ;   in Loop: Header=BB129_21 Depth=2
	s_andn2_saveexec_b64 s[28:29], s[28:29]
	s_cbranch_execz .LBB129_63
; %bb.62:                               ;   in Loop: Header=BB129_21 Depth=2
	s_waitcnt vmcnt(0)
	v_add_u32_e32 v40, s44, v126
	ds_read2_b64 v[40:43], v40 offset0:64 offset1:65
.LBB129_63:                             ;   in Loop: Header=BB129_21 Depth=2
	s_or_b64 exec, exec, s[28:29]
	s_mov_b32 s27, s26
	v_cmp_gt_u32_e32 vcc, s8, v114
	v_mov_b32_e32 v83, 0
	v_mov_b64_e32 v[78:79], s[26:27]
	v_mov_b32_e32 v82, 0
	v_mov_b32_e32 v81, 0
	v_mov_b32_e32 v80, 0
	v_mov_b64_e32 v[76:77], s[26:27]
	v_mov_b64_e32 v[90:91], s[26:27]
	v_mov_b64_e32 v[88:89], s[26:27]
	v_mov_b64_e32 v[86:87], s[26:27]
	v_mov_b64_e32 v[84:85], s[26:27]
	v_mov_b64_e32 v[94:95], s[26:27]
	v_mov_b64_e32 v[92:93], s[26:27]
	v_mov_b64_e32 v[62:63], s[26:27]
	v_mov_b64_e32 v[60:61], s[26:27]
	v_mov_b64_e32 v[58:59], s[26:27]
	v_mov_b64_e32 v[56:57], s[26:27]
	v_mov_b64_e32 v[70:71], s[26:27]
	v_mov_b64_e32 v[68:69], s[26:27]
	v_mov_b64_e32 v[66:67], s[26:27]
	v_mov_b64_e32 v[64:65], s[26:27]
	v_mov_b64_e32 v[74:75], s[26:27]
	v_mov_b64_e32 v[72:73], s[26:27]
	s_and_saveexec_b64 s[28:29], vcc
	s_cbranch_execz .LBB129_18
; %bb.64:                               ;   in Loop: Header=BB129_21 Depth=2
	v_cmp_lt_u32_e32 vcc, s10, v114
                                        ; implicit-def: $vgpr74_vgpr75
	s_and_saveexec_b64 s[30:31], vcc
	s_xor_b64 s[30:31], exec, s[30:31]
	s_cbranch_execz .LBB129_66
; %bb.65:                               ;   in Loop: Header=BB129_21 Depth=2
	v_mov_b32_e32 v115, v101
	v_lshl_add_u64 v[56:57], v[114:115], 1, s[16:17]
	global_load_dwordx4 v[72:75], v[56:57], off
.LBB129_66:                             ;   in Loop: Header=BB129_21 Depth=2
	s_andn2_saveexec_b64 s[30:31], s[30:31]
	s_cbranch_execz .LBB129_68
; %bb.67:                               ;   in Loop: Header=BB129_21 Depth=2
	s_waitcnt vmcnt(0)
	ds_read_b128 v[72:75], v126 offset:1024
.LBB129_68:                             ;   in Loop: Header=BB129_21 Depth=2
	s_or_b64 exec, exec, s[30:31]
	v_add_u32_e32 v56, 0x200, v100
	v_cmp_lt_u32_e32 vcc, s10, v56
                                        ; implicit-def: $vgpr66_vgpr67
	s_and_saveexec_b64 s[30:31], vcc
	s_xor_b64 s[30:31], exec, s[30:31]
	s_cbranch_execz .LBB129_70
; %bb.69:                               ;   in Loop: Header=BB129_21 Depth=2
	v_mov_b32_e32 v57, v101
	v_lshl_add_u64 v[56:57], v[56:57], 1, s[16:17]
	global_load_dwordx4 v[64:67], v[56:57], off
.LBB129_70:                             ;   in Loop: Header=BB129_21 Depth=2
	s_andn2_saveexec_b64 s[30:31], s[30:31]
	s_cbranch_execz .LBB129_72
; %bb.71:                               ;   in Loop: Header=BB129_21 Depth=2
	v_add_u32_e32 v56, s39, v126
	s_waitcnt vmcnt(0)
	ds_read_b128 v[64:67], v56 offset:1024
.LBB129_72:                             ;   in Loop: Header=BB129_21 Depth=2
	s_or_b64 exec, exec, s[30:31]
	v_add_u32_e32 v56, 0x200, v112
	v_cmp_lt_u32_e32 vcc, s10, v56
                                        ; implicit-def: $vgpr70_vgpr71
	s_and_saveexec_b64 s[30:31], vcc
	s_xor_b64 s[30:31], exec, s[30:31]
	s_cbranch_execz .LBB129_74
; %bb.73:                               ;   in Loop: Header=BB129_21 Depth=2
	v_mov_b32_e32 v57, v101
	v_lshl_add_u64 v[56:57], v[56:57], 1, s[16:17]
	global_load_dwordx4 v[68:71], v[56:57], off
.LBB129_74:                             ;   in Loop: Header=BB129_21 Depth=2
	s_andn2_saveexec_b64 s[30:31], s[30:31]
	s_cbranch_execz .LBB129_76
; %bb.75:                               ;   in Loop: Header=BB129_21 Depth=2
	v_add_u32_e32 v56, s19, v126
	v_add_u32_e32 v57, 0x400, v56
	;; [unrolled: 1-line block ×3, first 2 shown]
	s_waitcnt vmcnt(0)
	ds_read2_b32 v[68:69], v57 offset1:1
	ds_read2_b32 v[70:71], v56 offset1:1
.LBB129_76:                             ;   in Loop: Header=BB129_21 Depth=2
	s_or_b64 exec, exec, s[30:31]
	v_add_u32_e32 v56, 0x200, v110
	v_cmp_lt_u32_e32 vcc, s10, v56
                                        ; implicit-def: $vgpr58_vgpr59
	s_and_saveexec_b64 s[30:31], vcc
	s_xor_b64 s[30:31], exec, s[30:31]
	s_cbranch_execz .LBB129_78
; %bb.77:                               ;   in Loop: Header=BB129_21 Depth=2
	v_mov_b32_e32 v57, v101
	v_lshl_add_u64 v[56:57], v[56:57], 1, s[16:17]
	global_load_dwordx4 v[56:59], v[56:57], off
.LBB129_78:                             ;   in Loop: Header=BB129_21 Depth=2
	s_andn2_saveexec_b64 s[30:31], s[30:31]
	s_cbranch_execz .LBB129_80
; %bb.79:                               ;   in Loop: Header=BB129_21 Depth=2
	s_waitcnt vmcnt(0)
	v_add_u32_e32 v56, s45, v126
	ds_read_b128 v[56:59], v56 offset:1024
.LBB129_80:                             ;   in Loop: Header=BB129_21 Depth=2
	s_or_b64 exec, exec, s[30:31]
	v_add_u32_e32 v60, 0x200, v108
	v_cmp_lt_u32_e32 vcc, s10, v60
                                        ; implicit-def: $vgpr62_vgpr63
	s_and_saveexec_b64 s[30:31], vcc
	s_xor_b64 s[30:31], exec, s[30:31]
	s_cbranch_execz .LBB129_82
; %bb.81:                               ;   in Loop: Header=BB129_21 Depth=2
	v_mov_b32_e32 v61, v101
	v_lshl_add_u64 v[60:61], v[60:61], 1, s[16:17]
	global_load_dwordx4 v[60:63], v[60:61], off
.LBB129_82:                             ;   in Loop: Header=BB129_21 Depth=2
	s_andn2_saveexec_b64 s[30:31], s[30:31]
	s_cbranch_execz .LBB129_84
; %bb.83:                               ;   in Loop: Header=BB129_21 Depth=2
	s_waitcnt vmcnt(0)
	v_add_u32_e32 v60, s44, v126
	ds_read2_b64 v[60:63], v60 offset0:128 offset1:129
.LBB129_84:                             ;   in Loop: Header=BB129_21 Depth=2
	s_or_b64 exec, exec, s[30:31]
	s_mov_b32 s27, s26
	v_cmp_gt_u32_e32 vcc, s8, v106
	v_mov_b32_e32 v83, 0
	v_mov_b64_e32 v[78:79], s[26:27]
	v_mov_b32_e32 v82, 0
	v_mov_b32_e32 v81, 0
	;; [unrolled: 1-line block ×3, first 2 shown]
	v_mov_b64_e32 v[76:77], s[26:27]
	v_mov_b64_e32 v[90:91], s[26:27]
	;; [unrolled: 1-line block ×7, first 2 shown]
	s_and_saveexec_b64 s[30:31], vcc
	s_cbranch_execz .LBB129_17
; %bb.85:                               ;   in Loop: Header=BB129_21 Depth=2
	v_cmp_lt_u32_e32 vcc, s10, v106
                                        ; implicit-def: $vgpr94_vgpr95
	s_and_saveexec_b64 s[34:35], vcc
	s_xor_b64 s[34:35], exec, s[34:35]
	s_cbranch_execz .LBB129_87
; %bb.86:                               ;   in Loop: Header=BB129_21 Depth=2
	v_mov_b32_e32 v107, v101
	v_lshl_add_u64 v[76:77], v[106:107], 1, s[16:17]
	global_load_dwordx4 v[92:95], v[76:77], off
.LBB129_87:                             ;   in Loop: Header=BB129_21 Depth=2
	s_andn2_saveexec_b64 s[34:35], s[34:35]
	s_cbranch_execz .LBB129_89
; %bb.88:                               ;   in Loop: Header=BB129_21 Depth=2
	s_waitcnt vmcnt(0)
	ds_read_b128 v[92:95], v126 offset:1536
.LBB129_89:                             ;   in Loop: Header=BB129_21 Depth=2
	s_or_b64 exec, exec, s[34:35]
	v_add_u32_e32 v100, 0x300, v100
	v_cmp_lt_u32_e32 vcc, s10, v100
                                        ; implicit-def: $vgpr86_vgpr87
	s_and_saveexec_b64 s[34:35], vcc
	s_xor_b64 s[34:35], exec, s[34:35]
	s_cbranch_execz .LBB129_91
; %bb.90:                               ;   in Loop: Header=BB129_21 Depth=2
	v_lshl_add_u64 v[76:77], v[100:101], 1, s[16:17]
	global_load_dwordx4 v[84:87], v[76:77], off
.LBB129_91:                             ;   in Loop: Header=BB129_21 Depth=2
	s_andn2_saveexec_b64 s[34:35], s[34:35]
	s_cbranch_execz .LBB129_93
; %bb.92:                               ;   in Loop: Header=BB129_21 Depth=2
	v_add_u32_e32 v76, s39, v126
	s_waitcnt vmcnt(0)
	ds_read_b128 v[84:87], v76 offset:1536
.LBB129_93:                             ;   in Loop: Header=BB129_21 Depth=2
	s_or_b64 exec, exec, s[34:35]
	v_add_u32_e32 v100, 0x300, v112
	v_cmp_lt_u32_e32 vcc, s10, v100
                                        ; implicit-def: $vgpr90_vgpr91
	s_and_saveexec_b64 s[34:35], vcc
	s_xor_b64 s[34:35], exec, s[34:35]
	s_cbranch_execz .LBB129_95
; %bb.94:                               ;   in Loop: Header=BB129_21 Depth=2
	v_lshl_add_u64 v[76:77], v[100:101], 1, s[16:17]
	global_load_dwordx4 v[88:91], v[76:77], off
.LBB129_95:                             ;   in Loop: Header=BB129_21 Depth=2
	s_andn2_saveexec_b64 s[34:35], s[34:35]
	s_cbranch_execz .LBB129_97
; %bb.96:                               ;   in Loop: Header=BB129_21 Depth=2
	v_add_u32_e32 v76, s19, v126
	v_add_u32_e32 v77, 0x600, v76
	;; [unrolled: 1-line block ×3, first 2 shown]
	s_waitcnt vmcnt(0)
	ds_read2_b32 v[88:89], v77 offset1:1
	ds_read2_b32 v[90:91], v76 offset1:1
.LBB129_97:                             ;   in Loop: Header=BB129_21 Depth=2
	s_or_b64 exec, exec, s[34:35]
	v_add_u32_e32 v100, 0x300, v110
	v_cmp_lt_u32_e32 vcc, s10, v100
                                        ; implicit-def: $vgpr78_vgpr79
	s_and_saveexec_b64 s[34:35], vcc
	s_xor_b64 s[34:35], exec, s[34:35]
	s_cbranch_execz .LBB129_99
; %bb.98:                               ;   in Loop: Header=BB129_21 Depth=2
	v_lshl_add_u64 v[76:77], v[100:101], 1, s[16:17]
	global_load_dwordx4 v[76:79], v[76:77], off
.LBB129_99:                             ;   in Loop: Header=BB129_21 Depth=2
	s_andn2_saveexec_b64 s[34:35], s[34:35]
	s_cbranch_execz .LBB129_101
; %bb.100:                              ;   in Loop: Header=BB129_21 Depth=2
	s_waitcnt vmcnt(0)
	v_add_u32_e32 v76, s45, v126
	ds_read_b128 v[76:79], v76 offset:1536
.LBB129_101:                            ;   in Loop: Header=BB129_21 Depth=2
	s_or_b64 exec, exec, s[34:35]
	v_add_u32_e32 v100, 0x300, v108
	v_cmp_lt_u32_e32 vcc, s10, v100
                                        ; implicit-def: $vgpr83
	s_and_saveexec_b64 s[34:35], vcc
	s_xor_b64 s[34:35], exec, s[34:35]
	s_cbranch_execz .LBB129_103
; %bb.102:                              ;   in Loop: Header=BB129_21 Depth=2
	v_lshl_add_u64 v[80:81], v[100:101], 1, s[16:17]
	global_load_dwordx4 v[80:83], v[80:81], off
.LBB129_103:                            ;   in Loop: Header=BB129_21 Depth=2
	s_andn2_saveexec_b64 s[34:35], s[34:35]
	s_cbranch_execz .LBB129_16
; %bb.104:                              ;   in Loop: Header=BB129_21 Depth=2
	s_waitcnt vmcnt(0)
	v_add_u32_e32 v80, s44, v126
	ds_read2_b64 v[80:83], v80 offset0:192 offset1:193
	s_branch .LBB129_16
.LBB129_105:                            ;   in Loop: Header=BB129_14 Depth=1
	v_cvt_i32_f32_e32 v0, v125
	v_cvt_i32_f32_e32 v1, v124
	v_cvt_i32_f32_e32 v2, v123
	v_cvt_i32_f32_e32 v3, v122
	v_cvt_f32_i32_dpp v0, v0 row_shr:8 row_mask:0xf bank_mask:0xf bound_ctrl:1
	v_cvt_f32_i32_dpp v1, v1 row_shr:8 row_mask:0xf bank_mask:0xf bound_ctrl:1
	;; [unrolled: 1-line block ×3, first 2 shown]
	v_cvt_i32_f32_e32 v4, v97
	v_add_f32_e32 v0, v125, v0
	v_cvt_i32_f32_e32 v5, v0
	v_add_f32_e32 v1, v124, v1
	;; [unrolled: 2-line block ×3, first 2 shown]
	v_cvt_f32_i32_dpp v5, v5 row_shr:4 row_mask:0xf bank_mask:0xf bound_ctrl:1
	v_cvt_i32_f32_e32 v7, v2
	v_cvt_f32_i32_dpp v6, v6 row_shr:4 row_mask:0xf bank_mask:0xf bound_ctrl:1
	v_cvt_f32_i32_dpp v3, v3 row_shr:8 row_mask:0xf bank_mask:0xf bound_ctrl:1
	v_add_f32_e32 v0, v0, v5
	v_cvt_i32_f32_e32 v5, v0
	v_add_f32_e32 v1, v1, v6
	v_cvt_i32_f32_e32 v6, v1
	v_cvt_f32_i32_dpp v4, v4 row_shr:8 row_mask:0xf bank_mask:0xf bound_ctrl:1
	v_cvt_f32_i32_dpp v5, v5 row_shr:2 row_mask:0xf bank_mask:0xf bound_ctrl:1
	;; [unrolled: 1-line block ×4, first 2 shown]
	v_add_f32_e32 v3, v122, v3
	v_add_f32_e32 v0, v0, v5
	v_cvt_i32_f32_e32 v5, v0
	v_add_f32_e32 v4, v97, v4
	v_cvt_i32_f32_e32 v8, v3
	v_cvt_i32_f32_e32 v9, v4
	v_cvt_f32_i32_dpp v5, v5 row_shr:1 row_mask:0xf bank_mask:0xf bound_ctrl:1
	v_add_f32_e32 v2, v2, v7
	v_add_f32_e32 v1, v1, v6
	v_cvt_i32_f32_e32 v7, v2
	v_add_f32_e32 v0, v0, v5
	v_cvt_i32_f32_e32 v5, v0
	v_cvt_i32_f32_e32 v6, v1
	v_cvt_f32_i32_dpp v8, v8 row_shr:4 row_mask:0xf bank_mask:0xf bound_ctrl:1
	v_cvt_f32_i32_dpp v9, v9 row_shr:4 row_mask:0xf bank_mask:0xf bound_ctrl:1
	v_cvt_f32_i32_dpp v5, v5 row_bcast:15 row_mask:0xf bank_mask:0xf bound_ctrl:1
	v_cvt_f32_i32_dpp v7, v7 row_shr:2 row_mask:0xf bank_mask:0xf bound_ctrl:1
	v_cvt_f32_i32_dpp v6, v6 row_shr:1 row_mask:0xf bank_mask:0xf bound_ctrl:1
	v_add_f32_e32 v3, v3, v8
	v_add_f32_e32 v0, v0, v5
	v_cvt_i32_f32_e32 v5, v0
	v_add_f32_e32 v4, v4, v9
	v_add_f32_e32 v2, v2, v7
	;; [unrolled: 1-line block ×3, first 2 shown]
	v_mov_b32_dpp v1, v5 row_bcast:31 row_mask:0xf bank_mask:0xf bound_ctrl:1
	v_cvt_i32_f32_e32 v5, v3
	v_cvt_i32_f32_e32 v8, v4
	;; [unrolled: 1-line block ×3, first 2 shown]
	s_waitcnt vmcnt(0)
	v_cvt_i32_f32_e32 v10, v6
	v_cvt_f32_i32_dpp v5, v5 row_shr:2 row_mask:0xf bank_mask:0xf bound_ctrl:1
	v_cvt_f32_i32_dpp v8, v8 row_shr:2 row_mask:0xf bank_mask:0xf bound_ctrl:1
	;; [unrolled: 1-line block ×3, first 2 shown]
	v_cvt_f32_i32_dpp v9, v10 row_bcast:15 row_mask:0xf bank_mask:0xf bound_ctrl:1
	v_add_f32_e32 v3, v3, v5
	v_add_f32_e32 v4, v4, v8
	;; [unrolled: 1-line block ×3, first 2 shown]
	v_cvt_i32_f32_e32 v2, v3
	v_cvt_i32_f32_e32 v5, v4
	;; [unrolled: 1-line block ×3, first 2 shown]
	v_cvt_f32_i32_dpp v10, v2 row_shr:1 row_mask:0xf bank_mask:0xf bound_ctrl:1
	v_cvt_f32_i32_dpp v5, v5 row_shr:1 row_mask:0xf bank_mask:0xf bound_ctrl:1
	v_add_f32_e32 v2, v6, v9
	v_cvt_f32_i32_dpp v6, v8 row_bcast:15 row_mask:0xf bank_mask:0xf bound_ctrl:1
	v_add_f32_e32 v8, v3, v10
	v_add_f32_e32 v5, v4, v5
	v_cvt_i32_f32_e32 v3, v8
	v_cvt_i32_f32_e32 v4, v5
	;; [unrolled: 1-line block ×3, first 2 shown]
	v_cvt_f32_i32_dpp v10, v3 row_bcast:15 row_mask:0xf bank_mask:0xf bound_ctrl:1
	v_add_f32_e32 v3, v7, v6
	v_cvt_f32_i32_dpp v6, v4 row_bcast:15 row_mask:0xf bank_mask:0xf bound_ctrl:1
	v_cvt_i32_f32_e32 v7, v3
	v_add_f32_e32 v4, v8, v10
	v_cvt_i32_f32_e32 v10, v4
	v_add_f32_e32 v5, v5, v6
	v_cvt_i32_f32_e32 v6, v5
	v_mov_b32_dpp v9, v9 row_bcast:31 row_mask:0xf bank_mask:0xf bound_ctrl:1
	v_mov_b32_dpp v8, v7 row_bcast:31 row_mask:0xf bank_mask:0xf bound_ctrl:1
	;; [unrolled: 1-line block ×4, first 2 shown]
	s_and_saveexec_b64 s[4:5], s[0:1]
	s_cbranch_execz .LBB129_13
; %bb.106:                              ;   in Loop: Header=BB129_14 Depth=1
	s_andn2_b64 vcc, exec, s[24:25]
	v_mov_b32_e32 v14, 0
	v_mov_b32_e32 v13, 0
	;; [unrolled: 1-line block ×5, first 2 shown]
	s_cbranch_vccnz .LBB129_108
; %bb.107:                              ;   in Loop: Header=BB129_14 Depth=1
	v_mul_hi_u32 v10, v96, v118
	v_mul_lo_u32 v10, v10, s18
	v_sub_u32_e32 v10, v96, v10
	v_subrev_u32_e32 v11, s18, v10
	v_cmp_le_u32_e32 vcc, s18, v10
	s_nop 1
	v_cndmask_b32_e32 v10, v10, v11, vcc
	v_subrev_u32_e32 v11, s18, v10
	v_cmp_le_u32_e32 vcc, s18, v10
	s_nop 1
	v_cndmask_b32_e32 v100, v10, v11, vcc
	v_add_u32_e32 v10, s40, v100
	v_mov_b32_e32 v11, v101
	v_lshl_add_u64 v[18:19], v[10:11], 1, s[12:13]
	v_add_u32_e32 v10, s41, v100
	v_lshl_add_u64 v[16:17], v[100:101], 1, s[12:13]
	v_lshl_add_u64 v[20:21], v[10:11], 1, s[12:13]
	v_add_u32_e32 v10, s42, v100
	v_add_u32_e32 v100, s43, v100
	v_lshl_add_u64 v[22:23], v[10:11], 1, s[12:13]
	v_lshl_add_u64 v[24:25], v[100:101], 1, s[12:13]
	global_load_ushort v14, v[16:17], off
	global_load_ushort v13, v[18:19], off
	;; [unrolled: 1-line block ×5, first 2 shown]
.LBB129_108:                            ;   in Loop: Header=BB129_14 Depth=1
	v_cmp_ne_u32_e32 vcc, 0, v99
	s_and_b64 exec, exec, vcc
	s_cbranch_execz .LBB129_13
; %bb.109:                              ;   in Loop: Header=BB129_14 Depth=1
	v_cvt_f32_i32_e32 v1, v1
	v_cvt_f32_i32_e32 v6, v6
	;; [unrolled: 1-line block ×3, first 2 shown]
	v_mov_b32_e32 v97, v101
	v_add_f32_e32 v0, v0, v1
	v_cvt_f32_i32_e32 v1, v7
	s_waitcnt vmcnt(4)
	v_cvt_f32_f16_e32 v7, v14
	v_add_f32_e32 v5, v5, v6
	v_add_f32_e32 v2, v2, v9
	;; [unrolled: 1-line block ×4, first 2 shown]
	v_cvt_f16_f32_e32 v6, v0
	s_waitcnt vmcnt(3)
	v_cvt_f32_f16_e32 v7, v13
	v_lshl_add_u64 v[0:1], v[96:97], 1, s[14:15]
	v_cvt_f32_i32_e32 v8, v8
	global_store_short v[0:1], v6, off
	v_add_f32_e32 v0, v2, v7
	v_cvt_f16_f32_e32 v2, v0
	s_waitcnt vmcnt(3)
	v_cvt_f32_f16_e32 v6, v12
	v_add_u32_e32 v100, s11, v96
	v_add_f32_e32 v3, v3, v8
	v_lshl_add_u64 v[0:1], v[100:101], 1, s[14:15]
	global_store_short v[0:1], v2, off
	v_add_f32_e32 v0, v3, v6
	v_cvt_f16_f32_e32 v2, v0
	v_add_u32_e32 v100, s11, v100
	s_waitcnt vmcnt(3)
	v_cvt_f32_f16_e32 v3, v11
	v_lshl_add_u64 v[0:1], v[100:101], 1, s[14:15]
	global_store_short v[0:1], v2, off
	s_waitcnt vmcnt(3)
	v_cvt_f32_f16_e32 v2, v10
	v_add_f32_e32 v0, v4, v3
	v_cvt_f16_f32_e32 v3, v0
	v_add_u32_e32 v100, s11, v100
	v_add_f32_e32 v2, v5, v2
	v_cvt_f16_f32_e32 v2, v2
	v_lshl_add_u64 v[0:1], v[100:101], 1, s[14:15]
	v_add_u32_e32 v100, s11, v100
	global_store_short v[0:1], v3, off
	v_lshl_add_u64 v[0:1], v[100:101], 1, s[14:15]
	global_store_short v[0:1], v2, off
	s_branch .LBB129_13
.LBB129_110:
	s_endpgm
	.section	.rodata,"a",@progbits
	.p2align	6, 0x0
	.amdhsa_kernel _Z12wvSplitK_hf_I6__halfLi32ELi1ELi16ELi8ELi4ELi5EEviiiiiiPKT_S3_S3_PS1_ii
		.amdhsa_group_segment_fixed_size 65536
		.amdhsa_private_segment_fixed_size 0
		.amdhsa_kernarg_size 64
		.amdhsa_user_sgpr_count 2
		.amdhsa_user_sgpr_dispatch_ptr 0
		.amdhsa_user_sgpr_queue_ptr 0
		.amdhsa_user_sgpr_kernarg_segment_ptr 1
		.amdhsa_user_sgpr_dispatch_id 0
		.amdhsa_user_sgpr_kernarg_preload_length 0
		.amdhsa_user_sgpr_kernarg_preload_offset 0
		.amdhsa_user_sgpr_private_segment_size 0
		.amdhsa_uses_dynamic_stack 0
		.amdhsa_enable_private_segment 0
		.amdhsa_system_sgpr_workgroup_id_x 1
		.amdhsa_system_sgpr_workgroup_id_y 0
		.amdhsa_system_sgpr_workgroup_id_z 0
		.amdhsa_system_sgpr_workgroup_info 0
		.amdhsa_system_vgpr_workitem_id 1
		.amdhsa_next_free_vgpr 127
		.amdhsa_next_free_sgpr 47
		.amdhsa_accum_offset 128
		.amdhsa_reserve_vcc 1
		.amdhsa_float_round_mode_32 0
		.amdhsa_float_round_mode_16_64 0
		.amdhsa_float_denorm_mode_32 3
		.amdhsa_float_denorm_mode_16_64 3
		.amdhsa_dx10_clamp 1
		.amdhsa_ieee_mode 1
		.amdhsa_fp16_overflow 0
		.amdhsa_tg_split 0
		.amdhsa_exception_fp_ieee_invalid_op 0
		.amdhsa_exception_fp_denorm_src 0
		.amdhsa_exception_fp_ieee_div_zero 0
		.amdhsa_exception_fp_ieee_overflow 0
		.amdhsa_exception_fp_ieee_underflow 0
		.amdhsa_exception_fp_ieee_inexact 0
		.amdhsa_exception_int_div_zero 0
	.end_amdhsa_kernel
	.section	.text._Z12wvSplitK_hf_I6__halfLi32ELi1ELi16ELi8ELi4ELi5EEviiiiiiPKT_S3_S3_PS1_ii,"axG",@progbits,_Z12wvSplitK_hf_I6__halfLi32ELi1ELi16ELi8ELi4ELi5EEviiiiiiPKT_S3_S3_PS1_ii,comdat
.Lfunc_end129:
	.size	_Z12wvSplitK_hf_I6__halfLi32ELi1ELi16ELi8ELi4ELi5EEviiiiiiPKT_S3_S3_PS1_ii, .Lfunc_end129-_Z12wvSplitK_hf_I6__halfLi32ELi1ELi16ELi8ELi4ELi5EEviiiiiiPKT_S3_S3_PS1_ii
                                        ; -- End function
	.section	.AMDGPU.csdata,"",@progbits
; Kernel info:
; codeLenInByte = 4824
; NumSgprs: 53
; NumVgprs: 127
; NumAgprs: 0
; TotalNumVgprs: 127
; ScratchSize: 0
; MemoryBound: 1
; FloatMode: 240
; IeeeMode: 1
; LDSByteSize: 65536 bytes/workgroup (compile time only)
; SGPRBlocks: 6
; VGPRBlocks: 15
; NumSGPRsForWavesPerEU: 53
; NumVGPRsForWavesPerEU: 127
; AccumOffset: 128
; Occupancy: 2
; WaveLimiterHint : 0
; COMPUTE_PGM_RSRC2:SCRATCH_EN: 0
; COMPUTE_PGM_RSRC2:USER_SGPR: 2
; COMPUTE_PGM_RSRC2:TRAP_HANDLER: 0
; COMPUTE_PGM_RSRC2:TGID_X_EN: 1
; COMPUTE_PGM_RSRC2:TGID_Y_EN: 0
; COMPUTE_PGM_RSRC2:TGID_Z_EN: 0
; COMPUTE_PGM_RSRC2:TIDIG_COMP_CNT: 1
; COMPUTE_PGM_RSRC3_GFX90A:ACCUM_OFFSET: 31
; COMPUTE_PGM_RSRC3_GFX90A:TG_SPLIT: 0
	.section	.text._Z16wvSplitK_hf_big_I6__halfLi32ELi1ELi16ELi8ELi4ELi5EEviiiiiiPKT_S3_S3_PS1_ii,"axG",@progbits,_Z16wvSplitK_hf_big_I6__halfLi32ELi1ELi16ELi8ELi4ELi5EEviiiiiiPKT_S3_S3_PS1_ii,comdat
	.protected	_Z16wvSplitK_hf_big_I6__halfLi32ELi1ELi16ELi8ELi4ELi5EEviiiiiiPKT_S3_S3_PS1_ii ; -- Begin function _Z16wvSplitK_hf_big_I6__halfLi32ELi1ELi16ELi8ELi4ELi5EEviiiiiiPKT_S3_S3_PS1_ii
	.globl	_Z16wvSplitK_hf_big_I6__halfLi32ELi1ELi16ELi8ELi4ELi5EEviiiiiiPKT_S3_S3_PS1_ii
	.p2align	8
	.type	_Z16wvSplitK_hf_big_I6__halfLi32ELi1ELi16ELi8ELi4ELi5EEviiiiiiPKT_S3_S3_PS1_ii,@function
_Z16wvSplitK_hf_big_I6__halfLi32ELi1ELi16ELi8ELi4ELi5EEviiiiiiPKT_S3_S3_PS1_ii: ; @_Z16wvSplitK_hf_big_I6__halfLi32ELi1ELi16ELi8ELi4ELi5EEviiiiiiPKT_S3_S3_PS1_ii
; %bb.0:
	s_load_dwordx2 s[4:5], s[0:1], 0x38
	v_bfe_u32 v1, v0, 10, 10
	s_waitcnt lgkmcnt(0)
	v_cmp_gt_u32_e32 vcc, s4, v1
	s_and_saveexec_b64 s[6:7], vcc
	s_cbranch_execz .LBB130_38
; %bb.1:
	s_load_dwordx4 s[20:23], s[0:1], 0x0
	s_mul_i32 s2, s2, s4
	v_add_u32_e32 v96, s2, v1
	v_add_u32_e32 v2, 1, v96
	v_mov_b32_e32 v101, 1
	s_waitcnt lgkmcnt(0)
	v_cmp_gt_u32_e32 vcc, s23, v96
	v_cmp_le_u32_e64 s[2:3], s23, v2
	s_and_b64 s[6:7], vcc, s[2:3]
	s_and_saveexec_b64 s[2:3], s[6:7]
; %bb.2:
	v_subrev_u32_e32 v2, s23, v96
	v_cmp_eq_u32_e32 vcc, -1, v2
	s_add_i32 s6, s23, -1
	v_mov_b32_e32 v96, s6
	v_cndmask_b32_e64 v101, 0, 1, vcc
; %bb.3:
	s_or_b64 exec, exec, s[2:3]
	s_abs_i32 s2, s4
	v_cvt_f32_u32_e32 v2, s2
	s_sub_i32 s7, 0, s2
	s_abs_i32 s6, s23
	s_ashr_i32 s3, s23, 31
	v_rcp_iflag_f32_e32 v2, v2
	s_nop 0
	v_mul_f32_e32 v2, 0x4f7ffffe, v2
	v_cvt_u32_f32_e32 v2, v2
	s_nop 0
	v_readfirstlane_b32 s8, v2
	s_mul_i32 s7, s7, s8
	s_mul_hi_u32 s7, s8, s7
	s_add_i32 s8, s8, s7
	s_mul_hi_u32 s7, s6, s8
	s_mul_i32 s7, s7, s2
	s_sub_i32 s6, s6, s7
	s_sub_i32 s7, s6, s2
	s_cmp_ge_u32 s6, s2
	s_cselect_b32 s6, s7, s6
	s_sub_i32 s7, s6, s2
	s_cmp_ge_u32 s6, s2
	s_cselect_b32 s2, s7, s6
	s_xor_b32 s2, s2, s3
	s_sub_i32 s2, s2, s3
	s_add_i32 s3, s4, s23
	s_sub_i32 s3, s3, s2
	s_cmp_eq_u32 s2, 0
	s_cselect_b32 s33, s23, s3
	v_cmp_gt_u32_e32 vcc, s33, v96
	s_and_b64 exec, exec, vcc
	s_cbranch_execz .LBB130_38
; %bb.4:
	s_load_dwordx8 s[12:19], s[0:1], 0x10
	s_min_u32 s38, s22, 0x1800
	s_cmp_lg_u32 s20, 0
	s_cselect_b64 s[2:3], -1, 0
	s_cmp_lg_u32 s22, 0
	s_cselect_b64 s[6:7], -1, 0
	s_lshl_b32 s39, s4, 8
	s_add_i32 s40, s20, -8
	s_add_i32 s41, s23, -1
	s_waitcnt lgkmcnt(0)
	s_cmp_lg_u64 s[18:19], 0
	s_cselect_b64 s[26:27], -1, 0
	s_abs_i32 s8, s13
	v_cvt_f32_u32_e32 v2, s12
	v_cvt_f32_u32_e32 v3, s8
	s_mul_i32 s42, s5, s4
	s_sub_i32 s5, s42, s23
	v_rcp_iflag_f32_e32 v2, v2
	v_rcp_iflag_f32_e32 v3, v3
	s_add_i32 s13, s5, 2
	s_sub_i32 s5, 0, s12
	v_mul_f32_e32 v2, 0x4f7ffffe, v2
	v_mul_f32_e32 v3, 0x4f7ffffe, v3
	v_cvt_u32_f32_e32 v2, v2
	v_cvt_u32_f32_e32 v3, v3
	s_load_dwordx2 s[10:11], s[0:1], 0x30
	v_and_b32_e32 v0, 0x3ff, v0
	v_mul_lo_u32 v4, s5, v2
	s_sub_i32 s5, 0, s8
	v_readfirstlane_b32 s9, v3
	s_mul_i32 s5, s5, s9
	s_mul_hi_u32 s5, s9, s5
	s_add_i32 s9, s9, s5
	s_sub_i32 s5, 1, s8
	s_cmp_lt_u32 s8, 2
	s_cselect_b32 s5, s5, 1
	s_sub_i32 s28, s5, s8
	s_cmp_ge_u32 s5, s8
	s_cselect_b32 s43, s28, s5
	s_lshr_b32 s5, s9, 31
	s_mul_i32 s5, s5, s8
	s_sub_i32 s5, 2, s5
	s_sub_i32 s28, s5, s8
	s_cmp_ge_u32 s5, s8
	s_cselect_b32 s5, s28, s5
	s_sub_i32 s28, s5, s8
	s_cmp_ge_u32 s5, s8
	s_cselect_b32 s44, s28, s5
	s_mul_hi_u32 s5, s9, 3
	s_mul_i32 s5, s5, s8
	s_sub_i32 s5, 3, s5
	s_sub_i32 s28, s5, s8
	s_cmp_ge_u32 s5, s8
	s_cselect_b32 s5, s28, s5
	s_sub_i32 s28, s5, s8
	s_cmp_ge_u32 s5, s8
	s_cselect_b32 s45, s28, s5
	s_lshr_b32 s5, s9, 30
	s_mul_i32 s5, s5, s8
	s_sub_i32 s5, 4, s5
	s_sub_i32 s9, s5, s8
	s_cmp_ge_u32 s5, s8
	s_cselect_b32 s5, s9, s5
	v_lshlrev_b32_e32 v106, 3, v0
	v_cmp_eq_u32_e64 s[0:1], 31, v0
	s_sub_i32 s9, s5, s8
	v_lshlrev_b32_e32 v0, 4, v0
	s_cmp_ge_u32 s5, s8
	v_lshl_add_u32 v108, v1, 9, v0
	v_lshl_add_u32 v100, v1, 8, v106
	v_cndmask_b32_e64 v0, 0, 1, s[2:3]
	v_mul_hi_u32 v4, v2, v4
	s_cselect_b32 s46, s9, s5
	s_lshl_b32 s48, s4, 9
	v_mad_u64_u32 v[102:103], s[4:5], s22, 3, v[100:101]
	v_cmp_ne_u32_e64 s[2:3], 1, v0
	v_cndmask_b32_e64 v0, 0, 1, s[6:7]
	s_mov_b64 s[24:25], 0
	v_add_u32_e32 v107, v2, v4
	v_mov_b32_e32 v99, 0
	s_mul_i32 s43, s43, s12
	s_mul_i32 s44, s44, s12
	;; [unrolled: 1-line block ×4, first 2 shown]
	s_lshl_b32 s47, s38, 3
	s_mul_i32 s49, s38, 6
	s_lshl_b32 s50, s38, 2
	s_lshl_b32 s51, s38, 1
	v_lshl_add_u32 v109, s22, 1, v100
	v_lshl_add_u32 v103, s22, 2, v100
	v_add_u32_e32 v110, s22, v100
	v_cmp_ne_u32_e64 s[4:5], 1, v0
	s_branch .LBB130_7
.LBB130_5:                              ;   in Loop: Header=BB130_7 Depth=1
	s_or_b64 exec, exec, s[6:7]
.LBB130_6:                              ;   in Loop: Header=BB130_7 Depth=1
	s_or_b64 exec, exec, s[8:9]
	v_cmp_le_u32_e32 vcc, s33, v0
	s_or_b64 s[24:25], vcc, s[24:25]
	v_mov_b32_e32 v96, v0
	s_andn2_b64 exec, exec, s[24:25]
	s_cbranch_execz .LBB130_38
.LBB130_7:                              ; =>This Loop Header: Depth=1
                                        ;     Child Loop BB130_14 Depth 2
                                        ;       Child Loop BB130_19 Depth 3
	s_mov_b32 s52, 0
	s_and_b64 vcc, exec, s[2:3]
	v_mov_b32_e32 v114, v99
	v_mov_b32_e32 v113, v99
	;; [unrolled: 1-line block ×5, first 2 shown]
	s_cbranch_vccnz .LBB130_28
; %bb.8:                                ;   in Loop: Header=BB130_7 Depth=1
	v_min_u32_e32 v0, s41, v96
	v_mul_lo_u32 v98, v0, s21
	v_cmp_gt_u32_e64 s[6:7], s23, v96
	v_lshl_add_u64 v[104:105], v[98:99], 1, s[14:15]
	v_mov_b32_e32 v97, 0
	v_mov_b32_e32 v111, 0
	;; [unrolled: 1-line block ×5, first 2 shown]
	s_mov_b32 s53, 0
	s_branch .LBB130_14
.LBB130_9:                              ;   in Loop: Header=BB130_14 Depth=2
	s_or_b64 exec, exec, s[36:37]
.LBB130_10:                             ;   in Loop: Header=BB130_14 Depth=2
	s_or_b64 exec, exec, s[34:35]
.LBB130_11:                             ;   in Loop: Header=BB130_14 Depth=2
	s_or_b64 exec, exec, s[30:31]
.LBB130_12:                             ;   in Loop: Header=BB130_14 Depth=2
	s_or_b64 exec, exec, s[28:29]
	s_waitcnt vmcnt(3) lgkmcnt(0)
	;;#ASMSTART
	v_dot2c_f32_f16 v114, v88, v40
	;;#ASMEND
	;;#ASMSTART
	v_dot2c_f32_f16 v113, v84, v40
	;;#ASMEND
	;;#ASMSTART
	v_dot2c_f32_f16 v112, v76, v40
	;;#ASMEND
	;;#ASMSTART
	v_dot2c_f32_f16 v111, v68, v40
	;;#ASMEND
	;;#ASMSTART
	v_dot2c_f32_f16 v97, v60, v40
	;;#ASMEND
	s_nop 0
	;;#ASMSTART
	v_dot2c_f32_f16 v114, v89, v41
	;;#ASMEND
	;;#ASMSTART
	v_dot2c_f32_f16 v113, v85, v41
	;;#ASMEND
	;;#ASMSTART
	v_dot2c_f32_f16 v112, v77, v41
	;;#ASMEND
	;;#ASMSTART
	v_dot2c_f32_f16 v111, v69, v41
	;;#ASMEND
	;;#ASMSTART
	v_dot2c_f32_f16 v97, v61, v41
	;;#ASMEND
	s_nop 0
	;;#ASMSTART
	v_dot2c_f32_f16 v114, v90, v42
	;;#ASMEND
	;;#ASMSTART
	v_dot2c_f32_f16 v113, v86, v42
	;;#ASMEND
	;;#ASMSTART
	v_dot2c_f32_f16 v112, v78, v42
	;;#ASMEND
	;;#ASMSTART
	v_dot2c_f32_f16 v111, v70, v42
	;;#ASMEND
	;;#ASMSTART
	v_dot2c_f32_f16 v97, v62, v42
	;;#ASMEND
	s_nop 0
	;;#ASMSTART
	v_dot2c_f32_f16 v114, v91, v43
	;;#ASMEND
	;;#ASMSTART
	v_dot2c_f32_f16 v113, v87, v43
	;;#ASMEND
	;;#ASMSTART
	v_dot2c_f32_f16 v112, v79, v43
	;;#ASMEND
	;;#ASMSTART
	v_dot2c_f32_f16 v111, v71, v43
	;;#ASMEND
	;;#ASMSTART
	v_dot2c_f32_f16 v97, v63, v43
	;;#ASMEND
	s_waitcnt vmcnt(2)
	;;#ASMSTART
	v_dot2c_f32_f16 v114, v92, v16
	;;#ASMEND
	;;#ASMSTART
	v_dot2c_f32_f16 v113, v80, v16
	;;#ASMEND
	;;#ASMSTART
	v_dot2c_f32_f16 v112, v72, v16
	;;#ASMEND
	;;#ASMSTART
	v_dot2c_f32_f16 v111, v56, v16
	;;#ASMEND
	;;#ASMSTART
	v_dot2c_f32_f16 v97, v52, v16
	;;#ASMEND
	s_nop 0
	;;#ASMSTART
	v_dot2c_f32_f16 v114, v93, v17
	;;#ASMEND
	;;#ASMSTART
	v_dot2c_f32_f16 v113, v81, v17
	;;#ASMEND
	;;#ASMSTART
	v_dot2c_f32_f16 v112, v73, v17
	;;#ASMEND
	;;#ASMSTART
	v_dot2c_f32_f16 v111, v57, v17
	;;#ASMEND
	;;#ASMSTART
	v_dot2c_f32_f16 v97, v53, v17
	;;#ASMEND
	s_nop 0
	;;#ASMSTART
	v_dot2c_f32_f16 v114, v94, v18
	;;#ASMEND
	;;#ASMSTART
	v_dot2c_f32_f16 v113, v82, v18
	;;#ASMEND
	;;#ASMSTART
	v_dot2c_f32_f16 v112, v74, v18
	;;#ASMEND
	;;#ASMSTART
	v_dot2c_f32_f16 v111, v58, v18
	;;#ASMEND
	;;#ASMSTART
	v_dot2c_f32_f16 v97, v54, v18
	;;#ASMEND
	s_nop 0
	;;#ASMSTART
	v_dot2c_f32_f16 v114, v95, v19
	;;#ASMEND
	;;#ASMSTART
	v_dot2c_f32_f16 v113, v83, v19
	;;#ASMEND
	;;#ASMSTART
	v_dot2c_f32_f16 v112, v75, v19
	;;#ASMEND
	;;#ASMSTART
	v_dot2c_f32_f16 v111, v59, v19
	;;#ASMEND
	;;#ASMSTART
	v_dot2c_f32_f16 v97, v55, v19
	;;#ASMEND
	s_waitcnt vmcnt(1)
	;; [unrolled: 64-line block ×3, first 2 shown]
	;;#ASMSTART
	v_dot2c_f32_f16 v114, v28, v0
	;;#ASMEND
	;;#ASMSTART
	v_dot2c_f32_f16 v113, v24, v0
	;;#ASMEND
	;;#ASMSTART
	v_dot2c_f32_f16 v112, v20, v0
	;;#ASMEND
	;;#ASMSTART
	v_dot2c_f32_f16 v111, v12, v0
	;;#ASMEND
	;;#ASMSTART
	v_dot2c_f32_f16 v97, v8, v0
	;;#ASMEND
	s_nop 0
	;;#ASMSTART
	v_dot2c_f32_f16 v114, v29, v1
	;;#ASMEND
	;;#ASMSTART
	v_dot2c_f32_f16 v113, v25, v1
	;;#ASMEND
	;;#ASMSTART
	v_dot2c_f32_f16 v112, v21, v1
	;;#ASMEND
	;;#ASMSTART
	v_dot2c_f32_f16 v111, v13, v1
	;;#ASMEND
	;;#ASMSTART
	v_dot2c_f32_f16 v97, v9, v1
	;;#ASMEND
	s_nop 0
	;; [unrolled: 16-line block ×3, first 2 shown]
	;;#ASMSTART
	v_dot2c_f32_f16 v114, v31, v3
	;;#ASMEND
	;;#ASMSTART
	v_dot2c_f32_f16 v113, v27, v3
	;;#ASMEND
	;; [unrolled: 3-line block ×5, first 2 shown]
.LBB130_13:                             ;   in Loop: Header=BB130_14 Depth=2
	s_or_b64 exec, exec, s[8:9]
	s_addk_i32 s53, 0x400
	s_cmp_ge_u32 s53, s20
	s_cbranch_scc1 .LBB130_28
.LBB130_14:                             ;   Parent Loop BB130_7 Depth=1
                                        ; =>  This Loop Header: Depth=2
                                        ;       Child Loop BB130_19 Depth 3
	s_cmp_eq_u32 s53, 0
	s_cselect_b64 s[8:9], -1, 0
	s_add_i32 s28, s52, s38
	s_cmp_eq_u32 s53, s28
	s_cselect_b64 s[30:31], -1, 0
	s_or_b64 s[30:31], s[8:9], s[30:31]
	s_andn2_b64 vcc, exec, s[30:31]
	s_cbranch_vccz .LBB130_16
; %bb.15:                               ;   in Loop: Header=BB130_14 Depth=2
	s_and_saveexec_b64 s[8:9], s[6:7]
	s_cbranch_execz .LBB130_13
	s_branch .LBB130_23
.LBB130_16:                             ;   in Loop: Header=BB130_14 Depth=2
	s_and_b64 s[8:9], s[8:9], exec
	s_cselect_b32 s52, s52, s28
	s_and_b64 vcc, exec, s[4:5]
	s_waitcnt lgkmcnt(0)
	s_barrier
	s_cbranch_vccnz .LBB130_22
; %bb.17:                               ;   in Loop: Header=BB130_14 Depth=2
	v_add_u32_e32 v0, s52, v109
	v_add_u32_e32 v1, s52, v102
	v_add_u32_e32 v2, s52, v103
	v_add_u32_e32 v3, s52, v110
	v_add_u32_e32 v4, s52, v100
	s_mov_b32 s34, 0
	s_mov_b64 s[28:29], 0
	v_mov_b32_e32 v5, v108
                                        ; implicit-def: $sgpr30_sgpr31
	s_branch .LBB130_19
.LBB130_18:                             ;   in Loop: Header=BB130_19 Depth=3
	s_or_b64 exec, exec, s[8:9]
	s_and_b64 s[8:9], exec, s[30:31]
	s_or_b64 s[28:29], s[8:9], s[28:29]
	s_andn2_b64 exec, exec, s[28:29]
	s_cbranch_execz .LBB130_21
.LBB130_19:                             ;   Parent Loop BB130_7 Depth=1
                                        ;     Parent Loop BB130_14 Depth=2
                                        ; =>    This Inner Loop Header: Depth=3
	v_add_u32_e32 v6, s34, v100
	v_add_u32_e32 v98, s34, v4
	v_cmp_gt_u32_e32 vcc, s22, v98
	v_cmp_gt_u32_e64 s[8:9], s38, v6
	s_and_b64 s[36:37], s[8:9], vcc
	s_or_b64 s[30:31], s[30:31], exec
	s_and_saveexec_b64 s[8:9], s[36:37]
	s_cbranch_execz .LBB130_18
; %bb.20:                               ;   in Loop: Header=BB130_19 Depth=3
	v_lshl_add_u64 v[6:7], v[98:99], 1, s[16:17]
	v_add_u32_e32 v98, s34, v3
	s_waitcnt vmcnt(0)
	v_lshl_add_u64 v[10:11], v[98:99], 1, s[16:17]
	v_add_u32_e32 v98, s34, v0
	v_lshl_add_u64 v[14:15], v[98:99], 1, s[16:17]
	v_add_u32_e32 v98, s34, v1
	v_lshl_add_u64 v[18:19], v[98:99], 1, s[16:17]
	global_load_dwordx4 v[6:9], v[6:7], off
	s_nop 0
	global_load_dwordx4 v[10:13], v[10:11], off
	s_nop 0
	;; [unrolled: 2-line block ×3, first 2 shown]
	global_load_dwordx4 v[18:21], v[18:19], off
	v_add_u32_e32 v98, s34, v2
	v_lshl_add_u64 v[22:23], v[98:99], 1, s[16:17]
	global_load_dwordx4 v[22:25], v[22:23], off
	s_add_i32 s34, s34, s39
	s_cmp_ge_u32 s34, s38
	s_cselect_b64 s[36:37], -1, 0
	s_andn2_b64 s[30:31], s[30:31], exec
	s_and_b64 s[36:37], s[36:37], exec
	v_add_u32_e32 v26, s51, v5
	v_add_u32_e32 v27, s50, v5
	;; [unrolled: 1-line block ×4, first 2 shown]
	s_or_b64 s[30:31], s[30:31], s[36:37]
	s_waitcnt vmcnt(4)
	ds_write_b128 v5, v[6:9]
	v_add_u32_e32 v5, s48, v5
	s_waitcnt vmcnt(3)
	ds_write2_b64 v26, v[10:11], v[12:13] offset1:1
	s_waitcnt vmcnt(2)
	ds_write2_b32 v27, v14, v15 offset1:1
	ds_write2_b32 v27, v16, v17 offset0:2 offset1:3
	s_waitcnt vmcnt(1)
	ds_write2_b64 v28, v[18:19], v[20:21] offset1:1
	s_waitcnt vmcnt(0)
	ds_write2_b64 v29, v[22:23], v[24:25] offset1:1
	s_branch .LBB130_18
.LBB130_21:                             ;   in Loop: Header=BB130_14 Depth=2
	s_or_b64 exec, exec, s[28:29]
.LBB130_22:                             ;   in Loop: Header=BB130_14 Depth=2
	s_waitcnt lgkmcnt(0)
	s_barrier
	s_and_saveexec_b64 s[8:9], s[6:7]
	s_cbranch_execz .LBB130_13
.LBB130_23:                             ;   in Loop: Header=BB130_14 Depth=2
	v_add_u32_e32 v117, s53, v106
	v_min_u32_e32 v98, s40, v117
	v_add_u32_e32 v121, 0x100, v117
	v_lshl_add_u64 v[0:1], v[98:99], 1, v[104:105]
	v_min_u32_e32 v98, s40, v121
	v_add_u32_e32 v116, 0x200, v117
	v_lshl_add_u64 v[2:3], v[98:99], 1, v[104:105]
	;; [unrolled: 3-line block ×3, first 2 shown]
	v_min_u32_e32 v98, s40, v115
	global_load_dwordx4 v[40:43], v[0:1], off nt
	global_load_dwordx4 v[16:19], v[2:3], off nt
	s_waitcnt vmcnt(2)
	v_lshl_add_u64 v[10:11], v[98:99], 1, v[104:105]
	global_load_dwordx4 v[4:7], v[8:9], off nt
	global_load_dwordx4 v[0:3], v[10:11], off nt
	v_cmp_gt_u32_e32 vcc, s20, v117
	v_mov_b32_e32 v88, 0
	v_mov_b32_e32 v89, 0
	;; [unrolled: 1-line block ×80, first 2 shown]
	s_and_saveexec_b64 s[28:29], vcc
	s_cbranch_execz .LBB130_12
; %bb.24:                               ;   in Loop: Header=BB130_14 Depth=2
	v_subrev_u32_e32 v8, s52, v117
	v_lshlrev_b32_e32 v120, 1, v8
	v_add_u32_e32 v119, s51, v120
	v_add_u32_e32 v118, s51, v119
	;; [unrolled: 1-line block ×4, first 2 shown]
	ds_read_b128 v[88:91], v120
	ds_read_b128 v[84:87], v119
	;; [unrolled: 1-line block ×5, first 2 shown]
	v_cmp_gt_u32_e32 vcc, s20, v121
	v_mov_b32_e32 v11, 0
	v_mov_b32_e32 v10, 0
	;; [unrolled: 1-line block ×60, first 2 shown]
	s_and_saveexec_b64 s[30:31], vcc
	s_cbranch_execz .LBB130_11
; %bb.25:                               ;   in Loop: Header=BB130_14 Depth=2
	ds_read_b128 v[92:95], v120 offset:512
	ds_read_b128 v[80:83], v119 offset:512
	;; [unrolled: 1-line block ×4, first 2 shown]
	ds_read2_b64 v[52:55], v98 offset0:64 offset1:65
	v_cmp_gt_u32_e32 vcc, s20, v116
	v_mov_b32_e32 v11, 0
	v_mov_b32_e32 v10, 0
	v_mov_b32_e32 v9, 0
	v_mov_b32_e32 v8, 0
	v_mov_b32_e32 v15, 0
	v_mov_b32_e32 v14, 0
	v_mov_b32_e32 v13, 0
	v_mov_b32_e32 v12, 0
	v_mov_b32_e32 v23, 0
	v_mov_b32_e32 v22, 0
	v_mov_b32_e32 v21, 0
	v_mov_b32_e32 v20, 0
	v_mov_b32_e32 v27, 0
	v_mov_b32_e32 v26, 0
	v_mov_b32_e32 v25, 0
	v_mov_b32_e32 v24, 0
	v_mov_b32_e32 v31, 0
	v_mov_b32_e32 v30, 0
	v_mov_b32_e32 v29, 0
	v_mov_b32_e32 v28, 0
	v_mov_b32_e32 v35, 0
	v_mov_b32_e32 v34, 0
	v_mov_b32_e32 v33, 0
	v_mov_b32_e32 v32, 0
	v_mov_b32_e32 v39, 0
	v_mov_b32_e32 v38, 0
	v_mov_b32_e32 v37, 0
	v_mov_b32_e32 v36, 0
	v_mov_b32_e32 v47, 0
	v_mov_b32_e32 v46, 0
	v_mov_b32_e32 v45, 0
	v_mov_b32_e32 v44, 0
	v_mov_b32_e32 v51, 0
	v_mov_b32_e32 v50, 0
	v_mov_b32_e32 v49, 0
	v_mov_b32_e32 v48, 0
	v_mov_b32_e32 v67, 0
	v_mov_b32_e32 v66, 0
	v_mov_b32_e32 v65, 0
	v_mov_b32_e32 v64, 0
	s_and_saveexec_b64 s[34:35], vcc
	s_cbranch_execz .LBB130_10
; %bb.26:                               ;   in Loop: Header=BB130_14 Depth=2
	ds_read_b128 v[64:67], v120 offset:1024
	ds_read_b128 v[48:51], v119 offset:1024
	;; [unrolled: 1-line block ×4, first 2 shown]
	ds_read2_b64 v[32:35], v98 offset0:128 offset1:129
	v_cmp_gt_u32_e32 vcc, s20, v115
	v_mov_b32_e32 v11, 0
	v_mov_b32_e32 v10, 0
	;; [unrolled: 1-line block ×20, first 2 shown]
	s_and_saveexec_b64 s[36:37], vcc
	s_cbranch_execz .LBB130_9
; %bb.27:                               ;   in Loop: Header=BB130_14 Depth=2
	ds_read_b128 v[28:31], v120 offset:1536
	ds_read_b128 v[24:27], v119 offset:1536
	;; [unrolled: 1-line block ×4, first 2 shown]
	ds_read2_b64 v[8:11], v98 offset0:192 offset1:193
	s_branch .LBB130_9
.LBB130_28:                             ;   in Loop: Header=BB130_7 Depth=1
	v_cmp_le_u32_e32 vcc, s23, v96
                                        ; implicit-def: $vgpr0
	s_and_saveexec_b64 s[6:7], vcc
	s_xor_b64 s[6:7], exec, s[6:7]
; %bb.29:                               ;   in Loop: Header=BB130_7 Depth=1
	v_add_u32_e32 v0, s42, v96
                                        ; implicit-def: $vgpr96
                                        ; implicit-def: $vgpr114
                                        ; implicit-def: $vgpr113
                                        ; implicit-def: $vgpr112
                                        ; implicit-def: $vgpr111
                                        ; implicit-def: $vgpr97
; %bb.30:                               ;   in Loop: Header=BB130_7 Depth=1
	s_andn2_saveexec_b64 s[8:9], s[6:7]
	s_cbranch_execz .LBB130_6
; %bb.31:                               ;   in Loop: Header=BB130_7 Depth=1
	v_cvt_i32_f32_e32 v0, v114
	v_cvt_i32_f32_e32 v1, v113
	;; [unrolled: 1-line block ×4, first 2 shown]
	v_cvt_f32_i32_dpp v0, v0 row_shr:8 row_mask:0xf bank_mask:0xf bound_ctrl:1
	v_cvt_f32_i32_dpp v1, v1 row_shr:8 row_mask:0xf bank_mask:0xf bound_ctrl:1
	;; [unrolled: 1-line block ×3, first 2 shown]
	v_cvt_i32_f32_e32 v4, v97
	v_add_f32_e32 v0, v114, v0
	v_cvt_i32_f32_e32 v5, v0
	v_add_f32_e32 v1, v113, v1
	;; [unrolled: 2-line block ×3, first 2 shown]
	v_cvt_f32_i32_dpp v5, v5 row_shr:4 row_mask:0xf bank_mask:0xf bound_ctrl:1
	v_cvt_i32_f32_e32 v7, v2
	v_cvt_f32_i32_dpp v6, v6 row_shr:4 row_mask:0xf bank_mask:0xf bound_ctrl:1
	v_cvt_f32_i32_dpp v3, v3 row_shr:8 row_mask:0xf bank_mask:0xf bound_ctrl:1
	v_add_f32_e32 v0, v0, v5
	v_cvt_i32_f32_e32 v5, v0
	v_add_f32_e32 v1, v1, v6
	v_cvt_i32_f32_e32 v6, v1
	v_cvt_f32_i32_dpp v4, v4 row_shr:8 row_mask:0xf bank_mask:0xf bound_ctrl:1
	v_cvt_f32_i32_dpp v5, v5 row_shr:2 row_mask:0xf bank_mask:0xf bound_ctrl:1
	;; [unrolled: 1-line block ×4, first 2 shown]
	v_add_f32_e32 v3, v111, v3
	v_add_f32_e32 v0, v0, v5
	v_cvt_i32_f32_e32 v5, v0
	v_add_f32_e32 v4, v97, v4
	v_cvt_i32_f32_e32 v8, v3
	v_cvt_i32_f32_e32 v9, v4
	v_cvt_f32_i32_dpp v5, v5 row_shr:1 row_mask:0xf bank_mask:0xf bound_ctrl:1
	v_add_f32_e32 v2, v2, v7
	v_add_f32_e32 v1, v1, v6
	v_cvt_i32_f32_e32 v7, v2
	v_add_f32_e32 v0, v0, v5
	v_cvt_i32_f32_e32 v5, v0
	v_cvt_i32_f32_e32 v6, v1
	v_cvt_f32_i32_dpp v8, v8 row_shr:4 row_mask:0xf bank_mask:0xf bound_ctrl:1
	v_cvt_f32_i32_dpp v9, v9 row_shr:4 row_mask:0xf bank_mask:0xf bound_ctrl:1
	v_cvt_f32_i32_dpp v5, v5 row_bcast:15 row_mask:0xf bank_mask:0xf bound_ctrl:1
	v_cvt_f32_i32_dpp v7, v7 row_shr:2 row_mask:0xf bank_mask:0xf bound_ctrl:1
	v_cvt_f32_i32_dpp v6, v6 row_shr:1 row_mask:0xf bank_mask:0xf bound_ctrl:1
	v_add_f32_e32 v3, v3, v8
	v_add_f32_e32 v0, v0, v5
	v_cvt_i32_f32_e32 v5, v0
	v_add_f32_e32 v4, v4, v9
	v_add_f32_e32 v2, v2, v7
	;; [unrolled: 1-line block ×3, first 2 shown]
	v_mov_b32_dpp v1, v5 row_bcast:31 row_mask:0xf bank_mask:0xf bound_ctrl:1
	v_cvt_i32_f32_e32 v5, v3
	v_cvt_i32_f32_e32 v8, v4
	;; [unrolled: 1-line block ×3, first 2 shown]
	s_waitcnt vmcnt(0)
	v_cvt_i32_f32_e32 v10, v6
	v_cvt_f32_i32_dpp v5, v5 row_shr:2 row_mask:0xf bank_mask:0xf bound_ctrl:1
	v_cvt_f32_i32_dpp v8, v8 row_shr:2 row_mask:0xf bank_mask:0xf bound_ctrl:1
	;; [unrolled: 1-line block ×3, first 2 shown]
	v_cvt_f32_i32_dpp v9, v10 row_bcast:15 row_mask:0xf bank_mask:0xf bound_ctrl:1
	v_add_f32_e32 v3, v3, v5
	v_add_f32_e32 v4, v4, v8
	;; [unrolled: 1-line block ×3, first 2 shown]
	v_cvt_i32_f32_e32 v2, v3
	v_cvt_i32_f32_e32 v5, v4
	;; [unrolled: 1-line block ×3, first 2 shown]
	v_cvt_f32_i32_dpp v10, v2 row_shr:1 row_mask:0xf bank_mask:0xf bound_ctrl:1
	v_cvt_f32_i32_dpp v5, v5 row_shr:1 row_mask:0xf bank_mask:0xf bound_ctrl:1
	v_add_f32_e32 v2, v6, v9
	v_cvt_f32_i32_dpp v6, v8 row_bcast:15 row_mask:0xf bank_mask:0xf bound_ctrl:1
	v_add_f32_e32 v8, v3, v10
	v_add_f32_e32 v5, v4, v5
	v_cvt_i32_f32_e32 v3, v8
	v_cvt_i32_f32_e32 v4, v5
	;; [unrolled: 1-line block ×3, first 2 shown]
	v_cvt_f32_i32_dpp v10, v3 row_bcast:15 row_mask:0xf bank_mask:0xf bound_ctrl:1
	v_add_f32_e32 v3, v7, v6
	v_cvt_f32_i32_dpp v6, v4 row_bcast:15 row_mask:0xf bank_mask:0xf bound_ctrl:1
	v_cvt_i32_f32_e32 v7, v3
	v_add_f32_e32 v4, v8, v10
	v_cvt_i32_f32_e32 v10, v4
	v_add_f32_e32 v5, v5, v6
	v_cvt_i32_f32_e32 v6, v5
	v_mov_b32_dpp v9, v9 row_bcast:31 row_mask:0xf bank_mask:0xf bound_ctrl:1
	v_mov_b32_dpp v8, v7 row_bcast:31 row_mask:0xf bank_mask:0xf bound_ctrl:1
	;; [unrolled: 1-line block ×4, first 2 shown]
	s_and_saveexec_b64 s[6:7], s[0:1]
	s_cbranch_execz .LBB130_36
; %bb.32:                               ;   in Loop: Header=BB130_7 Depth=1
	s_andn2_b64 vcc, exec, s[26:27]
	v_mov_b32_e32 v14, 0
	v_mov_b32_e32 v13, 0
	;; [unrolled: 1-line block ×5, first 2 shown]
	s_cbranch_vccnz .LBB130_34
; %bb.33:                               ;   in Loop: Header=BB130_7 Depth=1
	v_mul_hi_u32 v10, v96, v107
	v_mul_lo_u32 v10, v10, s12
	v_sub_u32_e32 v10, v96, v10
	v_subrev_u32_e32 v11, s12, v10
	v_cmp_le_u32_e32 vcc, s12, v10
	s_nop 1
	v_cndmask_b32_e32 v10, v10, v11, vcc
	v_subrev_u32_e32 v11, s12, v10
	v_cmp_le_u32_e32 vcc, s12, v10
	s_nop 1
	v_cndmask_b32_e32 v98, v10, v11, vcc
	v_add_u32_e32 v10, s43, v98
	v_mov_b32_e32 v11, v99
	v_lshl_add_u64 v[18:19], v[10:11], 1, s[18:19]
	v_add_u32_e32 v10, s44, v98
	v_lshl_add_u64 v[16:17], v[98:99], 1, s[18:19]
	v_lshl_add_u64 v[20:21], v[10:11], 1, s[18:19]
	v_add_u32_e32 v10, s45, v98
	v_add_u32_e32 v98, s46, v98
	v_lshl_add_u64 v[22:23], v[10:11], 1, s[18:19]
	v_lshl_add_u64 v[24:25], v[98:99], 1, s[18:19]
	global_load_ushort v14, v[16:17], off
	global_load_ushort v13, v[18:19], off
	;; [unrolled: 1-line block ×5, first 2 shown]
.LBB130_34:                             ;   in Loop: Header=BB130_7 Depth=1
	v_cmp_ne_u32_e32 vcc, 0, v101
	s_and_b64 exec, exec, vcc
	s_cbranch_execz .LBB130_36
; %bb.35:                               ;   in Loop: Header=BB130_7 Depth=1
	v_cvt_f32_i32_e32 v1, v1
	v_cvt_f32_i32_e32 v6, v6
	;; [unrolled: 1-line block ×3, first 2 shown]
	v_mov_b32_e32 v97, v99
	v_add_f32_e32 v0, v0, v1
	v_cvt_f32_i32_e32 v1, v7
	s_waitcnt vmcnt(4)
	v_cvt_f32_f16_e32 v7, v14
	v_add_f32_e32 v5, v5, v6
	v_add_f32_e32 v2, v2, v9
	;; [unrolled: 1-line block ×4, first 2 shown]
	v_cvt_f16_f32_e32 v6, v0
	s_waitcnt vmcnt(3)
	v_cvt_f32_f16_e32 v7, v13
	s_waitcnt lgkmcnt(0)
	v_lshl_add_u64 v[0:1], v[96:97], 1, s[10:11]
	v_cvt_f32_i32_e32 v8, v8
	global_store_short v[0:1], v6, off
	v_add_f32_e32 v0, v2, v7
	v_cvt_f16_f32_e32 v2, v0
	s_waitcnt vmcnt(3)
	v_cvt_f32_f16_e32 v6, v12
	v_add_u32_e32 v98, s23, v96
	v_add_f32_e32 v3, v3, v8
	v_lshl_add_u64 v[0:1], v[98:99], 1, s[10:11]
	global_store_short v[0:1], v2, off
	v_add_f32_e32 v0, v3, v6
	v_cvt_f16_f32_e32 v2, v0
	v_add_u32_e32 v98, s23, v98
	s_waitcnt vmcnt(3)
	v_cvt_f32_f16_e32 v3, v11
	v_lshl_add_u64 v[0:1], v[98:99], 1, s[10:11]
	global_store_short v[0:1], v2, off
	s_waitcnt vmcnt(3)
	v_cvt_f32_f16_e32 v2, v10
	v_add_f32_e32 v0, v4, v3
	v_cvt_f16_f32_e32 v3, v0
	v_add_u32_e32 v98, s23, v98
	v_add_f32_e32 v2, v5, v2
	v_cvt_f16_f32_e32 v2, v2
	v_lshl_add_u64 v[0:1], v[98:99], 1, s[10:11]
	v_add_u32_e32 v98, s23, v98
	global_store_short v[0:1], v3, off
	v_lshl_add_u64 v[0:1], v[98:99], 1, s[10:11]
	global_store_short v[0:1], v2, off
.LBB130_36:                             ;   in Loop: Header=BB130_7 Depth=1
	s_or_b64 exec, exec, s[6:7]
	v_add_u32_e32 v0, s42, v96
	v_add_u32_e32 v1, 1, v0
	v_cmp_gt_u32_e32 vcc, s23, v0
	v_cmp_le_u32_e64 s[6:7], s23, v1
	s_and_b64 s[28:29], vcc, s[6:7]
	s_and_saveexec_b64 s[6:7], s[28:29]
	s_cbranch_execz .LBB130_5
; %bb.37:                               ;   in Loop: Header=BB130_7 Depth=1
	v_add_u32_e32 v0, s13, v96
	v_cmp_eq_u32_e32 vcc, 1, v0
	v_mov_b32_e32 v0, s41
	s_nop 0
	v_cndmask_b32_e32 v101, 0, v101, vcc
	s_branch .LBB130_5
.LBB130_38:
	s_endpgm
	.section	.rodata,"a",@progbits
	.p2align	6, 0x0
	.amdhsa_kernel _Z16wvSplitK_hf_big_I6__halfLi32ELi1ELi16ELi8ELi4ELi5EEviiiiiiPKT_S3_S3_PS1_ii
		.amdhsa_group_segment_fixed_size 65536
		.amdhsa_private_segment_fixed_size 0
		.amdhsa_kernarg_size 64
		.amdhsa_user_sgpr_count 2
		.amdhsa_user_sgpr_dispatch_ptr 0
		.amdhsa_user_sgpr_queue_ptr 0
		.amdhsa_user_sgpr_kernarg_segment_ptr 1
		.amdhsa_user_sgpr_dispatch_id 0
		.amdhsa_user_sgpr_kernarg_preload_length 0
		.amdhsa_user_sgpr_kernarg_preload_offset 0
		.amdhsa_user_sgpr_private_segment_size 0
		.amdhsa_uses_dynamic_stack 0
		.amdhsa_enable_private_segment 0
		.amdhsa_system_sgpr_workgroup_id_x 1
		.amdhsa_system_sgpr_workgroup_id_y 0
		.amdhsa_system_sgpr_workgroup_id_z 0
		.amdhsa_system_sgpr_workgroup_info 0
		.amdhsa_system_vgpr_workitem_id 1
		.amdhsa_next_free_vgpr 122
		.amdhsa_next_free_sgpr 54
		.amdhsa_accum_offset 124
		.amdhsa_reserve_vcc 1
		.amdhsa_float_round_mode_32 0
		.amdhsa_float_round_mode_16_64 0
		.amdhsa_float_denorm_mode_32 3
		.amdhsa_float_denorm_mode_16_64 3
		.amdhsa_dx10_clamp 1
		.amdhsa_ieee_mode 1
		.amdhsa_fp16_overflow 0
		.amdhsa_tg_split 0
		.amdhsa_exception_fp_ieee_invalid_op 0
		.amdhsa_exception_fp_denorm_src 0
		.amdhsa_exception_fp_ieee_div_zero 0
		.amdhsa_exception_fp_ieee_overflow 0
		.amdhsa_exception_fp_ieee_underflow 0
		.amdhsa_exception_fp_ieee_inexact 0
		.amdhsa_exception_int_div_zero 0
	.end_amdhsa_kernel
	.section	.text._Z16wvSplitK_hf_big_I6__halfLi32ELi1ELi16ELi8ELi4ELi5EEviiiiiiPKT_S3_S3_PS1_ii,"axG",@progbits,_Z16wvSplitK_hf_big_I6__halfLi32ELi1ELi16ELi8ELi4ELi5EEviiiiiiPKT_S3_S3_PS1_ii,comdat
.Lfunc_end130:
	.size	_Z16wvSplitK_hf_big_I6__halfLi32ELi1ELi16ELi8ELi4ELi5EEviiiiiiPKT_S3_S3_PS1_ii, .Lfunc_end130-_Z16wvSplitK_hf_big_I6__halfLi32ELi1ELi16ELi8ELi4ELi5EEviiiiiiPKT_S3_S3_PS1_ii
                                        ; -- End function
	.section	.AMDGPU.csdata,"",@progbits
; Kernel info:
; codeLenInByte = 4068
; NumSgprs: 60
; NumVgprs: 122
; NumAgprs: 0
; TotalNumVgprs: 122
; ScratchSize: 0
; MemoryBound: 0
; FloatMode: 240
; IeeeMode: 1
; LDSByteSize: 65536 bytes/workgroup (compile time only)
; SGPRBlocks: 7
; VGPRBlocks: 15
; NumSGPRsForWavesPerEU: 60
; NumVGPRsForWavesPerEU: 122
; AccumOffset: 124
; Occupancy: 2
; WaveLimiterHint : 0
; COMPUTE_PGM_RSRC2:SCRATCH_EN: 0
; COMPUTE_PGM_RSRC2:USER_SGPR: 2
; COMPUTE_PGM_RSRC2:TRAP_HANDLER: 0
; COMPUTE_PGM_RSRC2:TGID_X_EN: 1
; COMPUTE_PGM_RSRC2:TGID_Y_EN: 0
; COMPUTE_PGM_RSRC2:TGID_Z_EN: 0
; COMPUTE_PGM_RSRC2:TIDIG_COMP_CNT: 1
; COMPUTE_PGM_RSRC3_GFX90A:ACCUM_OFFSET: 30
; COMPUTE_PGM_RSRC3_GFX90A:TG_SPLIT: 0
	.section	.text._Z16wvSplitK_hf_sml_I6__halfLi32ELi2ELi16ELi8ELi2ELi5EEviiiiiiPKT_S3_S3_PS1_ii,"axG",@progbits,_Z16wvSplitK_hf_sml_I6__halfLi32ELi2ELi16ELi8ELi2ELi5EEviiiiiiPKT_S3_S3_PS1_ii,comdat
	.protected	_Z16wvSplitK_hf_sml_I6__halfLi32ELi2ELi16ELi8ELi2ELi5EEviiiiiiPKT_S3_S3_PS1_ii ; -- Begin function _Z16wvSplitK_hf_sml_I6__halfLi32ELi2ELi16ELi8ELi2ELi5EEviiiiiiPKT_S3_S3_PS1_ii
	.globl	_Z16wvSplitK_hf_sml_I6__halfLi32ELi2ELi16ELi8ELi2ELi5EEviiiiiiPKT_S3_S3_PS1_ii
	.p2align	8
	.type	_Z16wvSplitK_hf_sml_I6__halfLi32ELi2ELi16ELi8ELi2ELi5EEviiiiiiPKT_S3_S3_PS1_ii,@function
_Z16wvSplitK_hf_sml_I6__halfLi32ELi2ELi16ELi8ELi2ELi5EEviiiiiiPKT_S3_S3_PS1_ii: ; @_Z16wvSplitK_hf_sml_I6__halfLi32ELi2ELi16ELi8ELi2ELi5EEviiiiiiPKT_S3_S3_PS1_ii
; %bb.0:
	s_load_dwordx4 s[4:7], s[0:1], 0x0
	v_and_b32_e32 v4, 0x3ff, v0
	v_bfe_u32 v5, v0, 10, 10
	v_lshlrev_b32_e32 v64, 3, v4
	v_lshl_add_u32 v6, v5, 8, v64
	s_waitcnt lgkmcnt(0)
	s_mul_i32 s3, s6, 5
	s_min_u32 s3, s3, 0x8000
	v_cmp_gt_u32_e32 vcc, s3, v6
	s_and_saveexec_b64 s[8:9], vcc
	s_cbranch_execz .LBB131_9
; %bb.1:
	s_load_dwordx2 s[10:11], s[0:1], 0x20
	v_lshlrev_b32_e32 v0, 1, v6
	v_add_u32_e32 v1, 0x1000, v6
	v_cmp_gt_u32_e32 vcc, s3, v1
	s_waitcnt lgkmcnt(0)
	global_load_dwordx4 v[8:11], v0, s[10:11]
	s_waitcnt vmcnt(0)
	ds_write_b128 v0, v[8:11]
	s_and_saveexec_b64 s[12:13], vcc
	s_xor_b64 s[12:13], exec, s[12:13]
	s_cbranch_execz .LBB131_9
; %bb.2:
	v_mov_b32_e32 v1, 0
	v_lshl_add_u64 v[2:3], s[10:11], 0, v[0:1]
	v_add_co_u32_e32 v8, vcc, 0x2000, v2
	v_add_u32_e32 v1, 0x2000, v6
	s_nop 0
	v_addc_co_u32_e32 v9, vcc, 0, v3, vcc
	global_load_dwordx4 v[8:11], v[8:9], off
	v_cmp_gt_u32_e32 vcc, s3, v1
	s_waitcnt vmcnt(0)
	ds_write_b128 v0, v[8:11] offset:8192
	s_and_saveexec_b64 s[10:11], vcc
	s_xor_b64 s[10:11], exec, s[10:11]
	s_cbranch_execz .LBB131_9
; %bb.3:
	v_add_co_u32_e32 v8, vcc, 0x4000, v2
	v_add_u32_e32 v1, 0x3000, v6
	s_nop 0
	v_addc_co_u32_e32 v9, vcc, 0, v3, vcc
	global_load_dwordx4 v[8:11], v[8:9], off
	v_cmp_gt_u32_e32 vcc, s3, v1
	s_waitcnt vmcnt(0)
	ds_write_b128 v0, v[8:11] offset:16384
	s_and_saveexec_b64 s[10:11], vcc
	s_xor_b64 s[10:11], exec, s[10:11]
	s_cbranch_execz .LBB131_9
; %bb.4:
	;; [unrolled: 12-line block ×6, first 2 shown]
	v_add_co_u32_e32 v2, vcc, 0xe000, v2
	s_nop 1
	v_addc_co_u32_e32 v3, vcc, 0, v3, vcc
	global_load_dwordx4 v[6:9], v[2:3], off
	s_waitcnt vmcnt(0)
	ds_write_b128 v0, v[6:9] offset:57344
.LBB131_9:
	s_or_b64 exec, exec, s[8:9]
	s_load_dwordx2 s[16:17], s[0:1], 0x38
	s_waitcnt lgkmcnt(0)
	s_barrier
	v_cmp_gt_u32_e32 vcc, s16, v5
	s_and_saveexec_b64 s[8:9], vcc
	s_cbranch_execz .LBB131_26
; %bb.10:
	s_load_dwordx2 s[12:13], s[0:1], 0x10
	s_mul_i32 s2, s2, s16
	v_add_lshl_u32 v48, s2, v5, 1
	v_cmp_gt_u32_e32 vcc, s7, v48
	s_and_b64 exec, exec, vcc
	s_cbranch_execz .LBB131_26
; %bb.11:
	s_load_dwordx4 s[8:11], s[0:1], 0x28
	s_load_dwordx2 s[14:15], s[0:1], 0x18
	s_cmp_lg_u32 s4, 0
	s_cselect_b64 s[2:3], -1, 0
	s_add_i32 s24, s4, -8
	s_add_i32 s25, s7, -1
	s_waitcnt lgkmcnt(0)
	s_cmp_lg_u64 s[8:9], 0
	s_cselect_b64 s[18:19], -1, 0
	s_abs_i32 s21, s13
	v_cvt_f32_u32_e32 v0, s12
	v_cvt_f32_u32_e32 v1, s21
	s_mul_i32 s20, s16, s17
	s_lshl_b32 s13, s20, 1
	v_rcp_iflag_f32_e32 v0, v0
	v_rcp_iflag_f32_e32 v1, v1
	s_sub_i32 s20, 0, s12
	v_cmp_eq_u32_e64 s[0:1], 31, v4
	v_mul_f32_e32 v0, 0x4f7ffffe, v0
	v_mul_f32_e32 v1, 0x4f7ffffe, v1
	v_cvt_u32_f32_e32 v0, v0
	v_cvt_u32_f32_e32 v1, v1
	s_mov_b64 s[16:17], 0
	v_mov_b32_e32 v51, 0
	v_mul_lo_u32 v2, s20, v0
	s_sub_i32 s20, 0, s21
	v_readfirstlane_b32 s22, v1
	s_mul_i32 s20, s20, s22
	s_mul_hi_u32 s20, s22, s20
	s_add_i32 s22, s22, s20
	s_sub_i32 s20, 1, s21
	s_cmp_lt_u32 s21, 2
	s_cselect_b32 s20, s20, 1
	s_sub_i32 s23, s20, s21
	s_cmp_ge_u32 s20, s21
	s_cselect_b32 s26, s23, s20
	s_lshr_b32 s20, s22, 31
	s_mul_i32 s20, s20, s21
	s_sub_i32 s20, 2, s20
	s_sub_i32 s23, s20, s21
	s_cmp_ge_u32 s20, s21
	s_cselect_b32 s20, s23, s20
	s_sub_i32 s23, s20, s21
	s_cmp_ge_u32 s20, s21
	s_cselect_b32 s27, s23, s20
	s_mul_hi_u32 s20, s22, 3
	s_mul_i32 s20, s20, s21
	s_sub_i32 s20, 3, s20
	s_sub_i32 s23, s20, s21
	s_cmp_ge_u32 s20, s21
	s_cselect_b32 s20, s23, s20
	s_sub_i32 s23, s20, s21
	s_cmp_ge_u32 s20, s21
	s_cselect_b32 s28, s23, s20
	s_lshr_b32 s20, s22, 30
	s_mul_i32 s20, s20, s21
	s_sub_i32 s20, 4, s20
	s_sub_i32 s22, s20, s21
	s_cmp_ge_u32 s20, s21
	s_cselect_b32 s20, s22, s20
	s_sub_i32 s22, s20, s21
	v_mul_hi_u32 v2, v0, v2
	s_cmp_ge_u32 s20, s21
	v_add_u32_e32 v65, v0, v2
	s_cselect_b32 s29, s22, s20
	v_cndmask_b32_e64 v0, 0, 1, s[2:3]
	s_mul_i32 s26, s26, s12
	s_mul_i32 s27, s27, s12
	;; [unrolled: 1-line block ×4, first 2 shown]
	s_lshl_b32 s30, s6, 3
	v_lshlrev_b32_e32 v66, 4, v4
	s_mul_i32 s31, s6, 6
	s_lshl_b32 s33, s6, 2
	s_lshl_b32 s6, s6, 1
	v_cmp_ne_u32_e64 s[2:3], 1, v0
	s_branch .LBB131_14
.LBB131_12:                             ;   in Loop: Header=BB131_14 Depth=1
	v_cvt_f32_i32_e32 v3, v3
	v_cvt_f32_i32_e32 v6, v6
	;; [unrolled: 1-line block ×4, first 2 shown]
	v_add_f32_e32 v1, v1, v3
	v_add_f32_e32 v3, v4, v6
	;; [unrolled: 1-line block ×3, first 2 shown]
	v_cvt_f32_i32_e32 v5, v10
	s_waitcnt vmcnt(8)
	v_cvt_f32_f16_e32 v10, v28
	v_add_f32_e32 v0, v0, v2
	v_cvt_f32_i32_e32 v2, v11
	v_add_f32_e32 v5, v9, v5
	v_cvt_f32_f16_e32 v9, v29
	v_cvt_f32_i32_e32 v11, v16
	v_add_u32_e32 v50, s7, v48
	v_add_f32_e32 v2, v7, v2
	v_add_f32_e32 v0, v0, v9
	v_cvt_f16_f32_e32 v9, v0
	v_add_f32_e32 v0, v1, v10
	v_cvt_f16_f32_e32 v10, v0
	v_add_f32_e32 v11, v12, v11
	s_waitcnt vmcnt(7)
	v_cvt_f32_f16_e32 v12, v27
	v_lshl_add_u64 v[0:1], v[48:49], 1, s[10:11]
	v_pack_b32_f16 v9, v9, v10
	global_store_dword v[0:1], v9, off
	v_add_f32_e32 v0, v3, v12
	v_cvt_f16_f32_e32 v3, v0
	s_waitcnt vmcnt(7)
	v_cvt_f32_f16_e32 v9, v26
	v_lshl_add_u64 v[0:1], v[50:51], 1, s[10:11]
	v_cvt_f32_i32_e32 v6, v19
	global_store_short v[0:1], v3, off
	v_add_f32_e32 v0, v4, v9
	v_cvt_f16_f32_e32 v3, v0
	s_waitcnt vmcnt(7)
	v_cvt_f32_f16_e32 v4, v25
	s_waitcnt vmcnt(6)
	v_cvt_f32_f16_e32 v9, v24
	v_add_u32_e32 v0, 1, v50
	v_mov_b32_e32 v1, v51
	v_lshl_add_u64 v[0:1], v[0:1], 1, s[10:11]
	global_store_short v[0:1], v3, off
	v_add_f32_e32 v0, v2, v4
	v_cvt_f16_f32_e32 v2, v0
	v_add_f32_e32 v0, v5, v9
	v_cvt_f16_f32_e32 v3, v0
	s_waitcnt vmcnt(6)
	v_cvt_f32_f16_e32 v4, v23
	v_add_u32_e32 v50, s7, v50
	v_add_f32_e32 v6, v13, v6
	v_lshl_add_u64 v[0:1], v[50:51], 1, s[10:11]
	v_pack_b32_f16 v2, v2, v3
	v_cvt_f32_i32_e32 v7, v18
	global_store_dword v[0:1], v2, off
	v_add_f32_e32 v0, v6, v4
	v_cvt_f16_f32_e32 v2, v0
	s_waitcnt vmcnt(6)
	v_cvt_f32_f16_e32 v3, v21
	v_add_u32_e32 v50, s7, v50
	v_cvt_f32_i32_e32 v8, v17
	v_add_f32_e32 v7, v15, v7
	v_lshl_add_u64 v[0:1], v[50:51], 1, s[10:11]
	global_store_short v[0:1], v2, off
	v_add_f32_e32 v0, v7, v3
	s_waitcnt vmcnt(6)
	v_cvt_f32_f16_e32 v3, v22
	s_waitcnt vmcnt(5)
	v_cvt_f32_f16_e32 v4, v20
	v_add_f32_e32 v8, v14, v8
	v_cvt_f16_f32_e32 v2, v0
	v_add_f32_e32 v3, v8, v3
	v_add_f32_e32 v4, v11, v4
	v_cvt_f16_f32_e32 v3, v3
	v_cvt_f16_f32_e32 v4, v4
	v_add_u32_e32 v0, 1, v50
	v_mov_b32_e32 v1, v51
	v_lshl_add_u64 v[0:1], v[0:1], 1, s[10:11]
	v_add_u32_e32 v50, s7, v50
	global_store_short v[0:1], v2, off
	v_lshl_add_u64 v[0:1], v[50:51], 1, s[10:11]
	v_pack_b32_f16 v2, v3, v4
	global_store_dword v[0:1], v2, off
.LBB131_13:                             ;   in Loop: Header=BB131_14 Depth=1
	s_or_b64 exec, exec, s[20:21]
	v_add_u32_e32 v48, s13, v48
	v_cmp_le_u32_e32 vcc, s7, v48
	s_or_b64 s[16:17], vcc, s[16:17]
	s_andn2_b64 exec, exec, s[16:17]
	s_cbranch_execz .LBB131_26
.LBB131_14:                             ; =>This Loop Header: Depth=1
                                        ;     Child Loop BB131_18 Depth 2
	s_mov_b32 s34, 0
	s_and_b64 vcc, exec, s[2:3]
	v_mov_b32_e32 v75, v51
	v_mov_b32_e32 v74, v51
	;; [unrolled: 1-line block ×10, first 2 shown]
	s_cbranch_vccnz .LBB131_21
; %bb.15:                               ;   in Loop: Header=BB131_14 Depth=1
	v_min_u32_e32 v0, s25, v48
	v_mul_lo_u32 v50, v0, s5
	v_or_b32_e32 v0, 1, v48
	v_min_u32_e32 v0, s25, v0
	v_mul_lo_u32 v0, v0, s5
	v_mov_b32_e32 v1, v51
	v_mov_b32_e32 v71, 0
	v_lshlrev_b64 v[52:53], 1, v[50:51]
	v_lshlrev_b64 v[54:55], 1, v[0:1]
	v_mov_b32_e32 v76, v66
	v_mov_b32_e32 v70, 0
	;; [unrolled: 1-line block ×10, first 2 shown]
	s_branch .LBB131_18
.LBB131_16:                             ;   in Loop: Header=BB131_18 Depth=2
	s_or_b64 exec, exec, s[22:23]
.LBB131_17:                             ;   in Loop: Header=BB131_18 Depth=2
	s_or_b64 exec, exec, s[20:21]
	s_waitcnt vmcnt(3) lgkmcnt(1)
	;;#ASMSTART
	v_dot2c_f32_f16 v75, v44, v20
	;;#ASMEND
	s_waitcnt vmcnt(2)
	;;#ASMSTART
	v_dot2c_f32_f16 v74, v44, v16
	;;#ASMEND
	;;#ASMSTART
	v_dot2c_f32_f16 v73, v40, v20
	;;#ASMEND
	;; [unrolled: 3-line block ×7, first 2 shown]
	s_waitcnt lgkmcnt(0)
	;;#ASMSTART
	v_dot2c_f32_f16 v67, v28, v20
	;;#ASMEND
	;;#ASMSTART
	v_dot2c_f32_f16 v49, v28, v16
	;;#ASMEND
	;;#ASMSTART
	v_dot2c_f32_f16 v75, v45, v21
	;;#ASMEND
	;;#ASMSTART
	v_dot2c_f32_f16 v74, v45, v17
	;;#ASMEND
	;;#ASMSTART
	v_dot2c_f32_f16 v73, v41, v21
	;;#ASMEND
	;;#ASMSTART
	v_dot2c_f32_f16 v72, v41, v17
	;;#ASMEND
	;;#ASMSTART
	v_dot2c_f32_f16 v71, v61, v21
	;;#ASMEND
	;;#ASMSTART
	v_dot2c_f32_f16 v70, v61, v17
	;;#ASMEND
	;;#ASMSTART
	v_dot2c_f32_f16 v69, v37, v21
	;;#ASMEND
	;;#ASMSTART
	v_dot2c_f32_f16 v68, v37, v17
	;;#ASMEND
	s_nop 0
	;;#ASMSTART
	v_dot2c_f32_f16 v67, v29, v21
	;;#ASMEND
	;;#ASMSTART
	v_dot2c_f32_f16 v49, v29, v17
	;;#ASMEND
	;;#ASMSTART
	v_dot2c_f32_f16 v75, v46, v22
	;;#ASMEND
	;;#ASMSTART
	v_dot2c_f32_f16 v74, v46, v18
	;;#ASMEND
	;;#ASMSTART
	v_dot2c_f32_f16 v73, v42, v22
	;;#ASMEND
	;;#ASMSTART
	v_dot2c_f32_f16 v72, v42, v18
	;;#ASMEND
	;;#ASMSTART
	v_dot2c_f32_f16 v71, v62, v22
	;;#ASMEND
	;;#ASMSTART
	v_dot2c_f32_f16 v70, v62, v18
	;;#ASMEND
	;;#ASMSTART
	v_dot2c_f32_f16 v69, v38, v22
	;;#ASMEND
	;;#ASMSTART
	v_dot2c_f32_f16 v68, v38, v18
	;;#ASMEND
	s_nop 0
	;; [unrolled: 31-line block ×3, first 2 shown]
	;;#ASMSTART
	v_dot2c_f32_f16 v67, v31, v23
	;;#ASMEND
	;;#ASMSTART
	v_dot2c_f32_f16 v49, v31, v19
	;;#ASMEND
	s_waitcnt vmcnt(1)
	;;#ASMSTART
	v_dot2c_f32_f16 v75, v32, v4
	;;#ASMEND
	s_waitcnt vmcnt(0)
	;;#ASMSTART
	v_dot2c_f32_f16 v74, v32, v0
	;;#ASMEND
	;;#ASMSTART
	v_dot2c_f32_f16 v73, v24, v4
	;;#ASMEND
	;; [unrolled: 3-line block ×10, first 2 shown]
	s_nop 0
	;;#ASMSTART
	v_dot2c_f32_f16 v74, v33, v1
	;;#ASMEND
	;;#ASMSTART
	v_dot2c_f32_f16 v73, v25, v5
	;;#ASMEND
	;; [unrolled: 3-line block ×9, first 2 shown]
	s_addk_i32 s34, 0x200
	;;#ASMSTART
	v_dot2c_f32_f16 v75, v34, v6
	;;#ASMEND
	;;#ASMSTART
	v_dot2c_f32_f16 v74, v34, v2
	;;#ASMEND
	;; [unrolled: 3-line block ×10, first 2 shown]
	s_cmp_ge_u32 s34, s4
	v_add_u32_e32 v76, 0x400, v76
	;;#ASMSTART
	v_dot2c_f32_f16 v75, v35, v7
	;;#ASMEND
	;;#ASMSTART
	v_dot2c_f32_f16 v74, v35, v3
	;;#ASMEND
	;; [unrolled: 3-line block ×10, first 2 shown]
	s_cbranch_scc1 .LBB131_21
.LBB131_18:                             ;   Parent Loop BB131_14 Depth=1
                                        ; =>  This Inner Loop Header: Depth=2
	v_add_u32_e32 v12, s34, v64
	v_min_u32_e32 v50, s24, v12
	v_lshl_add_u64 v[0:1], v[50:51], 1, s[14:15]
	v_add_u32_e32 v77, 0x100, v12
	v_lshl_add_u64 v[2:3], v[0:1], 0, v[52:53]
	v_lshl_add_u64 v[0:1], v[0:1], 0, v[54:55]
	v_min_u32_e32 v50, s24, v77
	global_load_dwordx4 v[20:23], v[2:3], off nt
	global_load_dwordx4 v[16:19], v[0:1], off nt
	v_lshl_add_u64 v[0:1], v[50:51], 1, s[14:15]
	v_lshl_add_u64 v[8:9], v[0:1], 0, v[52:53]
	v_lshl_add_u64 v[10:11], v[0:1], 0, v[54:55]
	global_load_dwordx4 v[4:7], v[8:9], off nt
	global_load_dwordx4 v[0:3], v[10:11], off nt
	v_cmp_gt_u32_e32 vcc, s4, v12
	v_mov_b32_e32 v44, 0
	v_mov_b32_e32 v45, 0
	;; [unrolled: 1-line block ×40, first 2 shown]
	s_and_saveexec_b64 s[20:21], vcc
	s_cbranch_execz .LBB131_17
; %bb.19:                               ;   in Loop: Header=BB131_18 Depth=2
	v_add_u32_e32 v80, s6, v76
	v_add_u32_e32 v50, s33, v76
	ds_read_b128 v[40:43], v80
	ds_read2_b32 v[60:61], v50 offset1:1
	v_add_u32_e32 v79, s31, v76
	ds_read2_b32 v[62:63], v50 offset0:2 offset1:3
	ds_read_b128 v[36:39], v79
	v_add_u32_e32 v78, s30, v76
	ds_read_b128 v[44:47], v76
	ds_read2_b64 v[28:31], v78 offset1:1
	v_cmp_gt_u32_e32 vcc, s4, v77
	v_mov_b32_e32 v11, 0
	v_mov_b32_e32 v10, 0
	v_mov_b32_e32 v9, 0
	v_mov_b32_e32 v8, 0
	v_mov_b32_e32 v15, 0
	v_mov_b32_e32 v14, 0
	v_mov_b32_e32 v13, 0
	v_mov_b32_e32 v12, 0
	v_mov_b32_e32 v57, 0
	v_mov_b32_e32 v56, 0
	v_mov_b32_e32 v59, 0
	v_mov_b32_e32 v58, 0
	v_mov_b32_e32 v27, 0
	v_mov_b32_e32 v26, 0
	v_mov_b32_e32 v25, 0
	v_mov_b32_e32 v24, 0
	v_mov_b32_e32 v35, 0
	v_mov_b32_e32 v34, 0
	v_mov_b32_e32 v33, 0
	v_mov_b32_e32 v32, 0
	s_and_saveexec_b64 s[22:23], vcc
	s_cbranch_execz .LBB131_16
; %bb.20:                               ;   in Loop: Header=BB131_18 Depth=2
	ds_read_b128 v[24:27], v80 offset:512
	ds_read2_b32 v[58:59], v50 offset0:128 offset1:129
	ds_read2_b32 v[56:57], v50 offset0:130 offset1:131
	ds_read_b128 v[12:15], v79 offset:512
	ds_read_b128 v[32:35], v76 offset:512
	ds_read2_b64 v[8:11], v78 offset0:64 offset1:65
	s_branch .LBB131_16
.LBB131_21:                             ;   in Loop: Header=BB131_14 Depth=1
	; sched_barrier mask(0x00000000)
	v_cvt_i32_f32_e32 v0, v75
	v_cvt_i32_f32_e32 v1, v74
	;; [unrolled: 1-line block ×4, first 2 shown]
	v_cvt_f32_i32_dpp v0, v0 row_shr:8 row_mask:0xf bank_mask:0xf bound_ctrl:1
	v_cvt_f32_i32_dpp v1, v1 row_shr:8 row_mask:0xf bank_mask:0xf bound_ctrl:1
	;; [unrolled: 1-line block ×4, first 2 shown]
	v_add_f32_e32 v0, v75, v0
	v_cvt_i32_f32_e32 v4, v0
	v_add_f32_e32 v1, v74, v1
	v_cvt_i32_f32_e32 v5, v1
	v_add_f32_e32 v2, v73, v2
	v_cvt_f32_i32_dpp v4, v4 row_shr:4 row_mask:0xf bank_mask:0xf bound_ctrl:1
	v_cvt_i32_f32_e32 v6, v2
	v_cvt_f32_i32_dpp v5, v5 row_shr:4 row_mask:0xf bank_mask:0xf bound_ctrl:1
	v_add_f32_e32 v3, v72, v3
	v_add_f32_e32 v0, v0, v4
	v_cvt_i32_f32_e32 v4, v0
	v_add_f32_e32 v1, v1, v5
	v_cvt_i32_f32_e32 v5, v1
	v_cvt_f32_i32_dpp v6, v6 row_shr:4 row_mask:0xf bank_mask:0xf bound_ctrl:1
	v_cvt_f32_i32_dpp v4, v4 row_shr:2 row_mask:0xf bank_mask:0xf bound_ctrl:1
	v_cvt_i32_f32_e32 v7, v3
	v_cvt_f32_i32_dpp v5, v5 row_shr:2 row_mask:0xf bank_mask:0xf bound_ctrl:1
	v_add_f32_e32 v2, v2, v6
	v_add_f32_e32 v0, v0, v4
	v_cvt_i32_f32_e32 v4, v0
	v_cvt_i32_f32_e32 v6, v2
	v_add_f32_e32 v1, v1, v5
	v_cvt_i32_f32_e32 v5, v1
	v_cvt_f32_i32_dpp v4, v4 row_shr:1 row_mask:0xf bank_mask:0xf bound_ctrl:1
	v_cvt_f32_i32_dpp v6, v6 row_shr:2 row_mask:0xf bank_mask:0xf bound_ctrl:1
	;; [unrolled: 1-line block ×4, first 2 shown]
	v_add_f32_e32 v0, v0, v4
	v_cvt_i32_f32_e32 v4, v0
	v_add_f32_e32 v2, v2, v6
	v_cvt_i32_f32_e32 v6, v2
	v_add_f32_e32 v1, v1, v5
	v_cvt_f32_i32_dpp v4, v4 row_bcast:15 row_mask:0xf bank_mask:0xf bound_ctrl:1
	v_cvt_i32_f32_e32 v5, v1
	v_cvt_f32_i32_dpp v6, v6 row_shr:1 row_mask:0xf bank_mask:0xf bound_ctrl:1
	v_add_f32_e32 v7, v3, v7
	v_add_f32_e32 v0, v0, v4
	v_cvt_i32_f32_e32 v4, v0
	v_cvt_f32_i32_dpp v5, v5 row_bcast:15 row_mask:0xf bank_mask:0xf bound_ctrl:1
	v_add_f32_e32 v6, v2, v6
	v_cvt_i32_f32_e32 v8, v7
	v_mov_b32_dpp v2, v4 row_bcast:31 row_mask:0xf bank_mask:0xf bound_ctrl:1
	v_cvt_i32_f32_e32 v4, v71
	v_add_f32_e32 v1, v1, v5
	v_cvt_i32_f32_e32 v5, v1
	v_cvt_i32_f32_e32 v9, v6
	v_cvt_f32_i32_dpp v4, v4 row_shr:8 row_mask:0xf bank_mask:0xf bound_ctrl:1
	v_mov_b32_dpp v3, v5 row_bcast:31 row_mask:0xf bank_mask:0xf bound_ctrl:1
	v_cvt_f32_i32_dpp v5, v8 row_shr:2 row_mask:0xf bank_mask:0xf bound_ctrl:1
	v_cvt_f32_i32_dpp v8, v9 row_bcast:15 row_mask:0xf bank_mask:0xf bound_ctrl:1
	v_add_f32_e32 v9, v71, v4
	v_cvt_i32_f32_e32 v4, v9
	v_add_f32_e32 v5, v7, v5
	v_cvt_i32_f32_e32 v7, v70
	v_cvt_i32_f32_e32 v10, v5
	v_cvt_f32_i32_dpp v11, v4 row_shr:4 row_mask:0xf bank_mask:0xf bound_ctrl:1
	v_add_f32_e32 v4, v6, v8
	v_cvt_f32_i32_dpp v6, v7 row_shr:8 row_mask:0xf bank_mask:0xf bound_ctrl:1
	v_cvt_f32_i32_dpp v7, v10 row_shr:1 row_mask:0xf bank_mask:0xf bound_ctrl:1
	v_add_f32_e32 v8, v9, v11
	v_cvt_i32_f32_e32 v9, v8
	v_add_f32_e32 v6, v70, v6
	v_cvt_i32_f32_e32 v10, v6
	v_add_f32_e32 v5, v5, v7
	v_cvt_f32_i32_dpp v9, v9 row_shr:2 row_mask:0xf bank_mask:0xf bound_ctrl:1
	v_cvt_i32_f32_e32 v11, v4
	v_cvt_f32_i32_dpp v7, v10 row_shr:4 row_mask:0xf bank_mask:0xf bound_ctrl:1
	v_cvt_i32_f32_e32 v10, v5
	v_add_f32_e32 v8, v8, v9
	v_cvt_i32_f32_e32 v9, v8
	v_add_f32_e32 v7, v6, v7
	v_cvt_i32_f32_e32 v12, v7
	v_mov_b32_dpp v6, v11 row_bcast:31 row_mask:0xf bank_mask:0xf bound_ctrl:1
	v_cvt_f32_i32_dpp v9, v9 row_shr:1 row_mask:0xf bank_mask:0xf bound_ctrl:1
	v_cvt_f32_i32_dpp v10, v10 row_bcast:15 row_mask:0xf bank_mask:0xf bound_ctrl:1
	v_cvt_f32_i32_dpp v11, v12 row_shr:2 row_mask:0xf bank_mask:0xf bound_ctrl:1
	v_add_f32_e32 v9, v8, v9
	v_cvt_i32_f32_e32 v8, v69
	v_add_f32_e32 v7, v7, v11
	v_add_f32_e32 v5, v5, v10
	v_cvt_i32_f32_e32 v10, v7
	v_cvt_f32_i32_dpp v8, v8 row_shr:8 row_mask:0xf bank_mask:0xf bound_ctrl:1
	v_cvt_i32_f32_e32 v11, v9
	v_cvt_i32_f32_e32 v12, v5
	v_cvt_f32_i32_dpp v10, v10 row_shr:1 row_mask:0xf bank_mask:0xf bound_ctrl:1
	v_add_f32_e32 v13, v69, v8
	v_cvt_i32_f32_e32 v14, v13
	v_cvt_f32_i32_dpp v11, v11 row_bcast:15 row_mask:0xf bank_mask:0xf bound_ctrl:1
	v_add_f32_e32 v10, v7, v10
	v_mov_b32_dpp v8, v12 row_bcast:31 row_mask:0xf bank_mask:0xf bound_ctrl:1
	v_cvt_f32_i32_dpp v12, v14 row_shr:4 row_mask:0xf bank_mask:0xf bound_ctrl:1
	v_cvt_i32_f32_e32 v15, v10
	v_add_f32_e32 v7, v9, v11
	v_cvt_i32_f32_e32 v11, v68
	v_add_f32_e32 v12, v13, v12
	v_cvt_f32_i32_dpp v9, v15 row_bcast:15 row_mask:0xf bank_mask:0xf bound_ctrl:1
	v_cvt_i32_f32_e32 v13, v12
	v_cvt_f32_i32_dpp v11, v11 row_shr:8 row_mask:0xf bank_mask:0xf bound_ctrl:1
	v_cvt_i32_f32_e32 v14, v7
	v_add_f32_e32 v9, v10, v9
	v_cvt_f32_i32_dpp v10, v13 row_shr:2 row_mask:0xf bank_mask:0xf bound_ctrl:1
	v_add_f32_e32 v15, v68, v11
	v_cvt_i32_f32_e32 v16, v15
	v_cvt_i32_f32_e32 v13, v9
	v_add_f32_e32 v12, v12, v10
	v_cvt_i32_f32_e32 v17, v12
	v_mov_b32_dpp v11, v14 row_bcast:31 row_mask:0xf bank_mask:0xf bound_ctrl:1
	v_cvt_f32_i32_dpp v14, v16 row_shr:4 row_mask:0xf bank_mask:0xf bound_ctrl:1
	v_mov_b32_dpp v10, v13 row_bcast:31 row_mask:0xf bank_mask:0xf bound_ctrl:1
	v_cvt_f32_i32_dpp v13, v17 row_shr:1 row_mask:0xf bank_mask:0xf bound_ctrl:1
	v_cvt_i32_f32_e32 v16, v67
	v_add_f32_e32 v14, v15, v14
	v_cvt_i32_f32_e32 v15, v49
	v_add_f32_e32 v12, v12, v13
	v_cvt_f32_i32_dpp v16, v16 row_shr:8 row_mask:0xf bank_mask:0xf bound_ctrl:1
	v_cvt_i32_f32_e32 v17, v14
	v_cvt_f32_i32_dpp v13, v15 row_shr:8 row_mask:0xf bank_mask:0xf bound_ctrl:1
	v_cvt_i32_f32_e32 v19, v12
	v_add_f32_e32 v16, v67, v16
	v_cvt_f32_i32_dpp v15, v17 row_shr:2 row_mask:0xf bank_mask:0xf bound_ctrl:1
	v_add_f32_e32 v13, v49, v13
	v_cvt_i32_f32_e32 v17, v16
	v_cvt_i32_f32_e32 v18, v13
	v_add_f32_e32 v14, v14, v15
	v_cvt_f32_i32_dpp v19, v19 row_bcast:15 row_mask:0xf bank_mask:0xf bound_ctrl:1
	v_cvt_f32_i32_dpp v17, v17 row_shr:4 row_mask:0xf bank_mask:0xf bound_ctrl:1
	v_cvt_f32_i32_dpp v15, v18 row_shr:4 row_mask:0xf bank_mask:0xf bound_ctrl:1
	v_cvt_i32_f32_e32 v18, v14
	v_add_f32_e32 v16, v16, v17
	v_add_f32_e32 v13, v13, v15
	v_cvt_i32_f32_e32 v17, v16
	v_cvt_i32_f32_e32 v15, v13
	v_cvt_f32_i32_dpp v18, v18 row_shr:1 row_mask:0xf bank_mask:0xf bound_ctrl:1
	v_cvt_f32_i32_dpp v17, v17 row_shr:2 row_mask:0xf bank_mask:0xf bound_ctrl:1
	;; [unrolled: 1-line block ×3, first 2 shown]
	v_add_f32_e32 v14, v14, v18
	v_cvt_i32_f32_e32 v20, v14
	v_add_f32_e32 v16, v16, v17
	v_add_f32_e32 v15, v13, v15
	v_cvt_i32_f32_e32 v17, v16
	v_cvt_i32_f32_e32 v18, v15
	v_add_f32_e32 v13, v12, v19
	v_cvt_f32_i32_dpp v17, v17 row_shr:1 row_mask:0xf bank_mask:0xf bound_ctrl:1
	v_cvt_f32_i32_dpp v12, v18 row_shr:1 row_mask:0xf bank_mask:0xf bound_ctrl:1
	v_cvt_f32_i32_dpp v18, v20 row_bcast:15 row_mask:0xf bank_mask:0xf bound_ctrl:1
	v_cvt_i32_f32_e32 v20, v13
	v_add_f32_e32 v16, v16, v17
	v_add_f32_e32 v12, v15, v12
	v_cvt_i32_f32_e32 v17, v16
	v_cvt_i32_f32_e32 v19, v12
	v_add_f32_e32 v15, v14, v18
	v_cvt_i32_f32_e32 v21, v15
	v_cvt_f32_i32_dpp v17, v17 row_bcast:15 row_mask:0xf bank_mask:0xf bound_ctrl:1
	v_cvt_f32_i32_dpp v18, v19 row_bcast:15 row_mask:0xf bank_mask:0xf bound_ctrl:1
	v_mov_b32_dpp v19, v20 row_bcast:31 row_mask:0xf bank_mask:0xf bound_ctrl:1
	v_add_f32_e32 v14, v16, v17
	v_add_f32_e32 v12, v12, v18
	v_cvt_i32_f32_e32 v16, v14
	v_cvt_i32_f32_e32 v22, v12
	v_mov_b32_dpp v18, v21 row_bcast:31 row_mask:0xf bank_mask:0xf bound_ctrl:1
	v_mov_b32_dpp v17, v16 row_bcast:31 row_mask:0xf bank_mask:0xf bound_ctrl:1
	;; [unrolled: 1-line block ×3, first 2 shown]
	s_and_saveexec_b64 s[20:21], s[0:1]
	s_cbranch_execz .LBB131_13
; %bb.22:                               ;   in Loop: Header=BB131_14 Depth=1
	s_and_b64 vcc, exec, s[18:19]
	s_cbranch_vccz .LBB131_24
; %bb.23:                               ;   in Loop: Header=BB131_14 Depth=1
	v_mul_hi_u32 v20, v48, v65
	v_mul_lo_u32 v20, v20, s12
	v_sub_u32_e32 v20, v48, v20
	v_subrev_u32_e32 v21, s12, v20
	v_cmp_le_u32_e32 vcc, s12, v20
	v_mov_b32_e32 v23, v51
	v_mov_b32_e32 v49, v51
	v_cndmask_b32_e32 v20, v20, v21, vcc
	v_subrev_u32_e32 v21, s12, v20
	v_cmp_le_u32_e32 vcc, s12, v20
	s_nop 1
	v_cndmask_b32_e32 v50, v20, v21, vcc
	v_or_b32_e32 v20, 1, v48
	v_mul_hi_u32 v21, v20, v65
	v_mul_lo_u32 v21, v21, s12
	v_sub_u32_e32 v20, v20, v21
	v_subrev_u32_e32 v21, s12, v20
	v_cmp_le_u32_e32 vcc, s12, v20
	v_add_u32_e32 v22, s26, v50
	v_lshl_add_u64 v[34:35], v[22:23], 1, s[8:9]
	v_cndmask_b32_e32 v20, v20, v21, vcc
	v_subrev_u32_e32 v21, s12, v20
	v_cmp_le_u32_e32 vcc, s12, v20
	v_lshl_add_u64 v[30:31], v[50:51], 1, s[8:9]
	s_nop 0
	v_cndmask_b32_e32 v20, v20, v21, vcc
	v_add_u32_e32 v22, s26, v20
	v_lshl_add_u64 v[36:37], v[22:23], 1, s[8:9]
	v_add_u32_e32 v22, s27, v50
	v_lshl_add_u64 v[38:39], v[22:23], 1, s[8:9]
	;; [unrolled: 2-line block ×3, first 2 shown]
	v_add_u32_e32 v22, s28, v50
	v_mov_b32_e32 v21, v51
	v_lshl_add_u64 v[42:43], v[22:23], 1, s[8:9]
	v_add_u32_e32 v22, s28, v20
	v_lshl_add_u64 v[32:33], v[20:21], 1, s[8:9]
	v_lshl_add_u64 v[44:45], v[22:23], 1, s[8:9]
	global_load_ushort v29, v[30:31], off
	global_load_ushort v28, v[32:33], off
	;; [unrolled: 1-line block ×8, first 2 shown]
	v_add_u32_e32 v50, s29, v50
	v_lshl_add_u64 v[30:31], v[50:51], 1, s[8:9]
	v_add_u32_e32 v50, s29, v20
	v_lshl_add_u64 v[32:33], v[50:51], 1, s[8:9]
	global_load_ushort v22, v[30:31], off
	global_load_ushort v20, v[32:33], off
	s_cbranch_execnz .LBB131_12
	s_branch .LBB131_25
.LBB131_24:                             ;   in Loop: Header=BB131_14 Depth=1
                                        ; implicit-def: $vgpr20
                                        ; implicit-def: $vgpr22
                                        ; implicit-def: $vgpr21
                                        ; implicit-def: $vgpr23
                                        ; implicit-def: $vgpr24
                                        ; implicit-def: $vgpr25
                                        ; implicit-def: $vgpr26
                                        ; implicit-def: $vgpr27
                                        ; implicit-def: $vgpr28
                                        ; implicit-def: $vgpr29
.LBB131_25:                             ;   in Loop: Header=BB131_14 Depth=1
	v_mov_b32_e32 v49, v51
	s_waitcnt vmcnt(9)
	v_mov_b32_e32 v29, 0
	s_waitcnt vmcnt(8)
	;; [unrolled: 2-line block ×10, first 2 shown]
	v_mov_b32_e32 v20, 0
	s_branch .LBB131_12
.LBB131_26:
	s_endpgm
	.section	.rodata,"a",@progbits
	.p2align	6, 0x0
	.amdhsa_kernel _Z16wvSplitK_hf_sml_I6__halfLi32ELi2ELi16ELi8ELi2ELi5EEviiiiiiPKT_S3_S3_PS1_ii
		.amdhsa_group_segment_fixed_size 65536
		.amdhsa_private_segment_fixed_size 0
		.amdhsa_kernarg_size 64
		.amdhsa_user_sgpr_count 2
		.amdhsa_user_sgpr_dispatch_ptr 0
		.amdhsa_user_sgpr_queue_ptr 0
		.amdhsa_user_sgpr_kernarg_segment_ptr 1
		.amdhsa_user_sgpr_dispatch_id 0
		.amdhsa_user_sgpr_kernarg_preload_length 0
		.amdhsa_user_sgpr_kernarg_preload_offset 0
		.amdhsa_user_sgpr_private_segment_size 0
		.amdhsa_uses_dynamic_stack 0
		.amdhsa_enable_private_segment 0
		.amdhsa_system_sgpr_workgroup_id_x 1
		.amdhsa_system_sgpr_workgroup_id_y 0
		.amdhsa_system_sgpr_workgroup_id_z 0
		.amdhsa_system_sgpr_workgroup_info 0
		.amdhsa_system_vgpr_workitem_id 1
		.amdhsa_next_free_vgpr 81
		.amdhsa_next_free_sgpr 35
		.amdhsa_accum_offset 84
		.amdhsa_reserve_vcc 1
		.amdhsa_float_round_mode_32 0
		.amdhsa_float_round_mode_16_64 0
		.amdhsa_float_denorm_mode_32 3
		.amdhsa_float_denorm_mode_16_64 3
		.amdhsa_dx10_clamp 1
		.amdhsa_ieee_mode 1
		.amdhsa_fp16_overflow 0
		.amdhsa_tg_split 0
		.amdhsa_exception_fp_ieee_invalid_op 0
		.amdhsa_exception_fp_denorm_src 0
		.amdhsa_exception_fp_ieee_div_zero 0
		.amdhsa_exception_fp_ieee_overflow 0
		.amdhsa_exception_fp_ieee_underflow 0
		.amdhsa_exception_fp_ieee_inexact 0
		.amdhsa_exception_int_div_zero 0
	.end_amdhsa_kernel
	.section	.text._Z16wvSplitK_hf_sml_I6__halfLi32ELi2ELi16ELi8ELi2ELi5EEviiiiiiPKT_S3_S3_PS1_ii,"axG",@progbits,_Z16wvSplitK_hf_sml_I6__halfLi32ELi2ELi16ELi8ELi2ELi5EEviiiiiiPKT_S3_S3_PS1_ii,comdat
.Lfunc_end131:
	.size	_Z16wvSplitK_hf_sml_I6__halfLi32ELi2ELi16ELi8ELi2ELi5EEviiiiiiPKT_S3_S3_PS1_ii, .Lfunc_end131-_Z16wvSplitK_hf_sml_I6__halfLi32ELi2ELi16ELi8ELi2ELi5EEviiiiiiPKT_S3_S3_PS1_ii
                                        ; -- End function
	.section	.AMDGPU.csdata,"",@progbits
; Kernel info:
; codeLenInByte = 4040
; NumSgprs: 41
; NumVgprs: 81
; NumAgprs: 0
; TotalNumVgprs: 81
; ScratchSize: 0
; MemoryBound: 0
; FloatMode: 240
; IeeeMode: 1
; LDSByteSize: 65536 bytes/workgroup (compile time only)
; SGPRBlocks: 5
; VGPRBlocks: 10
; NumSGPRsForWavesPerEU: 41
; NumVGPRsForWavesPerEU: 81
; AccumOffset: 84
; Occupancy: 2
; WaveLimiterHint : 0
; COMPUTE_PGM_RSRC2:SCRATCH_EN: 0
; COMPUTE_PGM_RSRC2:USER_SGPR: 2
; COMPUTE_PGM_RSRC2:TRAP_HANDLER: 0
; COMPUTE_PGM_RSRC2:TGID_X_EN: 1
; COMPUTE_PGM_RSRC2:TGID_Y_EN: 0
; COMPUTE_PGM_RSRC2:TGID_Z_EN: 0
; COMPUTE_PGM_RSRC2:TIDIG_COMP_CNT: 1
; COMPUTE_PGM_RSRC3_GFX90A:ACCUM_OFFSET: 20
; COMPUTE_PGM_RSRC3_GFX90A:TG_SPLIT: 0
	.section	.text._Z12wvSplitK_hf_I6__halfLi32ELi2ELi16ELi8ELi2ELi5EEviiiiiiPKT_S3_S3_PS1_ii,"axG",@progbits,_Z12wvSplitK_hf_I6__halfLi32ELi2ELi16ELi8ELi2ELi5EEviiiiiiPKT_S3_S3_PS1_ii,comdat
	.protected	_Z12wvSplitK_hf_I6__halfLi32ELi2ELi16ELi8ELi2ELi5EEviiiiiiPKT_S3_S3_PS1_ii ; -- Begin function _Z12wvSplitK_hf_I6__halfLi32ELi2ELi16ELi8ELi2ELi5EEviiiiiiPKT_S3_S3_PS1_ii
	.globl	_Z12wvSplitK_hf_I6__halfLi32ELi2ELi16ELi8ELi2ELi5EEviiiiiiPKT_S3_S3_PS1_ii
	.p2align	8
	.type	_Z12wvSplitK_hf_I6__halfLi32ELi2ELi16ELi8ELi2ELi5EEviiiiiiPKT_S3_S3_PS1_ii,@function
_Z12wvSplitK_hf_I6__halfLi32ELi2ELi16ELi8ELi2ELi5EEviiiiiiPKT_S3_S3_PS1_ii: ; @_Z12wvSplitK_hf_I6__halfLi32ELi2ELi16ELi8ELi2ELi5EEviiiiiiPKT_S3_S3_PS1_ii
; %bb.0:
	s_load_dwordx2 s[4:5], s[0:1], 0x38
	s_load_dwordx2 s[6:7], s[0:1], 0x20
	s_load_dwordx4 s[8:11], s[0:1], 0x0
	s_load_dwordx2 s[16:17], s[0:1], 0x10
	v_bfe_u32 v5, v0, 10, 10
	s_waitcnt lgkmcnt(0)
	s_mul_i32 s2, s2, s4
	v_add_lshl_u32 v58, s2, v5, 1
	s_mov_b32 s12, 1
	v_add_u32_e32 v1, 2, v58
	v_cmp_gt_u32_e32 vcc, s11, v58
	v_cmp_le_u32_e64 s[2:3], s11, v1
	s_mov_b32 s13, s12
	s_and_b64 s[14:15], vcc, s[2:3]
	v_mov_b64_e32 v[56:57], s[12:13]
	s_and_saveexec_b64 s[2:3], s[14:15]
	s_cbranch_execz .LBB132_6
; %bb.1:
	s_add_i32 s22, s11, -2
	v_cmp_ne_u32_e32 vcc, s22, v58
	v_mov_b64_e32 v[56:57], s[12:13]
	s_and_saveexec_b64 s[12:13], vcc
	s_cbranch_execz .LBB132_5
; %bb.2:
	v_subrev_u32_e32 v1, s22, v58
	s_mov_b32 s14, 1
	v_cmp_lt_u32_e32 vcc, 1, v1
	s_mov_b64 s[18:19], 0
	s_mov_b64 s[20:21], 0
	v_cndmask_b32_e32 v2, 1, v1, vcc
	s_mov_b32 s15, s14
.LBB132_3:                              ; =>This Inner Loop Header: Depth=1
	s_cmp_lg_u32 s20, 1
	s_cselect_b32 s15, s15, 0
	s_cmp_lg_u32 s20, 0
	s_cselect_b32 s14, s14, 0
	s_add_u32 s20, s20, 1
	s_addc_u32 s21, s21, 0
	v_cmp_eq_u32_e32 vcc, s20, v2
	s_or_b64 s[18:19], vcc, s[18:19]
	v_mov_b64_e32 v[56:57], s[14:15]
	s_andn2_b64 exec, exec, s[18:19]
	s_cbranch_execnz .LBB132_3
; %bb.4:
	s_or_b64 exec, exec, s[18:19]
	v_mov_b32_e32 v58, s22
.LBB132_5:
	s_or_b64 exec, exec, s[12:13]
.LBB132_6:
	s_or_b64 exec, exec, s[2:3]
	v_and_b32_e32 v4, 0x3ff, v0
	v_lshlrev_b32_e32 v60, 3, v4
	s_mul_i32 s2, s10, 5
	v_lshl_add_u32 v6, v5, 8, v60
	s_min_u32 s12, s2, 0x8000
	v_cmp_gt_u32_e32 vcc, s12, v6
	s_and_saveexec_b64 s[2:3], vcc
	s_cbranch_execz .LBB132_15
; %bb.7:
	v_lshlrev_b32_e32 v0, 1, v6
	global_load_dwordx4 v[8:11], v0, s[6:7]
	v_add_u32_e32 v1, 0x1000, v6
	v_cmp_gt_u32_e32 vcc, s12, v1
	s_waitcnt vmcnt(0)
	ds_write_b128 v0, v[8:11]
	s_and_saveexec_b64 s[14:15], vcc
	s_xor_b64 s[14:15], exec, s[14:15]
	s_cbranch_execz .LBB132_15
; %bb.8:
	v_mov_b32_e32 v1, 0
	v_lshl_add_u64 v[2:3], s[6:7], 0, v[0:1]
	v_add_co_u32_e32 v8, vcc, 0x2000, v2
	v_add_u32_e32 v1, 0x2000, v6
	s_nop 0
	v_addc_co_u32_e32 v9, vcc, 0, v3, vcc
	global_load_dwordx4 v[8:11], v[8:9], off
	v_cmp_gt_u32_e32 vcc, s12, v1
	s_waitcnt vmcnt(0)
	ds_write_b128 v0, v[8:11] offset:8192
	s_and_saveexec_b64 s[14:15], vcc
	s_xor_b64 s[14:15], exec, s[14:15]
	s_cbranch_execz .LBB132_15
; %bb.9:
	v_add_co_u32_e32 v8, vcc, 0x4000, v2
	v_add_u32_e32 v1, 0x3000, v6
	s_nop 0
	v_addc_co_u32_e32 v9, vcc, 0, v3, vcc
	global_load_dwordx4 v[8:11], v[8:9], off
	v_cmp_gt_u32_e32 vcc, s12, v1
	s_waitcnt vmcnt(0)
	ds_write_b128 v0, v[8:11] offset:16384
	s_and_saveexec_b64 s[14:15], vcc
	s_xor_b64 s[14:15], exec, s[14:15]
	s_cbranch_execz .LBB132_15
; %bb.10:
	;; [unrolled: 12-line block ×6, first 2 shown]
	v_add_co_u32_e32 v2, vcc, 0xe000, v2
	s_nop 1
	v_addc_co_u32_e32 v3, vcc, 0, v3, vcc
	global_load_dwordx4 v[6:9], v[2:3], off
	s_waitcnt vmcnt(0)
	ds_write_b128 v0, v[6:9] offset:57344
.LBB132_15:
	s_or_b64 exec, exec, s[2:3]
	v_cmp_gt_u32_e32 vcc, s4, v5
	v_cmp_gt_u32_e64 s[2:3], s11, v58
	s_and_b64 s[2:3], vcc, s[2:3]
	s_waitcnt lgkmcnt(0)
	s_barrier
	s_and_saveexec_b64 s[12:13], s[2:3]
	s_cbranch_execz .LBB132_94
; %bb.16:
	s_load_dwordx4 s[12:15], s[0:1], 0x28
	s_load_dwordx2 s[18:19], s[0:1], 0x18
	s_cmp_lg_u32 s8, 0
	s_cselect_b64 s[2:3], -1, 0
	s_add_i32 s33, s8, -8
	s_add_i32 s36, s11, -1
	s_mul_i32 s4, s4, s5
	s_waitcnt lgkmcnt(0)
	s_cmp_lg_u64 s[12:13], 0
	s_cselect_b64 s[22:23], -1, 0
	s_lshl_b32 s37, s4, 1
	s_abs_i32 s4, s17
	v_cvt_f32_u32_e32 v0, s16
	v_cvt_f32_u32_e32 v1, s4
	s_sub_i32 s5, 0, s16
	s_add_i32 s38, s11, -2
	v_rcp_iflag_f32_e32 v0, v0
	v_rcp_iflag_f32_e32 v1, v1
	s_lshl_b32 s17, s10, 1
	v_cmp_eq_u32_e64 s[0:1], 31, v4
	v_mul_f32_e32 v0, 0x4f7ffffe, v0
	v_mul_f32_e32 v1, 0x4f7ffffe, v1
	v_cvt_u32_f32_e32 v0, v0
	v_cvt_u32_f32_e32 v1, v1
	s_mov_b64 s[20:21], 0
	v_mov_b32_e32 v63, 0
	v_mul_lo_u32 v2, s5, v0
	s_sub_i32 s5, 0, s4
	v_readfirstlane_b32 s24, v1
	s_mul_i32 s5, s5, s24
	s_mul_hi_u32 s5, s24, s5
	s_add_i32 s24, s24, s5
	s_sub_i32 s5, 1, s4
	s_cmp_lt_u32 s4, 2
	s_cselect_b32 s5, s5, 1
	s_sub_i32 s25, s5, s4
	s_cmp_ge_u32 s5, s4
	s_cselect_b32 s39, s25, s5
	s_lshr_b32 s5, s24, 31
	s_mul_i32 s5, s5, s4
	s_sub_i32 s5, 2, s5
	s_sub_i32 s25, s5, s4
	s_cmp_ge_u32 s5, s4
	s_cselect_b32 s5, s25, s5
	s_sub_i32 s25, s5, s4
	s_cmp_ge_u32 s5, s4
	s_cselect_b32 s40, s25, s5
	s_mul_hi_u32 s5, s24, 3
	s_mul_i32 s5, s5, s4
	s_sub_i32 s5, 3, s5
	s_sub_i32 s25, s5, s4
	s_cmp_ge_u32 s5, s4
	s_cselect_b32 s5, s25, s5
	s_sub_i32 s25, s5, s4
	s_cmp_ge_u32 s5, s4
	s_cselect_b32 s41, s25, s5
	s_lshr_b32 s5, s24, 30
	s_mul_i32 s5, s5, s4
	s_sub_i32 s5, 4, s5
	s_sub_i32 s24, s5, s4
	s_cmp_ge_u32 s5, s4
	s_cselect_b32 s5, s24, s5
	v_mul_hi_u32 v2, v0, v2
	s_sub_i32 s24, s5, s4
	v_add_u32_e32 v61, v0, v2
	s_cmp_ge_u32 s5, s4
	s_cselect_b32 s42, s24, s5
	s_lshl_b32 s43, s10, 2
	v_mad_u64_u32 v[64:65], s[4:5], s10, 3, v[60:61]
	v_cndmask_b32_e64 v0, 0, 1, s[2:3]
	s_mul_i32 s39, s39, s16
	s_mul_i32 s40, s40, s16
	;; [unrolled: 1-line block ×4, first 2 shown]
	v_lshlrev_b32_e32 v80, 4, v4
	v_add_u32_e32 v81, s17, v60
	s_mul_i32 s44, s10, 6
	s_lshl_b32 s45, s10, 3
	v_add_u32_e32 v65, s43, v60
	v_add_u32_e32 v82, s10, v60
	v_cmp_ne_u32_e64 s[2:3], 1, v0
	s_movk_i32 s10, 0x7fff
	s_mov_b32 s24, 0
	s_branch .LBB132_19
.LBB132_17:                             ;   in Loop: Header=BB132_19 Depth=1
	s_or_b64 exec, exec, s[28:29]
	v_mov_b32_e32 v58, s38
.LBB132_18:                             ;   in Loop: Header=BB132_19 Depth=1
	s_or_b64 exec, exec, s[26:27]
	v_cmp_le_u32_e32 vcc, s11, v58
	s_or_b64 s[20:21], vcc, s[20:21]
	s_andn2_b64 exec, exec, s[20:21]
	s_cbranch_execz .LBB132_94
.LBB132_19:                             ; =>This Loop Header: Depth=1
                                        ;     Child Loop BB132_24 Depth 2
                                        ;     Child Loop BB132_83 Depth 2
	s_and_b64 vcc, exec, s[2:3]
	v_add_u32_e32 v66, 1, v58
	v_mov_b32_e32 v90, v63
	v_mov_b32_e32 v89, v63
	;; [unrolled: 1-line block ×10, first 2 shown]
	s_cbranch_vccnz .LBB132_66
; %bb.20:                               ;   in Loop: Header=BB132_19 Depth=1
	v_min_u32_e32 v0, s36, v58
	v_mul_lo_u32 v62, v0, s9
	v_min_u32_e32 v0, s36, v66
	v_mul_lo_u32 v0, v0, s9
	v_mov_b32_e32 v1, v63
	v_mov_b32_e32 v86, 0
	v_lshlrev_b64 v[68:69], 1, v[62:63]
	v_lshlrev_b64 v[70:71], 1, v[0:1]
	v_mov_b32_e32 v91, v80
	v_mov_b32_e32 v85, 0
	;; [unrolled: 1-line block ×10, first 2 shown]
	s_mov_b32 s30, s24
	s_branch .LBB132_24
.LBB132_21:                             ;   in Loop: Header=BB132_24 Depth=2
	s_or_b64 exec, exec, s[28:29]
.LBB132_22:                             ;   in Loop: Header=BB132_24 Depth=2
	s_or_b64 exec, exec, s[26:27]
.LBB132_23:                             ;   in Loop: Header=BB132_24 Depth=2
	s_or_b64 exec, exec, s[4:5]
	s_waitcnt vmcnt(0) lgkmcnt(0)
	;;#ASMSTART
	v_dot2c_f32_f16 v90, v32, v12
	;;#ASMEND
	;;#ASMSTART
	v_dot2c_f32_f16 v89, v32, v8
	;;#ASMEND
	;;#ASMSTART
	v_dot2c_f32_f16 v88, v28, v12
	;;#ASMEND
	;;#ASMSTART
	v_dot2c_f32_f16 v87, v28, v8
	;;#ASMEND
	;;#ASMSTART
	v_dot2c_f32_f16 v86, v24, v12
	;;#ASMEND
	;;#ASMSTART
	v_dot2c_f32_f16 v85, v24, v8
	;;#ASMEND
	;;#ASMSTART
	v_dot2c_f32_f16 v84, v16, v12
	;;#ASMEND
	;;#ASMSTART
	v_dot2c_f32_f16 v83, v16, v8
	;;#ASMEND
	;;#ASMSTART
	v_dot2c_f32_f16 v67, v20, v12
	;;#ASMEND
	;;#ASMSTART
	v_dot2c_f32_f16 v59, v20, v8
	;;#ASMEND
	s_nop 0
	;;#ASMSTART
	v_dot2c_f32_f16 v90, v33, v13
	;;#ASMEND
	;;#ASMSTART
	v_dot2c_f32_f16 v89, v33, v9
	;;#ASMEND
	;;#ASMSTART
	v_dot2c_f32_f16 v88, v29, v13
	;;#ASMEND
	;;#ASMSTART
	v_dot2c_f32_f16 v87, v29, v9
	;;#ASMEND
	;;#ASMSTART
	v_dot2c_f32_f16 v86, v25, v13
	;;#ASMEND
	;;#ASMSTART
	v_dot2c_f32_f16 v85, v25, v9
	;;#ASMEND
	;;#ASMSTART
	v_dot2c_f32_f16 v84, v17, v13
	;;#ASMEND
	;;#ASMSTART
	v_dot2c_f32_f16 v83, v17, v9
	;;#ASMEND
	;;#ASMSTART
	v_dot2c_f32_f16 v67, v21, v13
	;;#ASMEND
	;;#ASMSTART
	v_dot2c_f32_f16 v59, v21, v9
	;;#ASMEND
	s_nop 0
	;; [unrolled: 31-line block ×5, first 2 shown]
	;;#ASMSTART
	v_dot2c_f32_f16 v90, v53, v5
	;;#ASMEND
	;;#ASMSTART
	v_dot2c_f32_f16 v89, v53, v1
	;;#ASMEND
	;; [unrolled: 3-line block ×10, first 2 shown]
	s_addk_i32 s30, 0x200
	;;#ASMSTART
	v_dot2c_f32_f16 v90, v54, v6
	;;#ASMEND
	;;#ASMSTART
	v_dot2c_f32_f16 v89, v54, v2
	;;#ASMEND
	;;#ASMSTART
	v_dot2c_f32_f16 v88, v46, v6
	;;#ASMEND
	;;#ASMSTART
	v_dot2c_f32_f16 v87, v46, v2
	;;#ASMEND
	;;#ASMSTART
	v_dot2c_f32_f16 v86, v50, v6
	;;#ASMEND
	;;#ASMSTART
	v_dot2c_f32_f16 v85, v50, v2
	;;#ASMEND
	;;#ASMSTART
	v_dot2c_f32_f16 v84, v38, v6
	;;#ASMEND
	;;#ASMSTART
	v_dot2c_f32_f16 v83, v38, v2
	;;#ASMEND
	;;#ASMSTART
	v_dot2c_f32_f16 v67, v42, v6
	;;#ASMEND
	;;#ASMSTART
	v_dot2c_f32_f16 v59, v42, v2
	;;#ASMEND
	s_cmp_ge_u32 s30, s8
	v_add_u32_e32 v91, 0x400, v91
	;;#ASMSTART
	v_dot2c_f32_f16 v90, v55, v7
	;;#ASMEND
	;;#ASMSTART
	v_dot2c_f32_f16 v89, v55, v3
	;;#ASMEND
	;; [unrolled: 3-line block ×10, first 2 shown]
	s_cbranch_scc1 .LBB132_66
.LBB132_24:                             ;   Parent Loop BB132_19 Depth=1
                                        ; =>  This Inner Loop Header: Depth=2
	v_add_u32_e32 v74, s30, v60
	v_min_u32_e32 v62, s33, v74
	v_lshl_add_u64 v[0:1], v[62:63], 1, s[18:19]
	v_add_u32_e32 v72, 0x100, v74
	v_lshl_add_u64 v[2:3], v[0:1], 0, v[68:69]
	v_lshl_add_u64 v[0:1], v[0:1], 0, v[70:71]
	v_min_u32_e32 v62, s33, v72
	global_load_dwordx4 v[12:15], v[2:3], off nt
	global_load_dwordx4 v[8:11], v[0:1], off nt
	v_lshl_add_u64 v[0:1], v[62:63], 1, s[18:19]
	v_lshl_add_u64 v[16:17], v[0:1], 0, v[68:69]
	;; [unrolled: 1-line block ×3, first 2 shown]
	global_load_dwordx4 v[4:7], v[16:17], off nt
	global_load_dwordx4 v[0:3], v[18:19], off nt
	s_mov_b32 s25, s24
	v_cmp_gt_u32_e32 vcc, s8, v74
	v_mov_b64_e32 v[38:39], s[24:25]
	v_mov_b32_e32 v43, 0
	v_mov_b32_e32 v42, 0
	;; [unrolled: 1-line block ×4, first 2 shown]
	v_mov_b64_e32 v[36:37], s[24:25]
	v_mov_b64_e32 v[50:51], s[24:25]
	v_mov_b64_e32 v[48:49], s[24:25]
	v_mov_b64_e32 v[46:47], s[24:25]
	v_mov_b64_e32 v[44:45], s[24:25]
	v_mov_b64_e32 v[54:55], s[24:25]
	v_mov_b64_e32 v[52:53], s[24:25]
	s_waitcnt vmcnt(6)
	v_mov_b64_e32 v[22:23], s[24:25]
	s_waitcnt vmcnt(4)
	v_mov_b64_e32 v[20:21], s[24:25]
	v_mov_b64_e32 v[18:19], s[24:25]
	;; [unrolled: 1-line block ×9, first 2 shown]
	s_and_saveexec_b64 s[4:5], vcc
	s_cbranch_execz .LBB132_23
; %bb.25:                               ;   in Loop: Header=BB132_24 Depth=2
	v_cmp_lt_u32_e32 vcc, s10, v74
                                        ; implicit-def: $vgpr34_vgpr35
	s_and_saveexec_b64 s[26:27], vcc
	s_xor_b64 s[26:27], exec, s[26:27]
	s_cbranch_execz .LBB132_27
; %bb.26:                               ;   in Loop: Header=BB132_24 Depth=2
	v_mov_b32_e32 v75, v63
	v_lshl_add_u64 v[16:17], v[74:75], 1, s[6:7]
	global_load_dwordx4 v[32:35], v[16:17], off
.LBB132_27:                             ;   in Loop: Header=BB132_24 Depth=2
	s_andn2_saveexec_b64 s[26:27], s[26:27]
	s_cbranch_execz .LBB132_29
; %bb.28:                               ;   in Loop: Header=BB132_24 Depth=2
	s_waitcnt vmcnt(0)
	ds_read_b128 v[32:35], v91
.LBB132_29:                             ;   in Loop: Header=BB132_24 Depth=2
	s_or_b64 exec, exec, s[26:27]
	v_add_u32_e32 v62, s30, v82
	v_cmp_lt_u32_e32 vcc, s10, v62
                                        ; implicit-def: $vgpr30_vgpr31
	s_and_saveexec_b64 s[26:27], vcc
	s_xor_b64 s[26:27], exec, s[26:27]
	s_cbranch_execz .LBB132_31
; %bb.30:                               ;   in Loop: Header=BB132_24 Depth=2
	v_lshl_add_u64 v[16:17], v[62:63], 1, s[6:7]
	global_load_dwordx4 v[28:31], v[16:17], off
.LBB132_31:                             ;   in Loop: Header=BB132_24 Depth=2
	s_andn2_saveexec_b64 s[26:27], s[26:27]
	s_cbranch_execz .LBB132_33
; %bb.32:                               ;   in Loop: Header=BB132_24 Depth=2
	v_add_u32_e32 v16, s17, v91
	s_waitcnt vmcnt(0)
	ds_read_b128 v[28:31], v16
.LBB132_33:                             ;   in Loop: Header=BB132_24 Depth=2
	s_or_b64 exec, exec, s[26:27]
	v_add_u32_e32 v78, s30, v81
	v_cmp_lt_u32_e32 vcc, s10, v78
                                        ; implicit-def: $vgpr26_vgpr27
	s_and_saveexec_b64 s[26:27], vcc
	s_xor_b64 s[26:27], exec, s[26:27]
	s_cbranch_execz .LBB132_35
; %bb.34:                               ;   in Loop: Header=BB132_24 Depth=2
	v_mov_b32_e32 v79, v63
	v_lshl_add_u64 v[16:17], v[78:79], 1, s[6:7]
	global_load_dwordx4 v[24:27], v[16:17], off
.LBB132_35:                             ;   in Loop: Header=BB132_24 Depth=2
	s_andn2_saveexec_b64 s[26:27], s[26:27]
	s_cbranch_execz .LBB132_37
; %bb.36:                               ;   in Loop: Header=BB132_24 Depth=2
	v_add_u32_e32 v16, s43, v91
	s_waitcnt vmcnt(0)
	ds_read2_b32 v[24:25], v16 offset1:1
	ds_read2_b32 v[26:27], v16 offset0:2 offset1:3
.LBB132_37:                             ;   in Loop: Header=BB132_24 Depth=2
	s_or_b64 exec, exec, s[26:27]
	v_add_u32_e32 v76, s30, v64
	v_cmp_lt_u32_e32 vcc, s10, v76
                                        ; implicit-def: $vgpr18_vgpr19
	s_and_saveexec_b64 s[26:27], vcc
	s_xor_b64 s[26:27], exec, s[26:27]
	s_cbranch_execz .LBB132_39
; %bb.38:                               ;   in Loop: Header=BB132_24 Depth=2
	v_mov_b32_e32 v77, v63
	v_lshl_add_u64 v[16:17], v[76:77], 1, s[6:7]
	global_load_dwordx4 v[16:19], v[16:17], off
.LBB132_39:                             ;   in Loop: Header=BB132_24 Depth=2
	s_andn2_saveexec_b64 s[26:27], s[26:27]
	s_cbranch_execz .LBB132_41
; %bb.40:                               ;   in Loop: Header=BB132_24 Depth=2
	s_waitcnt vmcnt(0)
	v_add_u32_e32 v16, s44, v91
	ds_read_b128 v[16:19], v16
.LBB132_41:                             ;   in Loop: Header=BB132_24 Depth=2
	s_or_b64 exec, exec, s[26:27]
	v_add_u32_e32 v74, s30, v65
	v_cmp_lt_u32_e32 vcc, s10, v74
                                        ; implicit-def: $vgpr22_vgpr23
	s_and_saveexec_b64 s[26:27], vcc
	s_xor_b64 s[26:27], exec, s[26:27]
	s_cbranch_execz .LBB132_43
; %bb.42:                               ;   in Loop: Header=BB132_24 Depth=2
	v_mov_b32_e32 v75, v63
	v_lshl_add_u64 v[20:21], v[74:75], 1, s[6:7]
	global_load_dwordx4 v[20:23], v[20:21], off
.LBB132_43:                             ;   in Loop: Header=BB132_24 Depth=2
	s_andn2_saveexec_b64 s[26:27], s[26:27]
	s_cbranch_execz .LBB132_45
; %bb.44:                               ;   in Loop: Header=BB132_24 Depth=2
	s_waitcnt vmcnt(0)
	v_add_u32_e32 v20, s45, v91
	ds_read2_b64 v[20:23], v20 offset1:1
.LBB132_45:                             ;   in Loop: Header=BB132_24 Depth=2
	s_or_b64 exec, exec, s[26:27]
	s_mov_b32 s25, s24
	v_cmp_gt_u32_e32 vcc, s8, v72
	v_mov_b32_e32 v43, 0
	v_mov_b64_e32 v[38:39], s[24:25]
	v_mov_b32_e32 v42, 0
	v_mov_b32_e32 v41, 0
	;; [unrolled: 1-line block ×3, first 2 shown]
	v_mov_b64_e32 v[36:37], s[24:25]
	v_mov_b64_e32 v[50:51], s[24:25]
	;; [unrolled: 1-line block ×7, first 2 shown]
	s_and_saveexec_b64 s[26:27], vcc
	s_cbranch_execz .LBB132_22
; %bb.46:                               ;   in Loop: Header=BB132_24 Depth=2
	v_cmp_lt_u32_e32 vcc, s10, v72
                                        ; implicit-def: $vgpr54_vgpr55
	s_and_saveexec_b64 s[28:29], vcc
	s_xor_b64 s[28:29], exec, s[28:29]
	s_cbranch_execz .LBB132_48
; %bb.47:                               ;   in Loop: Header=BB132_24 Depth=2
	v_mov_b32_e32 v73, v63
	v_lshl_add_u64 v[36:37], v[72:73], 1, s[6:7]
	global_load_dwordx4 v[52:55], v[36:37], off
.LBB132_48:                             ;   in Loop: Header=BB132_24 Depth=2
	s_andn2_saveexec_b64 s[28:29], s[28:29]
	s_cbranch_execz .LBB132_50
; %bb.49:                               ;   in Loop: Header=BB132_24 Depth=2
	s_waitcnt vmcnt(0)
	ds_read_b128 v[52:55], v91 offset:512
.LBB132_50:                             ;   in Loop: Header=BB132_24 Depth=2
	s_or_b64 exec, exec, s[28:29]
	v_add_u32_e32 v62, 0x100, v62
	v_cmp_lt_u32_e32 vcc, s10, v62
                                        ; implicit-def: $vgpr46_vgpr47
	s_and_saveexec_b64 s[28:29], vcc
	s_xor_b64 s[28:29], exec, s[28:29]
	s_cbranch_execz .LBB132_52
; %bb.51:                               ;   in Loop: Header=BB132_24 Depth=2
	v_lshl_add_u64 v[36:37], v[62:63], 1, s[6:7]
	global_load_dwordx4 v[44:47], v[36:37], off
.LBB132_52:                             ;   in Loop: Header=BB132_24 Depth=2
	s_andn2_saveexec_b64 s[28:29], s[28:29]
	s_cbranch_execz .LBB132_54
; %bb.53:                               ;   in Loop: Header=BB132_24 Depth=2
	v_add_u32_e32 v36, s17, v91
	s_waitcnt vmcnt(0)
	ds_read_b128 v[44:47], v36 offset:512
.LBB132_54:                             ;   in Loop: Header=BB132_24 Depth=2
	s_or_b64 exec, exec, s[28:29]
	v_add_u32_e32 v62, 0x100, v78
	v_cmp_lt_u32_e32 vcc, s10, v62
                                        ; implicit-def: $vgpr50_vgpr51
	s_and_saveexec_b64 s[28:29], vcc
	s_xor_b64 s[28:29], exec, s[28:29]
	s_cbranch_execz .LBB132_56
; %bb.55:                               ;   in Loop: Header=BB132_24 Depth=2
	v_lshl_add_u64 v[36:37], v[62:63], 1, s[6:7]
	global_load_dwordx4 v[48:51], v[36:37], off
.LBB132_56:                             ;   in Loop: Header=BB132_24 Depth=2
	s_andn2_saveexec_b64 s[28:29], s[28:29]
	s_cbranch_execz .LBB132_58
; %bb.57:                               ;   in Loop: Header=BB132_24 Depth=2
	v_add_u32_e32 v36, s43, v91
	s_waitcnt vmcnt(0)
	ds_read2_b32 v[48:49], v36 offset0:128 offset1:129
	ds_read2_b32 v[50:51], v36 offset0:130 offset1:131
.LBB132_58:                             ;   in Loop: Header=BB132_24 Depth=2
	s_or_b64 exec, exec, s[28:29]
	v_add_u32_e32 v62, 0x100, v76
	v_cmp_lt_u32_e32 vcc, s10, v62
                                        ; implicit-def: $vgpr38_vgpr39
	s_and_saveexec_b64 s[28:29], vcc
	s_xor_b64 s[28:29], exec, s[28:29]
	s_cbranch_execz .LBB132_60
; %bb.59:                               ;   in Loop: Header=BB132_24 Depth=2
	v_lshl_add_u64 v[36:37], v[62:63], 1, s[6:7]
	global_load_dwordx4 v[36:39], v[36:37], off
.LBB132_60:                             ;   in Loop: Header=BB132_24 Depth=2
	s_andn2_saveexec_b64 s[28:29], s[28:29]
	s_cbranch_execz .LBB132_62
; %bb.61:                               ;   in Loop: Header=BB132_24 Depth=2
	s_waitcnt vmcnt(0)
	v_add_u32_e32 v36, s44, v91
	ds_read_b128 v[36:39], v36 offset:512
.LBB132_62:                             ;   in Loop: Header=BB132_24 Depth=2
	s_or_b64 exec, exec, s[28:29]
	v_add_u32_e32 v62, 0x100, v74
	v_cmp_lt_u32_e32 vcc, s10, v62
                                        ; implicit-def: $vgpr43
	s_and_saveexec_b64 s[28:29], vcc
	s_xor_b64 s[28:29], exec, s[28:29]
	s_cbranch_execz .LBB132_64
; %bb.63:                               ;   in Loop: Header=BB132_24 Depth=2
	v_lshl_add_u64 v[40:41], v[62:63], 1, s[6:7]
	global_load_dwordx4 v[40:43], v[40:41], off
.LBB132_64:                             ;   in Loop: Header=BB132_24 Depth=2
	s_andn2_saveexec_b64 s[28:29], s[28:29]
	s_cbranch_execz .LBB132_21
; %bb.65:                               ;   in Loop: Header=BB132_24 Depth=2
	s_waitcnt vmcnt(0)
	v_add_u32_e32 v40, s45, v91
	ds_read2_b64 v[40:43], v40 offset0:64 offset1:65
	s_branch .LBB132_21
.LBB132_66:                             ;   in Loop: Header=BB132_19 Depth=1
	v_cvt_i32_f32_e32 v0, v90
	v_cvt_i32_f32_e32 v1, v89
	;; [unrolled: 1-line block ×4, first 2 shown]
	v_cvt_f32_i32_dpp v0, v0 row_shr:8 row_mask:0xf bank_mask:0xf bound_ctrl:1
	v_cvt_f32_i32_dpp v1, v1 row_shr:8 row_mask:0xf bank_mask:0xf bound_ctrl:1
	;; [unrolled: 1-line block ×4, first 2 shown]
	v_add_f32_e32 v0, v90, v0
	v_add_f32_e32 v1, v89, v1
	v_cvt_i32_f32_e32 v4, v0
	v_cvt_i32_f32_e32 v5, v1
	v_add_f32_e32 v2, v88, v2
	v_cvt_i32_f32_e32 v6, v2
	v_cvt_f32_i32_dpp v4, v4 row_shr:4 row_mask:0xf bank_mask:0xf bound_ctrl:1
	v_cvt_f32_i32_dpp v5, v5 row_shr:4 row_mask:0xf bank_mask:0xf bound_ctrl:1
	v_add_f32_e32 v3, v87, v3
	v_cvt_f32_i32_dpp v6, v6 row_shr:4 row_mask:0xf bank_mask:0xf bound_ctrl:1
	v_add_f32_e32 v0, v0, v4
	v_add_f32_e32 v1, v1, v5
	v_cvt_i32_f32_e32 v4, v0
	v_cvt_i32_f32_e32 v5, v1
	v_add_f32_e32 v2, v2, v6
	v_cvt_i32_f32_e32 v6, v2
	v_cvt_f32_i32_dpp v4, v4 row_shr:2 row_mask:0xf bank_mask:0xf bound_ctrl:1
	v_cvt_f32_i32_dpp v5, v5 row_shr:2 row_mask:0xf bank_mask:0xf bound_ctrl:1
	v_cvt_i32_f32_e32 v7, v3
	v_cvt_f32_i32_dpp v6, v6 row_shr:2 row_mask:0xf bank_mask:0xf bound_ctrl:1
	v_add_f32_e32 v0, v0, v4
	v_add_f32_e32 v1, v1, v5
	v_cvt_i32_f32_e32 v4, v0
	v_cvt_i32_f32_e32 v5, v1
	v_add_f32_e32 v2, v2, v6
	v_cvt_i32_f32_e32 v6, v2
	v_cvt_f32_i32_dpp v4, v4 row_shr:1 row_mask:0xf bank_mask:0xf bound_ctrl:1
	v_cvt_f32_i32_dpp v5, v5 row_shr:1 row_mask:0xf bank_mask:0xf bound_ctrl:1
	;; [unrolled: 1-line block ×4, first 2 shown]
	v_add_f32_e32 v0, v0, v4
	v_add_f32_e32 v5, v1, v5
	v_cvt_i32_f32_e32 v4, v0
	v_cvt_i32_f32_e32 v1, v5
	v_add_f32_e32 v6, v2, v6
	v_add_f32_e32 v3, v3, v7
	v_cvt_f32_i32_dpp v4, v4 row_bcast:15 row_mask:0xf bank_mask:0xf bound_ctrl:1
	v_cvt_f32_i32_dpp v8, v1 row_bcast:15 row_mask:0xf bank_mask:0xf bound_ctrl:1
	v_cvt_i32_f32_e32 v7, v3
	v_cvt_i32_f32_e32 v10, v85
	v_add_f32_e32 v1, v0, v4
	v_add_f32_e32 v0, v5, v8
	v_cvt_i32_f32_e32 v5, v86
	v_cvt_i32_f32_e32 v8, v6
	v_cvt_f32_i32_dpp v7, v7 row_shr:2 row_mask:0xf bank_mask:0xf bound_ctrl:1
	v_cvt_i32_f32_e32 v4, v1
	v_cvt_f32_i32_dpp v5, v5 row_shr:8 row_mask:0xf bank_mask:0xf bound_ctrl:1
	v_cvt_f32_i32_dpp v8, v8 row_bcast:15 row_mask:0xf bank_mask:0xf bound_ctrl:1
	v_add_f32_e32 v7, v3, v7
	v_cvt_i32_f32_e32 v11, v7
	v_add_f32_e32 v5, v86, v5
	v_cvt_i32_f32_e32 v9, v5
	v_add_f32_e32 v3, v6, v8
	v_cvt_f32_i32_dpp v6, v10 row_shr:8 row_mask:0xf bank_mask:0xf bound_ctrl:1
	v_cvt_f32_i32_dpp v8, v11 row_shr:1 row_mask:0xf bank_mask:0xf bound_ctrl:1
	;; [unrolled: 1-line block ×3, first 2 shown]
	v_cvt_i32_f32_e32 v11, v3
	v_add_f32_e32 v6, v85, v6
	v_cvt_i32_f32_e32 v10, v6
	v_add_f32_e32 v5, v5, v9
	;; [unrolled: 2-line block ×3, first 2 shown]
	v_cvt_f32_i32_dpp v8, v10 row_shr:4 row_mask:0xf bank_mask:0xf bound_ctrl:1
	v_cvt_i32_f32_e32 v10, v7
	v_cvt_f32_i32_dpp v9, v9 row_shr:2 row_mask:0xf bank_mask:0xf bound_ctrl:1
	v_cvt_i32_f32_e32 v2, v0
	v_add_f32_e32 v6, v6, v8
	v_cvt_i32_f32_e32 v8, v6
	v_add_f32_e32 v9, v5, v9
	v_cvt_i32_f32_e32 v5, v9
	v_cvt_f32_i32_dpp v12, v10 row_bcast:15 row_mask:0xf bank_mask:0xf bound_ctrl:1
	v_cvt_f32_i32_dpp v8, v8 row_shr:2 row_mask:0xf bank_mask:0xf bound_ctrl:1
	v_mov_b32_dpp v10, v11 row_bcast:31 row_mask:0xf bank_mask:0xf bound_ctrl:1
	v_cvt_f32_i32_dpp v13, v5 row_shr:1 row_mask:0xf bank_mask:0xf bound_ctrl:1
	v_add_f32_e32 v5, v7, v12
	v_add_f32_e32 v6, v6, v8
	v_cvt_i32_f32_e32 v8, v6
	v_add_f32_e32 v7, v9, v13
	v_cvt_i32_f32_e32 v9, v84
	v_cvt_i32_f32_e32 v11, v7
	v_cvt_f32_i32_dpp v8, v8 row_shr:1 row_mask:0xf bank_mask:0xf bound_ctrl:1
	v_cvt_i32_f32_e32 v12, v5
	v_cvt_f32_i32_dpp v9, v9 row_shr:8 row_mask:0xf bank_mask:0xf bound_ctrl:1
	v_cvt_f32_i32_dpp v11, v11 row_bcast:15 row_mask:0xf bank_mask:0xf bound_ctrl:1
	v_add_f32_e32 v8, v6, v8
	v_cvt_i32_f32_e32 v14, v8
	v_add_f32_e32 v9, v84, v9
	v_cvt_i32_f32_e32 v13, v9
	;; [unrolled: 2-line block ×3, first 2 shown]
	v_cvt_f32_i32_dpp v7, v14 row_bcast:15 row_mask:0xf bank_mask:0xf bound_ctrl:1
	v_cvt_f32_i32_dpp v13, v13 row_shr:4 row_mask:0xf bank_mask:0xf bound_ctrl:1
	v_cvt_i32_f32_e32 v14, v6
	v_cvt_f32_i32_dpp v11, v11 row_shr:8 row_mask:0xf bank_mask:0xf bound_ctrl:1
	v_add_f32_e32 v7, v8, v7
	v_add_f32_e32 v9, v9, v13
	v_cvt_i32_f32_e32 v13, v9
	v_add_f32_e32 v11, v83, v11
	v_cvt_i32_f32_e32 v15, v11
	v_mov_b32_dpp v4, v4 row_bcast:31 row_mask:0xf bank_mask:0xf bound_ctrl:1
	v_cvt_f32_i32_dpp v8, v13 row_shr:2 row_mask:0xf bank_mask:0xf bound_ctrl:1
	v_cvt_i32_f32_e32 v13, v7
	v_cvt_f32_i32_dpp v15, v15 row_shr:4 row_mask:0xf bank_mask:0xf bound_ctrl:1
	v_mov_b32_dpp v2, v2 row_bcast:31 row_mask:0xf bank_mask:0xf bound_ctrl:1
	v_add_f32_e32 v8, v9, v8
	v_cvt_i32_f32_e32 v16, v8
	v_mov_b32_dpp v9, v13 row_bcast:31 row_mask:0xf bank_mask:0xf bound_ctrl:1
	v_add_f32_e32 v11, v11, v15
	v_cvt_i32_f32_e32 v15, v59
	v_cvt_f32_i32_dpp v13, v16 row_shr:1 row_mask:0xf bank_mask:0xf bound_ctrl:1
	v_cvt_i32_f32_e32 v16, v67
	v_cvt_i32_f32_e32 v17, v11
	v_mov_b32_dpp v12, v12 row_bcast:31 row_mask:0xf bank_mask:0xf bound_ctrl:1
	v_add_f32_e32 v8, v8, v13
	v_cvt_f32_i32_dpp v16, v16 row_shr:8 row_mask:0xf bank_mask:0xf bound_ctrl:1
	v_cvt_f32_i32_dpp v13, v15 row_shr:8 row_mask:0xf bank_mask:0xf bound_ctrl:1
	;; [unrolled: 1-line block ×3, first 2 shown]
	v_cvt_i32_f32_e32 v19, v8
	v_add_f32_e32 v16, v67, v16
	v_add_f32_e32 v13, v59, v13
	v_cvt_i32_f32_e32 v17, v16
	v_cvt_i32_f32_e32 v18, v13
	v_add_f32_e32 v11, v11, v15
	v_cvt_f32_i32_dpp v19, v19 row_bcast:15 row_mask:0xf bank_mask:0xf bound_ctrl:1
	v_cvt_f32_i32_dpp v17, v17 row_shr:4 row_mask:0xf bank_mask:0xf bound_ctrl:1
	v_cvt_f32_i32_dpp v15, v18 row_shr:4 row_mask:0xf bank_mask:0xf bound_ctrl:1
	v_cvt_i32_f32_e32 v18, v11
	v_mov_b32_dpp v14, v14 row_bcast:31 row_mask:0xf bank_mask:0xf bound_ctrl:1
	v_add_f32_e32 v16, v16, v17
	v_add_f32_e32 v13, v13, v15
	v_cvt_i32_f32_e32 v17, v16
	v_cvt_i32_f32_e32 v15, v13
	v_cvt_f32_i32_dpp v18, v18 row_shr:1 row_mask:0xf bank_mask:0xf bound_ctrl:1
	v_cvt_f32_i32_dpp v17, v17 row_shr:2 row_mask:0xf bank_mask:0xf bound_ctrl:1
	;; [unrolled: 1-line block ×3, first 2 shown]
	v_add_f32_e32 v11, v11, v18
	v_cvt_i32_f32_e32 v18, v11
	v_add_f32_e32 v16, v16, v17
	v_add_f32_e32 v13, v13, v15
	v_cvt_i32_f32_e32 v17, v16
	v_cvt_i32_f32_e32 v15, v13
	s_waitcnt vmcnt(0)
	v_cvt_f32_i32_dpp v20, v17 row_shr:1 row_mask:0xf bank_mask:0xf bound_ctrl:1
	v_add_f32_e32 v17, v8, v19
	v_cvt_f32_i32_dpp v8, v15 row_shr:1 row_mask:0xf bank_mask:0xf bound_ctrl:1
	v_cvt_f32_i32_dpp v15, v18 row_bcast:15 row_mask:0xf bank_mask:0xf bound_ctrl:1
	v_add_f32_e32 v18, v16, v20
	v_cvt_i32_f32_e32 v16, v18
	v_add_f32_e32 v8, v13, v8
	v_cvt_i32_f32_e32 v13, v8
	v_cvt_i32_f32_e32 v19, v17
	v_cvt_f32_i32_dpp v20, v16 row_bcast:15 row_mask:0xf bank_mask:0xf bound_ctrl:1
	v_add_f32_e32 v16, v11, v15
	v_cvt_f32_i32_dpp v11, v13 row_bcast:15 row_mask:0xf bank_mask:0xf bound_ctrl:1
	v_cvt_i32_f32_e32 v15, v16
	v_add_f32_e32 v13, v18, v20
	v_cvt_i32_f32_e32 v20, v13
	v_add_f32_e32 v8, v8, v11
	v_cvt_i32_f32_e32 v11, v8
	v_mov_b32_dpp v19, v19 row_bcast:31 row_mask:0xf bank_mask:0xf bound_ctrl:1
	v_mov_b32_dpp v18, v15 row_bcast:31 row_mask:0xf bank_mask:0xf bound_ctrl:1
	;; [unrolled: 1-line block ×4, first 2 shown]
	s_and_saveexec_b64 s[26:27], s[0:1]
	s_cbranch_execz .LBB132_80
; %bb.67:                               ;   in Loop: Header=BB132_19 Depth=1
	s_andn2_b64 vcc, exec, s[22:23]
	v_mov_b32_e32 v29, 0
	v_mov_b32_e32 v28, 0
	;; [unrolled: 1-line block ×10, first 2 shown]
	s_cbranch_vccnz .LBB132_69
; %bb.68:                               ;   in Loop: Header=BB132_19 Depth=1
	v_mul_hi_u32 v20, v58, v61
	v_mul_lo_u32 v20, v20, s16
	v_sub_u32_e32 v20, v58, v20
	v_subrev_u32_e32 v21, s16, v20
	v_cmp_le_u32_e32 vcc, s16, v20
	v_mul_hi_u32 v22, v66, v61
	v_mul_lo_u32 v22, v22, s16
	v_cndmask_b32_e32 v20, v20, v21, vcc
	v_subrev_u32_e32 v21, s16, v20
	v_cmp_le_u32_e32 vcc, s16, v20
	v_sub_u32_e32 v22, v66, v22
	v_subrev_u32_e32 v23, s16, v22
	v_cndmask_b32_e32 v62, v20, v21, vcc
	v_cmp_le_u32_e32 vcc, s16, v22
	v_lshl_add_u64 v[20:21], v[62:63], 1, s[12:13]
	v_mov_b32_e32 v31, v63
	v_cndmask_b32_e32 v22, v22, v23, vcc
	v_subrev_u32_e32 v23, s16, v22
	v_cmp_le_u32_e32 vcc, s16, v22
	s_nop 1
	v_cndmask_b32_e32 v30, v22, v23, vcc
	v_add_u32_e32 v22, s39, v62
	v_mov_b32_e32 v23, v63
	v_lshl_add_u64 v[34:35], v[22:23], 1, s[12:13]
	v_add_u32_e32 v22, s39, v30
	v_lshl_add_u64 v[36:37], v[22:23], 1, s[12:13]
	v_add_u32_e32 v22, s40, v62
	;; [unrolled: 2-line block ×5, first 2 shown]
	v_lshl_add_u64 v[32:33], v[30:31], 1, s[12:13]
	v_lshl_add_u64 v[44:45], v[22:23], 1, s[12:13]
	global_load_ushort v29, v[20:21], off
	global_load_ushort v28, v[32:33], off
	;; [unrolled: 1-line block ×8, first 2 shown]
	v_add_u32_e32 v62, s42, v62
	v_lshl_add_u64 v[32:33], v[62:63], 1, s[12:13]
	v_add_u32_e32 v62, s42, v30
	v_lshl_add_u64 v[30:31], v[62:63], 1, s[12:13]
	global_load_ushort v21, v[32:33], off
	global_load_ushort v20, v[30:31], off
.LBB132_69:                             ;   in Loop: Header=BB132_19 Depth=1
	v_cmp_ne_u32_e32 vcc, 0, v56
	s_and_saveexec_b64 s[4:5], vcc
	s_cbranch_execnz .LBB132_85
; %bb.70:                               ;   in Loop: Header=BB132_19 Depth=1
	s_or_b64 exec, exec, s[4:5]
	v_cmp_ne_u32_e64 s[4:5], 0, v57
	s_and_saveexec_b64 s[28:29], s[4:5]
	s_cbranch_execnz .LBB132_86
.LBB132_71:                             ;   in Loop: Header=BB132_19 Depth=1
	s_or_b64 exec, exec, s[28:29]
	v_add_u32_e32 v62, s11, v58
	s_and_saveexec_b64 s[28:29], vcc
	s_cbranch_execnz .LBB132_87
.LBB132_72:                             ;   in Loop: Header=BB132_19 Depth=1
	s_or_b64 exec, exec, s[28:29]
	s_and_saveexec_b64 s[28:29], s[4:5]
	s_cbranch_execnz .LBB132_88
.LBB132_73:                             ;   in Loop: Header=BB132_19 Depth=1
	s_or_b64 exec, exec, s[28:29]
	v_add_u32_e32 v62, s11, v62
	s_and_saveexec_b64 s[28:29], vcc
	s_cbranch_execnz .LBB132_89
.LBB132_74:                             ;   in Loop: Header=BB132_19 Depth=1
	s_or_b64 exec, exec, s[28:29]
	s_and_saveexec_b64 s[28:29], s[4:5]
	s_cbranch_execnz .LBB132_90
.LBB132_75:                             ;   in Loop: Header=BB132_19 Depth=1
	s_or_b64 exec, exec, s[28:29]
	v_add_u32_e32 v62, s11, v62
	s_and_saveexec_b64 s[28:29], vcc
	s_cbranch_execnz .LBB132_91
.LBB132_76:                             ;   in Loop: Header=BB132_19 Depth=1
	s_or_b64 exec, exec, s[28:29]
	s_and_saveexec_b64 s[28:29], s[4:5]
	s_cbranch_execnz .LBB132_92
.LBB132_77:                             ;   in Loop: Header=BB132_19 Depth=1
	s_or_b64 exec, exec, s[28:29]
	v_add_u32_e32 v62, s11, v62
	s_and_saveexec_b64 s[28:29], vcc
	s_cbranch_execnz .LBB132_93
.LBB132_78:                             ;   in Loop: Header=BB132_19 Depth=1
	s_or_b64 exec, exec, s[28:29]
	s_and_b64 exec, exec, s[4:5]
	s_cbranch_execz .LBB132_80
.LBB132_79:                             ;   in Loop: Header=BB132_19 Depth=1
	v_cvt_f32_i32_e32 v0, v11
	s_waitcnt vmcnt(0)
	v_cvt_f32_f16_e32 v1, v20
	v_add_u32_e32 v62, 1, v62
	v_add_f32_e32 v0, v8, v0
	v_add_f32_e32 v0, v0, v1
	v_cvt_f16_f32_e32 v2, v0
	v_lshl_add_u64 v[0:1], v[62:63], 1, s[14:15]
	global_store_short v[0:1], v2, off
.LBB132_80:                             ;   in Loop: Header=BB132_19 Depth=1
	s_or_b64 exec, exec, s[26:27]
	v_add_u32_e32 v58, s37, v58
	v_add_u32_e32 v0, 2, v58
	v_cmp_gt_u32_e32 vcc, s11, v58
	v_cmp_le_u32_e64 s[4:5], s11, v0
	s_and_b64 s[4:5], vcc, s[4:5]
	s_and_saveexec_b64 s[26:27], s[4:5]
	s_cbranch_execz .LBB132_18
; %bb.81:                               ;   in Loop: Header=BB132_19 Depth=1
	v_cmp_ne_u32_e32 vcc, s38, v58
	s_and_saveexec_b64 s[28:29], vcc
	s_cbranch_execz .LBB132_17
; %bb.82:                               ;   in Loop: Header=BB132_19 Depth=1
	v_subrev_u32_e32 v0, s38, v58
	v_cmp_lt_u32_e32 vcc, 1, v0
	s_mov_b64 s[30:31], 0
	s_mov_b64 s[34:35], 0
	v_cndmask_b32_e32 v0, 1, v0, vcc
.LBB132_83:                             ;   Parent Loop BB132_19 Depth=1
                                        ; =>  This Inner Loop Header: Depth=2
	s_cmp_lg_u32 s34, 1
	s_cselect_b64 vcc, -1, 0
	s_cmp_lg_u32 s34, 0
	v_cndmask_b32_e32 v57, 0, v57, vcc
	s_cselect_b64 vcc, -1, 0
	s_add_u32 s34, s34, 1
	s_addc_u32 s35, s35, 0
	v_cmp_eq_u32_e64 s[4:5], s34, v0
	s_or_b64 s[30:31], s[4:5], s[30:31]
	v_cndmask_b32_e32 v56, 0, v56, vcc
	s_andn2_b64 exec, exec, s[30:31]
	s_cbranch_execnz .LBB132_83
; %bb.84:                               ;   in Loop: Header=BB132_19 Depth=1
	s_or_b64 exec, exec, s[30:31]
	s_branch .LBB132_17
.LBB132_85:                             ;   in Loop: Header=BB132_19 Depth=1
	v_cvt_f32_i32_e32 v4, v4
	s_waitcnt vmcnt(9)
	v_cvt_f32_f16_e32 v29, v29
	v_mov_b32_e32 v59, v63
	v_lshl_add_u64 v[30:31], v[58:59], 1, s[14:15]
	v_add_f32_e32 v1, v1, v4
	v_add_f32_e32 v1, v1, v29
	v_cvt_f16_f32_e32 v1, v1
	global_store_short v[30:31], v1, off
	s_or_b64 exec, exec, s[4:5]
	v_cmp_ne_u32_e64 s[4:5], 0, v57
	s_and_saveexec_b64 s[28:29], s[4:5]
	s_cbranch_execz .LBB132_71
.LBB132_86:                             ;   in Loop: Header=BB132_19 Depth=1
	v_cvt_f32_i32_e32 v1, v2
	s_waitcnt vmcnt(8)
	v_cvt_f32_f16_e32 v2, v28
	v_mov_b32_e32 v67, v63
	v_add_f32_e32 v0, v0, v1
	v_add_f32_e32 v0, v0, v2
	v_cvt_f16_f32_e32 v2, v0
	v_lshl_add_u64 v[0:1], v[66:67], 1, s[14:15]
	global_store_short v[0:1], v2, off
	s_or_b64 exec, exec, s[28:29]
	v_add_u32_e32 v62, s11, v58
	s_and_saveexec_b64 s[28:29], vcc
	s_cbranch_execz .LBB132_72
.LBB132_87:                             ;   in Loop: Header=BB132_19 Depth=1
	v_cvt_f32_i32_e32 v0, v10
	s_waitcnt vmcnt(7)
	v_cvt_f32_f16_e32 v1, v27
	v_add_f32_e32 v0, v3, v0
	v_add_f32_e32 v0, v0, v1
	v_cvt_f16_f32_e32 v2, v0
	v_lshl_add_u64 v[0:1], v[62:63], 1, s[14:15]
	global_store_short v[0:1], v2, off
	s_or_b64 exec, exec, s[28:29]
	s_and_saveexec_b64 s[28:29], s[4:5]
	s_cbranch_execz .LBB132_73
.LBB132_88:                             ;   in Loop: Header=BB132_19 Depth=1
	v_cvt_f32_i32_e32 v0, v12
	s_waitcnt vmcnt(6)
	v_cvt_f32_f16_e32 v1, v26
	v_add_f32_e32 v0, v5, v0
	v_add_f32_e32 v0, v0, v1
	v_cvt_f16_f32_e32 v2, v0
	v_add_u32_e32 v0, 1, v62
	v_mov_b32_e32 v1, v63
	v_lshl_add_u64 v[0:1], v[0:1], 1, s[14:15]
	global_store_short v[0:1], v2, off
	s_or_b64 exec, exec, s[28:29]
	v_add_u32_e32 v62, s11, v62
	s_and_saveexec_b64 s[28:29], vcc
	s_cbranch_execz .LBB132_74
.LBB132_89:                             ;   in Loop: Header=BB132_19 Depth=1
	v_cvt_f32_i32_e32 v0, v14
	s_waitcnt vmcnt(5)
	v_cvt_f32_f16_e32 v1, v25
	v_add_f32_e32 v0, v6, v0
	v_add_f32_e32 v0, v0, v1
	v_cvt_f16_f32_e32 v2, v0
	v_lshl_add_u64 v[0:1], v[62:63], 1, s[14:15]
	global_store_short v[0:1], v2, off
	s_or_b64 exec, exec, s[28:29]
	s_and_saveexec_b64 s[28:29], s[4:5]
	s_cbranch_execz .LBB132_75
.LBB132_90:                             ;   in Loop: Header=BB132_19 Depth=1
	v_cvt_f32_i32_e32 v0, v9
	s_waitcnt vmcnt(4)
	v_cvt_f32_f16_e32 v1, v24
	v_add_f32_e32 v0, v7, v0
	v_add_f32_e32 v0, v0, v1
	v_cvt_f16_f32_e32 v2, v0
	v_add_u32_e32 v0, 1, v62
	v_mov_b32_e32 v1, v63
	v_lshl_add_u64 v[0:1], v[0:1], 1, s[14:15]
	global_store_short v[0:1], v2, off
	s_or_b64 exec, exec, s[28:29]
	v_add_u32_e32 v62, s11, v62
	s_and_saveexec_b64 s[28:29], vcc
	s_cbranch_execz .LBB132_76
.LBB132_91:                             ;   in Loop: Header=BB132_19 Depth=1
	v_cvt_f32_i32_e32 v0, v19
	s_waitcnt vmcnt(3)
	v_cvt_f32_f16_e32 v1, v23
	v_add_f32_e32 v0, v17, v0
	v_add_f32_e32 v0, v0, v1
	v_cvt_f16_f32_e32 v2, v0
	v_lshl_add_u64 v[0:1], v[62:63], 1, s[14:15]
	global_store_short v[0:1], v2, off
	s_or_b64 exec, exec, s[28:29]
	s_and_saveexec_b64 s[28:29], s[4:5]
	s_cbranch_execz .LBB132_77
.LBB132_92:                             ;   in Loop: Header=BB132_19 Depth=1
	v_cvt_f32_i32_e32 v0, v18
	s_waitcnt vmcnt(2)
	v_cvt_f32_f16_e32 v1, v22
	v_add_f32_e32 v0, v16, v0
	v_add_f32_e32 v0, v0, v1
	v_cvt_f16_f32_e32 v2, v0
	v_add_u32_e32 v0, 1, v62
	v_mov_b32_e32 v1, v63
	v_lshl_add_u64 v[0:1], v[0:1], 1, s[14:15]
	global_store_short v[0:1], v2, off
	s_or_b64 exec, exec, s[28:29]
	v_add_u32_e32 v62, s11, v62
	s_and_saveexec_b64 s[28:29], vcc
	s_cbranch_execz .LBB132_78
.LBB132_93:                             ;   in Loop: Header=BB132_19 Depth=1
	v_cvt_f32_i32_e32 v0, v15
	s_waitcnt vmcnt(1)
	v_cvt_f32_f16_e32 v1, v21
	v_add_f32_e32 v0, v13, v0
	v_add_f32_e32 v0, v0, v1
	v_cvt_f16_f32_e32 v2, v0
	v_lshl_add_u64 v[0:1], v[62:63], 1, s[14:15]
	global_store_short v[0:1], v2, off
	s_or_b64 exec, exec, s[28:29]
	s_and_b64 exec, exec, s[4:5]
	s_cbranch_execnz .LBB132_79
	s_branch .LBB132_80
.LBB132_94:
	s_endpgm
	.section	.rodata,"a",@progbits
	.p2align	6, 0x0
	.amdhsa_kernel _Z12wvSplitK_hf_I6__halfLi32ELi2ELi16ELi8ELi2ELi5EEviiiiiiPKT_S3_S3_PS1_ii
		.amdhsa_group_segment_fixed_size 65536
		.amdhsa_private_segment_fixed_size 0
		.amdhsa_kernarg_size 64
		.amdhsa_user_sgpr_count 2
		.amdhsa_user_sgpr_dispatch_ptr 0
		.amdhsa_user_sgpr_queue_ptr 0
		.amdhsa_user_sgpr_kernarg_segment_ptr 1
		.amdhsa_user_sgpr_dispatch_id 0
		.amdhsa_user_sgpr_kernarg_preload_length 0
		.amdhsa_user_sgpr_kernarg_preload_offset 0
		.amdhsa_user_sgpr_private_segment_size 0
		.amdhsa_uses_dynamic_stack 0
		.amdhsa_enable_private_segment 0
		.amdhsa_system_sgpr_workgroup_id_x 1
		.amdhsa_system_sgpr_workgroup_id_y 0
		.amdhsa_system_sgpr_workgroup_id_z 0
		.amdhsa_system_sgpr_workgroup_info 0
		.amdhsa_system_vgpr_workitem_id 1
		.amdhsa_next_free_vgpr 92
		.amdhsa_next_free_sgpr 46
		.amdhsa_accum_offset 92
		.amdhsa_reserve_vcc 1
		.amdhsa_float_round_mode_32 0
		.amdhsa_float_round_mode_16_64 0
		.amdhsa_float_denorm_mode_32 3
		.amdhsa_float_denorm_mode_16_64 3
		.amdhsa_dx10_clamp 1
		.amdhsa_ieee_mode 1
		.amdhsa_fp16_overflow 0
		.amdhsa_tg_split 0
		.amdhsa_exception_fp_ieee_invalid_op 0
		.amdhsa_exception_fp_denorm_src 0
		.amdhsa_exception_fp_ieee_div_zero 0
		.amdhsa_exception_fp_ieee_overflow 0
		.amdhsa_exception_fp_ieee_underflow 0
		.amdhsa_exception_fp_ieee_inexact 0
		.amdhsa_exception_int_div_zero 0
	.end_amdhsa_kernel
	.section	.text._Z12wvSplitK_hf_I6__halfLi32ELi2ELi16ELi8ELi2ELi5EEviiiiiiPKT_S3_S3_PS1_ii,"axG",@progbits,_Z12wvSplitK_hf_I6__halfLi32ELi2ELi16ELi8ELi2ELi5EEviiiiiiPKT_S3_S3_PS1_ii,comdat
.Lfunc_end132:
	.size	_Z12wvSplitK_hf_I6__halfLi32ELi2ELi16ELi8ELi2ELi5EEviiiiiiPKT_S3_S3_PS1_ii, .Lfunc_end132-_Z12wvSplitK_hf_I6__halfLi32ELi2ELi16ELi8ELi2ELi5EEviiiiiiPKT_S3_S3_PS1_ii
                                        ; -- End function
	.section	.AMDGPU.csdata,"",@progbits
; Kernel info:
; codeLenInByte = 5060
; NumSgprs: 52
; NumVgprs: 92
; NumAgprs: 0
; TotalNumVgprs: 92
; ScratchSize: 0
; MemoryBound: 1
; FloatMode: 240
; IeeeMode: 1
; LDSByteSize: 65536 bytes/workgroup (compile time only)
; SGPRBlocks: 6
; VGPRBlocks: 11
; NumSGPRsForWavesPerEU: 52
; NumVGPRsForWavesPerEU: 92
; AccumOffset: 92
; Occupancy: 2
; WaveLimiterHint : 0
; COMPUTE_PGM_RSRC2:SCRATCH_EN: 0
; COMPUTE_PGM_RSRC2:USER_SGPR: 2
; COMPUTE_PGM_RSRC2:TRAP_HANDLER: 0
; COMPUTE_PGM_RSRC2:TGID_X_EN: 1
; COMPUTE_PGM_RSRC2:TGID_Y_EN: 0
; COMPUTE_PGM_RSRC2:TGID_Z_EN: 0
; COMPUTE_PGM_RSRC2:TIDIG_COMP_CNT: 1
; COMPUTE_PGM_RSRC3_GFX90A:ACCUM_OFFSET: 22
; COMPUTE_PGM_RSRC3_GFX90A:TG_SPLIT: 0
	.section	.text._Z16wvSplitK_hf_big_I6__halfLi32ELi2ELi16ELi8ELi2ELi5EEviiiiiiPKT_S3_S3_PS1_ii,"axG",@progbits,_Z16wvSplitK_hf_big_I6__halfLi32ELi2ELi16ELi8ELi2ELi5EEviiiiiiPKT_S3_S3_PS1_ii,comdat
	.protected	_Z16wvSplitK_hf_big_I6__halfLi32ELi2ELi16ELi8ELi2ELi5EEviiiiiiPKT_S3_S3_PS1_ii ; -- Begin function _Z16wvSplitK_hf_big_I6__halfLi32ELi2ELi16ELi8ELi2ELi5EEviiiiiiPKT_S3_S3_PS1_ii
	.globl	_Z16wvSplitK_hf_big_I6__halfLi32ELi2ELi16ELi8ELi2ELi5EEviiiiiiPKT_S3_S3_PS1_ii
	.p2align	8
	.type	_Z16wvSplitK_hf_big_I6__halfLi32ELi2ELi16ELi8ELi2ELi5EEviiiiiiPKT_S3_S3_PS1_ii,@function
_Z16wvSplitK_hf_big_I6__halfLi32ELi2ELi16ELi8ELi2ELi5EEviiiiiiPKT_S3_S3_PS1_ii: ; @_Z16wvSplitK_hf_big_I6__halfLi32ELi2ELi16ELi8ELi2ELi5EEviiiiiiPKT_S3_S3_PS1_ii
; %bb.0:
	s_load_dwordx2 s[4:5], s[0:1], 0x38
	v_bfe_u32 v1, v0, 10, 10
	s_waitcnt lgkmcnt(0)
	v_cmp_gt_u32_e32 vcc, s4, v1
	s_and_saveexec_b64 s[6:7], vcc
	s_cbranch_execz .LBB133_60
; %bb.1:
	s_load_dwordx4 s[20:23], s[0:1], 0x0
	s_mul_i32 s2, s2, s4
	v_add_lshl_u32 v58, s2, v1, 1
	s_mov_b32 s6, 1
	v_add_u32_e32 v2, 2, v58
	s_waitcnt lgkmcnt(0)
	v_cmp_gt_u32_e32 vcc, s23, v58
	v_cmp_le_u32_e64 s[2:3], s23, v2
	s_mov_b32 s7, s6
	s_and_b64 s[8:9], vcc, s[2:3]
	v_mov_b64_e32 v[56:57], s[6:7]
	s_and_saveexec_b64 s[2:3], s[8:9]
	s_cbranch_execz .LBB133_7
; %bb.2:
	s_add_i32 s14, s23, -2
	v_cmp_ne_u32_e32 vcc, s14, v58
	v_mov_b64_e32 v[56:57], s[6:7]
	s_and_saveexec_b64 s[6:7], vcc
	s_cbranch_execz .LBB133_6
; %bb.3:
	v_subrev_u32_e32 v2, s14, v58
	s_mov_b32 s8, 1
	v_cmp_lt_u32_e32 vcc, 1, v2
	s_mov_b64 s[10:11], 0
	s_mov_b64 s[12:13], 0
	v_cndmask_b32_e32 v2, 1, v2, vcc
	s_mov_b32 s9, s8
.LBB133_4:                              ; =>This Inner Loop Header: Depth=1
	s_cmp_lg_u32 s12, 1
	s_cselect_b32 s9, s9, 0
	s_cmp_lg_u32 s12, 0
	s_cselect_b32 s8, s8, 0
	s_add_u32 s12, s12, 1
	s_addc_u32 s13, s13, 0
	v_cmp_eq_u32_e32 vcc, s12, v2
	s_or_b64 s[10:11], vcc, s[10:11]
	v_mov_b64_e32 v[56:57], s[8:9]
	s_andn2_b64 exec, exec, s[10:11]
	s_cbranch_execnz .LBB133_4
; %bb.5:
	s_or_b64 exec, exec, s[10:11]
	v_mov_b32_e32 v58, s14
.LBB133_6:
	s_or_b64 exec, exec, s[6:7]
.LBB133_7:
	s_or_b64 exec, exec, s[2:3]
	s_lshl_b32 s2, s4, 1
	s_abs_i32 s3, s2
	v_cvt_f32_u32_e32 v2, s3
	s_sub_i32 s8, 0, s3
	s_abs_i32 s7, s23
	s_ashr_i32 s6, s23, 31
	v_rcp_iflag_f32_e32 v2, v2
	s_nop 0
	v_mul_f32_e32 v2, 0x4f7ffffe, v2
	v_cvt_u32_f32_e32 v2, v2
	s_nop 0
	v_readfirstlane_b32 s9, v2
	s_mul_i32 s8, s8, s9
	s_mul_hi_u32 s8, s9, s8
	s_add_i32 s9, s9, s8
	s_mul_hi_u32 s8, s7, s9
	s_mul_i32 s8, s8, s3
	s_sub_i32 s7, s7, s8
	s_sub_i32 s8, s7, s3
	s_cmp_ge_u32 s7, s3
	s_cselect_b32 s7, s8, s7
	s_sub_i32 s8, s7, s3
	s_cmp_ge_u32 s7, s3
	s_cselect_b32 s3, s8, s7
	s_xor_b32 s3, s3, s6
	s_sub_i32 s3, s3, s6
	s_add_i32 s2, s2, s23
	s_sub_i32 s2, s2, s3
	s_cmp_eq_u32 s3, 0
	s_cselect_b32 s33, s23, s2
	v_cmp_gt_u32_e32 vcc, s33, v58
	s_and_b64 exec, exec, vcc
	s_cbranch_execz .LBB133_60
; %bb.8:
	s_load_dwordx8 s[12:19], s[0:1], 0x10
	s_min_u32 s40, s22, 0x1800
	s_cmp_lg_u32 s20, 0
	s_load_dwordx2 s[10:11], s[0:1], 0x30
	s_cselect_b64 s[2:3], -1, 0
	s_cmp_lg_u32 s22, 0
	s_mul_i32 s0, s5, s4
	s_cselect_b64 s[6:7], -1, 0
	s_lshl_b32 s41, s4, 8
	s_add_i32 s42, s20, -8
	s_add_i32 s43, s23, -1
	s_lshl_b32 s44, s0, 1
	s_waitcnt lgkmcnt(0)
	s_cmp_lg_u64 s[18:19], 0
	s_cselect_b64 s[26:27], -1, 0
	s_abs_i32 s5, s13
	v_cvt_f32_u32_e32 v2, s12
	v_cvt_f32_u32_e32 v3, s5
	s_sub_i32 s8, 0, s12
	s_add_i32 s13, s23, -2
	v_rcp_iflag_f32_e32 v2, v2
	v_rcp_iflag_f32_e32 v3, v3
	v_and_b32_e32 v0, 0x3ff, v0
	v_lshlrev_b32_e32 v63, 3, v0
	v_mul_f32_e32 v2, 0x4f7ffffe, v2
	v_mul_f32_e32 v3, 0x4f7ffffe, v3
	v_cvt_u32_f32_e32 v2, v2
	v_cvt_u32_f32_e32 v3, v3
	v_cmp_eq_u32_e64 s[0:1], 31, v0
	v_lshlrev_b32_e32 v0, 4, v0
	v_mul_lo_u32 v4, s8, v2
	s_sub_i32 s8, 0, s5
	v_readfirstlane_b32 s9, v3
	s_mul_i32 s8, s8, s9
	s_mul_hi_u32 s8, s9, s8
	s_add_i32 s9, s9, s8
	s_sub_i32 s8, 1, s5
	s_cmp_lt_u32 s5, 2
	s_cselect_b32 s8, s8, 1
	s_sub_i32 s28, s8, s5
	s_cmp_ge_u32 s8, s5
	s_cselect_b32 s45, s28, s8
	s_lshr_b32 s8, s9, 31
	s_mul_i32 s8, s8, s5
	s_sub_i32 s8, 2, s8
	s_sub_i32 s28, s8, s5
	s_cmp_ge_u32 s8, s5
	s_cselect_b32 s8, s28, s8
	s_sub_i32 s28, s8, s5
	s_cmp_ge_u32 s8, s5
	s_cselect_b32 s46, s28, s8
	s_mul_hi_u32 s8, s9, 3
	s_mul_i32 s8, s8, s5
	s_sub_i32 s8, 3, s8
	s_sub_i32 s28, s8, s5
	s_cmp_ge_u32 s8, s5
	s_cselect_b32 s8, s28, s8
	s_sub_i32 s28, s8, s5
	s_cmp_ge_u32 s8, s5
	s_cselect_b32 s47, s28, s8
	s_lshr_b32 s8, s9, 30
	s_mul_i32 s8, s8, s5
	s_sub_i32 s8, 4, s8
	s_sub_i32 s9, s8, s5
	s_cmp_ge_u32 s8, s5
	s_cselect_b32 s8, s9, s8
	s_sub_i32 s9, s8, s5
	s_cmp_ge_u32 s8, s5
	s_cselect_b32 s48, s9, s8
	s_add_u32 s28, s10, 2
	v_lshl_add_u32 v71, v1, 9, v0
	v_lshl_add_u32 v62, v1, 8, v63
	v_cndmask_b32_e64 v0, 0, 1, s[2:3]
	v_mul_hi_u32 v4, v2, v4
	s_addc_u32 s29, s11, 0
	s_lshl_b32 s50, s4, 9
	v_mad_u64_u32 v[64:65], s[4:5], s22, 3, v[62:63]
	v_cmp_ne_u32_e64 s[2:3], 1, v0
	v_cndmask_b32_e64 v0, 0, 1, s[6:7]
	s_mov_b64 s[24:25], 0
	v_add_u32_e32 v70, v2, v4
	v_mov_b32_e32 v61, 0
	s_mul_i32 s45, s45, s12
	s_mul_i32 s46, s46, s12
	;; [unrolled: 1-line block ×4, first 2 shown]
	s_lshl_b32 s49, s40, 3
	s_mul_i32 s51, s40, 6
	s_lshl_b32 s52, s40, 2
	s_lshl_b32 s53, s40, 1
	v_lshl_add_u32 v72, s22, 1, v62
	v_lshl_add_u32 v65, s22, 2, v62
	v_add_u32_e32 v73, s22, v62
	v_cmp_ne_u32_e64 s[4:5], 1, v0
	s_branch .LBB133_12
.LBB133_9:                              ;   in Loop: Header=BB133_12 Depth=1
	s_or_b64 exec, exec, s[34:35]
	v_mov_b32_e32 v58, s13
.LBB133_10:                             ;   in Loop: Header=BB133_12 Depth=1
	s_or_b64 exec, exec, s[30:31]
.LBB133_11:                             ;   in Loop: Header=BB133_12 Depth=1
	s_or_b64 exec, exec, s[8:9]
	v_cmp_le_u32_e32 vcc, s33, v58
	s_or_b64 s[24:25], vcc, s[24:25]
	s_andn2_b64 exec, exec, s[24:25]
	s_cbranch_execz .LBB133_60
.LBB133_12:                             ; =>This Loop Header: Depth=1
                                        ;     Child Loop BB133_17 Depth 2
                                        ;       Child Loop BB133_22 Depth 3
                                        ;     Child Loop BB133_49 Depth 2
	s_mov_b32 s36, 0
	s_and_b64 vcc, exec, s[2:3]
	v_mov_b32_e32 v82, v61
	v_mov_b32_e32 v81, v61
	;; [unrolled: 1-line block ×10, first 2 shown]
	s_cbranch_vccnz .LBB133_29
; %bb.13:                               ;   in Loop: Header=BB133_12 Depth=1
	v_min_u32_e32 v0, s43, v58
	v_mul_lo_u32 v60, v0, s21
	v_add_u32_e32 v0, 1, v58
	v_min_u32_e32 v0, s43, v0
	v_mul_lo_u32 v0, v0, s21
	v_mov_b32_e32 v1, v61
	v_cmp_gt_u32_e64 s[6:7], s23, v58
	v_mov_b32_e32 v78, 0
	v_lshlrev_b64 v[66:67], 1, v[60:61]
	v_lshlrev_b64 v[68:69], 1, v[0:1]
	v_mov_b32_e32 v77, 0
	v_mov_b32_e32 v76, 0
	;; [unrolled: 1-line block ×9, first 2 shown]
	s_mov_b32 s37, 0
	s_branch .LBB133_17
.LBB133_14:                             ;   in Loop: Header=BB133_17 Depth=2
	s_or_b64 exec, exec, s[34:35]
.LBB133_15:                             ;   in Loop: Header=BB133_17 Depth=2
	s_or_b64 exec, exec, s[30:31]
	s_waitcnt vmcnt(3) lgkmcnt(4)
	;;#ASMSTART
	v_dot2c_f32_f16 v82, v52, v28
	;;#ASMEND
	s_waitcnt vmcnt(2)
	;;#ASMSTART
	v_dot2c_f32_f16 v81, v52, v20
	;;#ASMEND
	s_waitcnt lgkmcnt(3)
	;;#ASMSTART
	v_dot2c_f32_f16 v80, v48, v28
	;;#ASMEND
	;;#ASMSTART
	v_dot2c_f32_f16 v79, v48, v20
	;;#ASMEND
	s_waitcnt lgkmcnt(2)
	;;#ASMSTART
	v_dot2c_f32_f16 v78, v44, v28
	;;#ASMEND
	;; [unrolled: 7-line block ×4, first 2 shown]
	;;#ASMSTART
	v_dot2c_f32_f16 v59, v36, v20
	;;#ASMEND
	;;#ASMSTART
	v_dot2c_f32_f16 v82, v53, v29
	;;#ASMEND
	;;#ASMSTART
	v_dot2c_f32_f16 v81, v53, v21
	;;#ASMEND
	;;#ASMSTART
	v_dot2c_f32_f16 v80, v49, v29
	;;#ASMEND
	;;#ASMSTART
	v_dot2c_f32_f16 v79, v49, v21
	;;#ASMEND
	;;#ASMSTART
	v_dot2c_f32_f16 v78, v45, v29
	;;#ASMEND
	;;#ASMSTART
	v_dot2c_f32_f16 v77, v45, v21
	;;#ASMEND
	;;#ASMSTART
	v_dot2c_f32_f16 v76, v41, v29
	;;#ASMEND
	;;#ASMSTART
	v_dot2c_f32_f16 v75, v41, v21
	;;#ASMEND
	s_nop 0
	;;#ASMSTART
	v_dot2c_f32_f16 v74, v37, v29
	;;#ASMEND
	;;#ASMSTART
	v_dot2c_f32_f16 v59, v37, v21
	;;#ASMEND
	;;#ASMSTART
	v_dot2c_f32_f16 v82, v54, v30
	;;#ASMEND
	;;#ASMSTART
	v_dot2c_f32_f16 v81, v54, v22
	;;#ASMEND
	;;#ASMSTART
	v_dot2c_f32_f16 v80, v50, v30
	;;#ASMEND
	;;#ASMSTART
	v_dot2c_f32_f16 v79, v50, v22
	;;#ASMEND
	;;#ASMSTART
	v_dot2c_f32_f16 v78, v46, v30
	;;#ASMEND
	;;#ASMSTART
	v_dot2c_f32_f16 v77, v46, v22
	;;#ASMEND
	;;#ASMSTART
	v_dot2c_f32_f16 v76, v42, v30
	;;#ASMEND
	;;#ASMSTART
	v_dot2c_f32_f16 v75, v42, v22
	;;#ASMEND
	s_nop 0
	;;#ASMSTART
	v_dot2c_f32_f16 v74, v38, v30
	;;#ASMEND
	;; [unrolled: 31-line block ×3, first 2 shown]
	;;#ASMSTART
	v_dot2c_f32_f16 v59, v39, v23
	;;#ASMEND
	s_waitcnt vmcnt(1)
	;;#ASMSTART
	v_dot2c_f32_f16 v82, v32, v4
	;;#ASMEND
	s_waitcnt vmcnt(0)
	;;#ASMSTART
	v_dot2c_f32_f16 v81, v32, v0
	;;#ASMEND
	;;#ASMSTART
	v_dot2c_f32_f16 v80, v24, v4
	;;#ASMEND
	;;#ASMSTART
	v_dot2c_f32_f16 v79, v24, v0
	;;#ASMEND
	;;#ASMSTART
	v_dot2c_f32_f16 v78, v16, v4
	;;#ASMEND
	;;#ASMSTART
	v_dot2c_f32_f16 v77, v16, v0
	;;#ASMEND
	;;#ASMSTART
	v_dot2c_f32_f16 v76, v12, v4
	;;#ASMEND
	;;#ASMSTART
	v_dot2c_f32_f16 v75, v12, v0
	;;#ASMEND
	;;#ASMSTART
	v_dot2c_f32_f16 v74, v8, v4
	;;#ASMEND
	;;#ASMSTART
	v_dot2c_f32_f16 v59, v8, v0
	;;#ASMEND
	;;#ASMSTART
	v_dot2c_f32_f16 v82, v33, v5
	;;#ASMEND
	s_nop 0
	;;#ASMSTART
	v_dot2c_f32_f16 v81, v33, v1
	;;#ASMEND
	;;#ASMSTART
	v_dot2c_f32_f16 v80, v25, v5
	;;#ASMEND
	;;#ASMSTART
	v_dot2c_f32_f16 v79, v25, v1
	;;#ASMEND
	;;#ASMSTART
	v_dot2c_f32_f16 v78, v17, v5
	;;#ASMEND
	;;#ASMSTART
	v_dot2c_f32_f16 v77, v17, v1
	;;#ASMEND
	;;#ASMSTART
	v_dot2c_f32_f16 v76, v13, v5
	;;#ASMEND
	;;#ASMSTART
	v_dot2c_f32_f16 v75, v13, v1
	;;#ASMEND
	;;#ASMSTART
	v_dot2c_f32_f16 v74, v9, v5
	;;#ASMEND
	;;#ASMSTART
	v_dot2c_f32_f16 v59, v9, v1
	;;#ASMEND
	;;#ASMSTART
	v_dot2c_f32_f16 v82, v34, v6
	;;#ASMEND
	s_nop 0
	;; [unrolled: 31-line block ×3, first 2 shown]
	;;#ASMSTART
	v_dot2c_f32_f16 v81, v35, v3
	;;#ASMEND
	;;#ASMSTART
	v_dot2c_f32_f16 v80, v27, v7
	;;#ASMEND
	;; [unrolled: 3-line block ×9, first 2 shown]
.LBB133_16:                             ;   in Loop: Header=BB133_17 Depth=2
	s_or_b64 exec, exec, s[8:9]
	s_addk_i32 s37, 0x200
	s_cmp_ge_u32 s37, s20
	s_cbranch_scc1 .LBB133_29
.LBB133_17:                             ;   Parent Loop BB133_12 Depth=1
                                        ; =>  This Loop Header: Depth=2
                                        ;       Child Loop BB133_22 Depth 3
	s_cmp_eq_u32 s37, 0
	s_cselect_b64 s[8:9], -1, 0
	s_add_i32 s30, s36, s40
	s_cmp_eq_u32 s37, s30
	s_cselect_b64 s[34:35], -1, 0
	s_or_b64 s[34:35], s[8:9], s[34:35]
	s_andn2_b64 vcc, exec, s[34:35]
	s_cbranch_vccz .LBB133_19
; %bb.18:                               ;   in Loop: Header=BB133_17 Depth=2
	s_and_saveexec_b64 s[8:9], s[6:7]
	s_cbranch_execz .LBB133_16
	s_branch .LBB133_26
.LBB133_19:                             ;   in Loop: Header=BB133_17 Depth=2
	s_and_b64 s[8:9], s[8:9], exec
	s_cselect_b32 s36, s36, s30
	s_and_b64 vcc, exec, s[4:5]
	s_barrier
	s_cbranch_vccnz .LBB133_25
; %bb.20:                               ;   in Loop: Header=BB133_17 Depth=2
	v_add_u32_e32 v0, s36, v72
	v_add_u32_e32 v1, s36, v64
	;; [unrolled: 1-line block ×5, first 2 shown]
	s_mov_b32 s38, 0
	s_mov_b64 s[30:31], 0
	v_mov_b32_e32 v5, v71
                                        ; implicit-def: $sgpr34_sgpr35
	s_branch .LBB133_22
.LBB133_21:                             ;   in Loop: Header=BB133_22 Depth=3
	s_or_b64 exec, exec, s[8:9]
	s_and_b64 s[8:9], exec, s[34:35]
	s_or_b64 s[30:31], s[8:9], s[30:31]
	s_andn2_b64 exec, exec, s[30:31]
	s_cbranch_execz .LBB133_24
.LBB133_22:                             ;   Parent Loop BB133_12 Depth=1
                                        ;     Parent Loop BB133_17 Depth=2
                                        ; =>    This Inner Loop Header: Depth=3
	v_add_u32_e32 v6, s38, v62
	v_add_u32_e32 v60, s38, v4
	v_cmp_gt_u32_e32 vcc, s22, v60
	v_cmp_gt_u32_e64 s[8:9], s40, v6
	s_and_b64 s[54:55], s[8:9], vcc
	s_or_b64 s[34:35], s[34:35], exec
	s_and_saveexec_b64 s[8:9], s[54:55]
	s_cbranch_execz .LBB133_21
; %bb.23:                               ;   in Loop: Header=BB133_22 Depth=3
	v_lshl_add_u64 v[6:7], v[60:61], 1, s[16:17]
	v_add_u32_e32 v60, s38, v3
	v_lshl_add_u64 v[10:11], v[60:61], 1, s[16:17]
	v_add_u32_e32 v60, s38, v0
	;; [unrolled: 2-line block ×3, first 2 shown]
	v_lshl_add_u64 v[18:19], v[60:61], 1, s[16:17]
	global_load_dwordx4 v[6:9], v[6:7], off
	s_nop 0
	global_load_dwordx4 v[10:13], v[10:11], off
	s_nop 0
	;; [unrolled: 2-line block ×3, first 2 shown]
	global_load_dwordx4 v[18:21], v[18:19], off
	v_add_u32_e32 v60, s38, v2
	s_waitcnt vmcnt(6)
	v_lshl_add_u64 v[22:23], v[60:61], 1, s[16:17]
	global_load_dwordx4 v[22:25], v[22:23], off
	s_add_i32 s38, s38, s41
	s_cmp_ge_u32 s38, s40
	s_cselect_b64 s[54:55], -1, 0
	s_andn2_b64 s[34:35], s[34:35], exec
	s_and_b64 s[54:55], s[54:55], exec
	v_add_u32_e32 v26, s53, v5
	v_add_u32_e32 v27, s52, v5
	;; [unrolled: 1-line block ×4, first 2 shown]
	s_or_b64 s[34:35], s[34:35], s[54:55]
	s_waitcnt vmcnt(4)
	ds_write_b128 v5, v[6:9]
	v_add_u32_e32 v5, s50, v5
	s_waitcnt vmcnt(3)
	ds_write2_b64 v26, v[10:11], v[12:13] offset1:1
	s_waitcnt vmcnt(2)
	ds_write2_b32 v27, v14, v15 offset1:1
	ds_write2_b32 v27, v16, v17 offset0:2 offset1:3
	s_waitcnt vmcnt(1)
	ds_write2_b64 v28, v[18:19], v[20:21] offset1:1
	s_waitcnt vmcnt(0)
	ds_write2_b64 v29, v[22:23], v[24:25] offset1:1
	s_branch .LBB133_21
.LBB133_24:                             ;   in Loop: Header=BB133_17 Depth=2
	s_or_b64 exec, exec, s[30:31]
.LBB133_25:                             ;   in Loop: Header=BB133_17 Depth=2
	s_waitcnt lgkmcnt(0)
	s_barrier
	s_and_saveexec_b64 s[8:9], s[6:7]
	s_cbranch_execz .LBB133_16
.LBB133_26:                             ;   in Loop: Header=BB133_17 Depth=2
	v_add_u32_e32 v84, s37, v63
	v_min_u32_e32 v60, s42, v84
	v_lshl_add_u64 v[0:1], v[60:61], 1, s[14:15]
	v_add_u32_e32 v83, 0x100, v84
	v_lshl_add_u64 v[2:3], v[0:1], 0, v[66:67]
	v_lshl_add_u64 v[0:1], v[0:1], 0, v[68:69]
	v_min_u32_e32 v60, s42, v83
	global_load_dwordx4 v[28:31], v[2:3], off nt
	global_load_dwordx4 v[20:23], v[0:1], off nt
	v_lshl_add_u64 v[0:1], v[60:61], 1, s[14:15]
	v_lshl_add_u64 v[8:9], v[0:1], 0, v[66:67]
	;; [unrolled: 1-line block ×3, first 2 shown]
	global_load_dwordx4 v[4:7], v[8:9], off nt
	global_load_dwordx4 v[0:3], v[10:11], off nt
	v_cmp_gt_u32_e32 vcc, s20, v84
	v_mov_b32_e32 v52, 0
	v_mov_b32_e32 v53, 0
	;; [unrolled: 1-line block ×24, first 2 shown]
	s_waitcnt vmcnt(8)
	v_mov_b32_e32 v24, 0
	v_mov_b32_e32 v25, 0
	v_mov_b32_e32 v26, 0
	v_mov_b32_e32 v27, 0
	v_mov_b32_e32 v16, 0
	v_mov_b32_e32 v17, 0
	v_mov_b32_e32 v18, 0
	v_mov_b32_e32 v19, 0
	v_mov_b32_e32 v12, 0
	v_mov_b32_e32 v13, 0
	v_mov_b32_e32 v14, 0
	v_mov_b32_e32 v15, 0
	v_mov_b32_e32 v8, 0
	v_mov_b32_e32 v9, 0
	v_mov_b32_e32 v10, 0
	v_mov_b32_e32 v11, 0
	s_and_saveexec_b64 s[30:31], vcc
	s_cbranch_execz .LBB133_15
; %bb.27:                               ;   in Loop: Header=BB133_17 Depth=2
	v_subrev_u32_e32 v8, s36, v84
	v_lshlrev_b32_e32 v87, 1, v8
	v_add_u32_e32 v86, s53, v87
	v_add_u32_e32 v85, s53, v86
	;; [unrolled: 1-line block ×4, first 2 shown]
	ds_read_b128 v[52:55], v87
	ds_read_b128 v[48:51], v86
	;; [unrolled: 1-line block ×5, first 2 shown]
	v_cmp_gt_u32_e32 vcc, s20, v83
	v_mov_b32_e32 v11, 0
	v_mov_b32_e32 v10, 0
	;; [unrolled: 1-line block ×20, first 2 shown]
	s_and_saveexec_b64 s[34:35], vcc
	s_cbranch_execz .LBB133_14
; %bb.28:                               ;   in Loop: Header=BB133_17 Depth=2
	ds_read_b128 v[32:35], v87 offset:512
	ds_read_b128 v[24:27], v86 offset:512
	;; [unrolled: 1-line block ×4, first 2 shown]
	ds_read2_b64 v[8:11], v60 offset0:64 offset1:65
	s_branch .LBB133_14
.LBB133_29:                             ;   in Loop: Header=BB133_12 Depth=1
	v_cmp_le_u32_e32 vcc, s23, v58
	s_and_saveexec_b64 s[6:7], vcc
	s_xor_b64 s[6:7], exec, s[6:7]
; %bb.30:                               ;   in Loop: Header=BB133_12 Depth=1
	v_add_u32_e32 v58, s44, v58
                                        ; implicit-def: $vgpr82
                                        ; implicit-def: $vgpr81
                                        ; implicit-def: $vgpr80
                                        ; implicit-def: $vgpr79
                                        ; implicit-def: $vgpr59
                                        ; implicit-def: $vgpr74
                                        ; implicit-def: $vgpr75
                                        ; implicit-def: $vgpr76
                                        ; implicit-def: $vgpr77
                                        ; implicit-def: $vgpr78
; %bb.31:                               ;   in Loop: Header=BB133_12 Depth=1
	s_andn2_saveexec_b64 s[8:9], s[6:7]
	s_cbranch_execz .LBB133_11
; %bb.32:                               ;   in Loop: Header=BB133_12 Depth=1
	v_cvt_i32_f32_e32 v0, v82
	v_cvt_i32_f32_e32 v1, v81
	v_cvt_i32_f32_e32 v2, v80
	v_cvt_i32_f32_e32 v3, v79
	v_cvt_f32_i32_dpp v0, v0 row_shr:8 row_mask:0xf bank_mask:0xf bound_ctrl:1
	v_cvt_f32_i32_dpp v1, v1 row_shr:8 row_mask:0xf bank_mask:0xf bound_ctrl:1
	;; [unrolled: 1-line block ×4, first 2 shown]
	v_add_f32_e32 v0, v82, v0
	v_add_f32_e32 v1, v81, v1
	v_cvt_i32_f32_e32 v4, v0
	v_cvt_i32_f32_e32 v5, v1
	v_add_f32_e32 v2, v80, v2
	v_cvt_i32_f32_e32 v6, v2
	v_cvt_f32_i32_dpp v4, v4 row_shr:4 row_mask:0xf bank_mask:0xf bound_ctrl:1
	v_cvt_f32_i32_dpp v5, v5 row_shr:4 row_mask:0xf bank_mask:0xf bound_ctrl:1
	v_add_f32_e32 v3, v79, v3
	v_cvt_f32_i32_dpp v6, v6 row_shr:4 row_mask:0xf bank_mask:0xf bound_ctrl:1
	v_add_f32_e32 v0, v0, v4
	v_add_f32_e32 v1, v1, v5
	v_cvt_i32_f32_e32 v4, v0
	v_cvt_i32_f32_e32 v5, v1
	v_add_f32_e32 v2, v2, v6
	v_cvt_i32_f32_e32 v6, v2
	v_cvt_f32_i32_dpp v4, v4 row_shr:2 row_mask:0xf bank_mask:0xf bound_ctrl:1
	v_cvt_f32_i32_dpp v5, v5 row_shr:2 row_mask:0xf bank_mask:0xf bound_ctrl:1
	v_cvt_i32_f32_e32 v7, v3
	v_cvt_f32_i32_dpp v6, v6 row_shr:2 row_mask:0xf bank_mask:0xf bound_ctrl:1
	v_add_f32_e32 v0, v0, v4
	v_add_f32_e32 v1, v1, v5
	v_cvt_i32_f32_e32 v4, v0
	v_cvt_i32_f32_e32 v5, v1
	v_add_f32_e32 v2, v2, v6
	v_cvt_i32_f32_e32 v6, v2
	v_cvt_f32_i32_dpp v4, v4 row_shr:1 row_mask:0xf bank_mask:0xf bound_ctrl:1
	v_cvt_f32_i32_dpp v5, v5 row_shr:1 row_mask:0xf bank_mask:0xf bound_ctrl:1
	;; [unrolled: 1-line block ×4, first 2 shown]
	v_add_f32_e32 v0, v0, v4
	v_add_f32_e32 v5, v1, v5
	v_cvt_i32_f32_e32 v4, v0
	v_cvt_i32_f32_e32 v1, v5
	v_add_f32_e32 v6, v2, v6
	v_add_f32_e32 v3, v3, v7
	v_cvt_f32_i32_dpp v4, v4 row_bcast:15 row_mask:0xf bank_mask:0xf bound_ctrl:1
	v_cvt_f32_i32_dpp v8, v1 row_bcast:15 row_mask:0xf bank_mask:0xf bound_ctrl:1
	v_cvt_i32_f32_e32 v7, v3
	v_cvt_i32_f32_e32 v10, v77
	v_add_f32_e32 v1, v0, v4
	v_add_f32_e32 v0, v5, v8
	v_cvt_i32_f32_e32 v5, v78
	v_cvt_i32_f32_e32 v8, v6
	v_cvt_f32_i32_dpp v7, v7 row_shr:2 row_mask:0xf bank_mask:0xf bound_ctrl:1
	v_cvt_i32_f32_e32 v4, v1
	v_cvt_f32_i32_dpp v5, v5 row_shr:8 row_mask:0xf bank_mask:0xf bound_ctrl:1
	v_cvt_f32_i32_dpp v8, v8 row_bcast:15 row_mask:0xf bank_mask:0xf bound_ctrl:1
	v_add_f32_e32 v7, v3, v7
	v_cvt_i32_f32_e32 v11, v7
	v_add_f32_e32 v5, v78, v5
	v_cvt_i32_f32_e32 v9, v5
	v_add_f32_e32 v3, v6, v8
	v_cvt_f32_i32_dpp v6, v10 row_shr:8 row_mask:0xf bank_mask:0xf bound_ctrl:1
	v_cvt_f32_i32_dpp v8, v11 row_shr:1 row_mask:0xf bank_mask:0xf bound_ctrl:1
	;; [unrolled: 1-line block ×3, first 2 shown]
	v_cvt_i32_f32_e32 v11, v3
	v_add_f32_e32 v6, v77, v6
	v_cvt_i32_f32_e32 v10, v6
	v_add_f32_e32 v5, v5, v9
	;; [unrolled: 2-line block ×3, first 2 shown]
	v_cvt_f32_i32_dpp v8, v10 row_shr:4 row_mask:0xf bank_mask:0xf bound_ctrl:1
	v_cvt_i32_f32_e32 v10, v7
	v_cvt_f32_i32_dpp v9, v9 row_shr:2 row_mask:0xf bank_mask:0xf bound_ctrl:1
	v_cvt_i32_f32_e32 v2, v0
	v_add_f32_e32 v6, v6, v8
	v_cvt_i32_f32_e32 v8, v6
	v_add_f32_e32 v9, v5, v9
	v_cvt_i32_f32_e32 v5, v9
	v_cvt_f32_i32_dpp v12, v10 row_bcast:15 row_mask:0xf bank_mask:0xf bound_ctrl:1
	v_cvt_f32_i32_dpp v8, v8 row_shr:2 row_mask:0xf bank_mask:0xf bound_ctrl:1
	v_mov_b32_dpp v10, v11 row_bcast:31 row_mask:0xf bank_mask:0xf bound_ctrl:1
	v_cvt_f32_i32_dpp v13, v5 row_shr:1 row_mask:0xf bank_mask:0xf bound_ctrl:1
	v_add_f32_e32 v5, v7, v12
	v_add_f32_e32 v6, v6, v8
	v_cvt_i32_f32_e32 v8, v6
	v_add_f32_e32 v7, v9, v13
	v_cvt_i32_f32_e32 v9, v76
	v_cvt_i32_f32_e32 v11, v7
	v_cvt_f32_i32_dpp v8, v8 row_shr:1 row_mask:0xf bank_mask:0xf bound_ctrl:1
	v_cvt_i32_f32_e32 v12, v5
	v_cvt_f32_i32_dpp v9, v9 row_shr:8 row_mask:0xf bank_mask:0xf bound_ctrl:1
	v_cvt_f32_i32_dpp v11, v11 row_bcast:15 row_mask:0xf bank_mask:0xf bound_ctrl:1
	v_add_f32_e32 v8, v6, v8
	v_cvt_i32_f32_e32 v14, v8
	v_add_f32_e32 v9, v76, v9
	v_cvt_i32_f32_e32 v13, v9
	;; [unrolled: 2-line block ×3, first 2 shown]
	v_cvt_f32_i32_dpp v7, v14 row_bcast:15 row_mask:0xf bank_mask:0xf bound_ctrl:1
	v_cvt_f32_i32_dpp v13, v13 row_shr:4 row_mask:0xf bank_mask:0xf bound_ctrl:1
	v_cvt_i32_f32_e32 v14, v6
	v_cvt_f32_i32_dpp v11, v11 row_shr:8 row_mask:0xf bank_mask:0xf bound_ctrl:1
	v_add_f32_e32 v7, v8, v7
	v_add_f32_e32 v9, v9, v13
	v_cvt_i32_f32_e32 v13, v9
	v_add_f32_e32 v11, v75, v11
	v_cvt_i32_f32_e32 v15, v11
	v_mov_b32_dpp v4, v4 row_bcast:31 row_mask:0xf bank_mask:0xf bound_ctrl:1
	v_cvt_f32_i32_dpp v8, v13 row_shr:2 row_mask:0xf bank_mask:0xf bound_ctrl:1
	v_cvt_i32_f32_e32 v13, v7
	v_cvt_f32_i32_dpp v15, v15 row_shr:4 row_mask:0xf bank_mask:0xf bound_ctrl:1
	v_mov_b32_dpp v2, v2 row_bcast:31 row_mask:0xf bank_mask:0xf bound_ctrl:1
	v_add_f32_e32 v8, v9, v8
	v_cvt_i32_f32_e32 v16, v8
	v_mov_b32_dpp v9, v13 row_bcast:31 row_mask:0xf bank_mask:0xf bound_ctrl:1
	v_add_f32_e32 v11, v11, v15
	v_cvt_i32_f32_e32 v15, v59
	v_cvt_f32_i32_dpp v13, v16 row_shr:1 row_mask:0xf bank_mask:0xf bound_ctrl:1
	v_cvt_i32_f32_e32 v16, v74
	v_cvt_i32_f32_e32 v17, v11
	v_mov_b32_dpp v12, v12 row_bcast:31 row_mask:0xf bank_mask:0xf bound_ctrl:1
	v_add_f32_e32 v8, v8, v13
	v_cvt_f32_i32_dpp v16, v16 row_shr:8 row_mask:0xf bank_mask:0xf bound_ctrl:1
	v_cvt_f32_i32_dpp v13, v15 row_shr:8 row_mask:0xf bank_mask:0xf bound_ctrl:1
	v_cvt_f32_i32_dpp v15, v17 row_shr:2 row_mask:0xf bank_mask:0xf bound_ctrl:1
	v_cvt_i32_f32_e32 v19, v8
	v_add_f32_e32 v16, v74, v16
	v_add_f32_e32 v13, v59, v13
	v_cvt_i32_f32_e32 v17, v16
	v_cvt_i32_f32_e32 v18, v13
	v_add_f32_e32 v11, v11, v15
	v_cvt_f32_i32_dpp v19, v19 row_bcast:15 row_mask:0xf bank_mask:0xf bound_ctrl:1
	v_cvt_f32_i32_dpp v17, v17 row_shr:4 row_mask:0xf bank_mask:0xf bound_ctrl:1
	v_cvt_f32_i32_dpp v15, v18 row_shr:4 row_mask:0xf bank_mask:0xf bound_ctrl:1
	v_cvt_i32_f32_e32 v18, v11
	v_mov_b32_dpp v14, v14 row_bcast:31 row_mask:0xf bank_mask:0xf bound_ctrl:1
	v_add_f32_e32 v16, v16, v17
	v_add_f32_e32 v13, v13, v15
	v_cvt_i32_f32_e32 v17, v16
	v_cvt_i32_f32_e32 v15, v13
	v_cvt_f32_i32_dpp v18, v18 row_shr:1 row_mask:0xf bank_mask:0xf bound_ctrl:1
	v_cvt_f32_i32_dpp v17, v17 row_shr:2 row_mask:0xf bank_mask:0xf bound_ctrl:1
	;; [unrolled: 1-line block ×3, first 2 shown]
	v_add_f32_e32 v11, v11, v18
	v_cvt_i32_f32_e32 v18, v11
	v_add_f32_e32 v16, v16, v17
	v_add_f32_e32 v13, v13, v15
	v_cvt_i32_f32_e32 v17, v16
	v_cvt_i32_f32_e32 v15, v13
	s_waitcnt vmcnt(0)
	v_cvt_f32_i32_dpp v20, v17 row_shr:1 row_mask:0xf bank_mask:0xf bound_ctrl:1
	v_add_f32_e32 v17, v8, v19
	v_cvt_f32_i32_dpp v8, v15 row_shr:1 row_mask:0xf bank_mask:0xf bound_ctrl:1
	v_cvt_f32_i32_dpp v15, v18 row_bcast:15 row_mask:0xf bank_mask:0xf bound_ctrl:1
	v_add_f32_e32 v18, v16, v20
	v_cvt_i32_f32_e32 v16, v18
	v_add_f32_e32 v8, v13, v8
	v_cvt_i32_f32_e32 v13, v8
	v_cvt_i32_f32_e32 v19, v17
	v_cvt_f32_i32_dpp v20, v16 row_bcast:15 row_mask:0xf bank_mask:0xf bound_ctrl:1
	v_add_f32_e32 v16, v11, v15
	v_cvt_f32_i32_dpp v11, v13 row_bcast:15 row_mask:0xf bank_mask:0xf bound_ctrl:1
	v_cvt_i32_f32_e32 v15, v16
	v_add_f32_e32 v13, v18, v20
	v_cvt_i32_f32_e32 v20, v13
	v_add_f32_e32 v8, v8, v11
	v_cvt_i32_f32_e32 v11, v8
	v_mov_b32_dpp v19, v19 row_bcast:31 row_mask:0xf bank_mask:0xf bound_ctrl:1
	v_mov_b32_dpp v18, v15 row_bcast:31 row_mask:0xf bank_mask:0xf bound_ctrl:1
	;; [unrolled: 1-line block ×4, first 2 shown]
	s_and_saveexec_b64 s[30:31], s[0:1]
	s_cbranch_execz .LBB133_46
; %bb.33:                               ;   in Loop: Header=BB133_12 Depth=1
	s_andn2_b64 vcc, exec, s[26:27]
	v_mov_b32_e32 v29, 0
	v_mov_b32_e32 v28, 0
	;; [unrolled: 1-line block ×10, first 2 shown]
	s_cbranch_vccnz .LBB133_35
; %bb.34:                               ;   in Loop: Header=BB133_12 Depth=1
	v_mul_hi_u32 v20, v58, v70
	v_mul_lo_u32 v20, v20, s12
	v_sub_u32_e32 v20, v58, v20
	v_add_u32_e32 v22, 1, v58
	v_subrev_u32_e32 v21, s12, v20
	v_cmp_le_u32_e32 vcc, s12, v20
	v_mul_hi_u32 v23, v22, v70
	v_mul_lo_u32 v23, v23, s12
	v_cndmask_b32_e32 v20, v20, v21, vcc
	v_subrev_u32_e32 v21, s12, v20
	v_cmp_le_u32_e32 vcc, s12, v20
	v_sub_u32_e32 v22, v22, v23
	v_subrev_u32_e32 v23, s12, v22
	v_cndmask_b32_e32 v60, v20, v21, vcc
	v_cmp_le_u32_e32 vcc, s12, v22
	v_lshl_add_u64 v[20:21], v[60:61], 1, s[18:19]
	v_mov_b32_e32 v31, v61
	v_cndmask_b32_e32 v22, v22, v23, vcc
	v_subrev_u32_e32 v23, s12, v22
	v_cmp_le_u32_e32 vcc, s12, v22
	s_nop 1
	v_cndmask_b32_e32 v30, v22, v23, vcc
	v_add_u32_e32 v22, s45, v60
	v_mov_b32_e32 v23, v61
	v_lshl_add_u64 v[34:35], v[22:23], 1, s[18:19]
	v_add_u32_e32 v22, s45, v30
	v_lshl_add_u64 v[36:37], v[22:23], 1, s[18:19]
	v_add_u32_e32 v22, s46, v60
	;; [unrolled: 2-line block ×5, first 2 shown]
	v_lshl_add_u64 v[32:33], v[30:31], 1, s[18:19]
	v_lshl_add_u64 v[44:45], v[22:23], 1, s[18:19]
	global_load_ushort v29, v[20:21], off
	global_load_ushort v28, v[32:33], off
	;; [unrolled: 1-line block ×8, first 2 shown]
	v_add_u32_e32 v60, s48, v60
	v_lshl_add_u64 v[32:33], v[60:61], 1, s[18:19]
	v_add_u32_e32 v60, s48, v30
	v_lshl_add_u64 v[30:31], v[60:61], 1, s[18:19]
	global_load_ushort v21, v[32:33], off
	global_load_ushort v20, v[30:31], off
.LBB133_35:                             ;   in Loop: Header=BB133_12 Depth=1
	v_cmp_ne_u32_e32 vcc, 0, v56
	s_and_saveexec_b64 s[6:7], vcc
	s_cbranch_execnz .LBB133_51
; %bb.36:                               ;   in Loop: Header=BB133_12 Depth=1
	s_or_b64 exec, exec, s[6:7]
	v_cmp_ne_u32_e64 s[6:7], 0, v57
	s_and_saveexec_b64 s[34:35], s[6:7]
	s_cbranch_execnz .LBB133_52
.LBB133_37:                             ;   in Loop: Header=BB133_12 Depth=1
	s_or_b64 exec, exec, s[34:35]
	v_add_u32_e32 v60, s23, v58
	s_and_saveexec_b64 s[34:35], vcc
	s_cbranch_execnz .LBB133_53
.LBB133_38:                             ;   in Loop: Header=BB133_12 Depth=1
	s_or_b64 exec, exec, s[34:35]
	s_and_saveexec_b64 s[34:35], s[6:7]
	s_cbranch_execnz .LBB133_54
.LBB133_39:                             ;   in Loop: Header=BB133_12 Depth=1
	s_or_b64 exec, exec, s[34:35]
	v_add_u32_e32 v60, s23, v60
	s_and_saveexec_b64 s[34:35], vcc
	s_cbranch_execnz .LBB133_55
.LBB133_40:                             ;   in Loop: Header=BB133_12 Depth=1
	s_or_b64 exec, exec, s[34:35]
	s_and_saveexec_b64 s[34:35], s[6:7]
	s_cbranch_execnz .LBB133_56
.LBB133_41:                             ;   in Loop: Header=BB133_12 Depth=1
	s_or_b64 exec, exec, s[34:35]
	v_add_u32_e32 v60, s23, v60
	s_and_saveexec_b64 s[34:35], vcc
	s_cbranch_execnz .LBB133_57
.LBB133_42:                             ;   in Loop: Header=BB133_12 Depth=1
	s_or_b64 exec, exec, s[34:35]
	s_and_saveexec_b64 s[34:35], s[6:7]
	s_cbranch_execnz .LBB133_58
.LBB133_43:                             ;   in Loop: Header=BB133_12 Depth=1
	s_or_b64 exec, exec, s[34:35]
	v_add_u32_e32 v60, s23, v60
	s_and_saveexec_b64 s[34:35], vcc
	s_cbranch_execnz .LBB133_59
.LBB133_44:                             ;   in Loop: Header=BB133_12 Depth=1
	s_or_b64 exec, exec, s[34:35]
	s_and_b64 exec, exec, s[6:7]
	s_cbranch_execz .LBB133_46
.LBB133_45:                             ;   in Loop: Header=BB133_12 Depth=1
	v_cvt_f32_i32_e32 v0, v11
	s_waitcnt vmcnt(0)
	v_cvt_f32_f16_e32 v1, v20
	v_add_u32_e32 v60, 1, v60
	v_add_f32_e32 v0, v8, v0
	v_add_f32_e32 v0, v0, v1
	v_cvt_f16_f32_e32 v2, v0
	v_lshl_add_u64 v[0:1], v[60:61], 1, s[10:11]
	global_store_short v[0:1], v2, off
.LBB133_46:                             ;   in Loop: Header=BB133_12 Depth=1
	s_or_b64 exec, exec, s[30:31]
	v_add_u32_e32 v58, s44, v58
	v_add_u32_e32 v0, 2, v58
	v_cmp_gt_u32_e32 vcc, s23, v58
	v_cmp_le_u32_e64 s[6:7], s23, v0
	s_and_b64 s[6:7], vcc, s[6:7]
	s_and_saveexec_b64 s[30:31], s[6:7]
	s_cbranch_execz .LBB133_10
; %bb.47:                               ;   in Loop: Header=BB133_12 Depth=1
	v_cmp_ne_u32_e32 vcc, s13, v58
	s_and_saveexec_b64 s[34:35], vcc
	s_cbranch_execz .LBB133_9
; %bb.48:                               ;   in Loop: Header=BB133_12 Depth=1
	v_subrev_u32_e32 v0, s13, v58
	v_cmp_lt_u32_e32 vcc, 1, v0
	s_mov_b64 s[36:37], 0
	s_mov_b64 s[38:39], 0
	v_cndmask_b32_e32 v0, 1, v0, vcc
.LBB133_49:                             ;   Parent Loop BB133_12 Depth=1
                                        ; =>  This Inner Loop Header: Depth=2
	s_cmp_lg_u32 s38, 1
	s_cselect_b64 vcc, -1, 0
	s_cmp_lg_u32 s38, 0
	v_cndmask_b32_e32 v57, 0, v57, vcc
	s_cselect_b64 vcc, -1, 0
	s_add_u32 s38, s38, 1
	s_addc_u32 s39, s39, 0
	v_cmp_eq_u32_e64 s[6:7], s38, v0
	s_or_b64 s[36:37], s[6:7], s[36:37]
	v_cndmask_b32_e32 v56, 0, v56, vcc
	s_andn2_b64 exec, exec, s[36:37]
	s_cbranch_execnz .LBB133_49
; %bb.50:                               ;   in Loop: Header=BB133_12 Depth=1
	s_or_b64 exec, exec, s[36:37]
	s_branch .LBB133_9
.LBB133_51:                             ;   in Loop: Header=BB133_12 Depth=1
	v_cvt_f32_i32_e32 v4, v4
	s_waitcnt vmcnt(9)
	v_cvt_f32_f16_e32 v29, v29
	v_mov_b32_e32 v59, v61
	v_lshl_add_u64 v[30:31], v[58:59], 1, s[10:11]
	v_add_f32_e32 v1, v1, v4
	v_add_f32_e32 v1, v1, v29
	v_cvt_f16_f32_e32 v1, v1
	global_store_short v[30:31], v1, off
	s_or_b64 exec, exec, s[6:7]
	v_cmp_ne_u32_e64 s[6:7], 0, v57
	s_and_saveexec_b64 s[34:35], s[6:7]
	s_cbranch_execz .LBB133_37
.LBB133_52:                             ;   in Loop: Header=BB133_12 Depth=1
	v_cvt_f32_i32_e32 v1, v2
	s_waitcnt vmcnt(8)
	v_cvt_f32_f16_e32 v2, v28
	v_mov_b32_e32 v59, v61
	v_add_f32_e32 v0, v0, v1
	v_add_f32_e32 v0, v0, v2
	v_cvt_f16_f32_e32 v2, v0
	v_lshl_add_u64 v[0:1], v[58:59], 1, s[28:29]
	global_store_short v[0:1], v2, off
	s_or_b64 exec, exec, s[34:35]
	v_add_u32_e32 v60, s23, v58
	s_and_saveexec_b64 s[34:35], vcc
	s_cbranch_execz .LBB133_38
.LBB133_53:                             ;   in Loop: Header=BB133_12 Depth=1
	v_cvt_f32_i32_e32 v0, v10
	s_waitcnt vmcnt(7)
	v_cvt_f32_f16_e32 v1, v27
	v_add_f32_e32 v0, v3, v0
	v_add_f32_e32 v0, v0, v1
	v_cvt_f16_f32_e32 v2, v0
	v_lshl_add_u64 v[0:1], v[60:61], 1, s[10:11]
	global_store_short v[0:1], v2, off
	s_or_b64 exec, exec, s[34:35]
	s_and_saveexec_b64 s[34:35], s[6:7]
	s_cbranch_execz .LBB133_39
.LBB133_54:                             ;   in Loop: Header=BB133_12 Depth=1
	v_cvt_f32_i32_e32 v0, v12
	s_waitcnt vmcnt(6)
	v_cvt_f32_f16_e32 v1, v26
	v_add_f32_e32 v0, v5, v0
	v_add_f32_e32 v0, v0, v1
	v_cvt_f16_f32_e32 v2, v0
	v_add_u32_e32 v0, 1, v60
	v_mov_b32_e32 v1, v61
	v_lshl_add_u64 v[0:1], v[0:1], 1, s[10:11]
	global_store_short v[0:1], v2, off
	s_or_b64 exec, exec, s[34:35]
	v_add_u32_e32 v60, s23, v60
	s_and_saveexec_b64 s[34:35], vcc
	s_cbranch_execz .LBB133_40
.LBB133_55:                             ;   in Loop: Header=BB133_12 Depth=1
	v_cvt_f32_i32_e32 v0, v14
	s_waitcnt vmcnt(5)
	v_cvt_f32_f16_e32 v1, v25
	v_add_f32_e32 v0, v6, v0
	v_add_f32_e32 v0, v0, v1
	v_cvt_f16_f32_e32 v2, v0
	v_lshl_add_u64 v[0:1], v[60:61], 1, s[10:11]
	global_store_short v[0:1], v2, off
	s_or_b64 exec, exec, s[34:35]
	s_and_saveexec_b64 s[34:35], s[6:7]
	s_cbranch_execz .LBB133_41
.LBB133_56:                             ;   in Loop: Header=BB133_12 Depth=1
	v_cvt_f32_i32_e32 v0, v9
	s_waitcnt vmcnt(4)
	v_cvt_f32_f16_e32 v1, v24
	v_add_f32_e32 v0, v7, v0
	v_add_f32_e32 v0, v0, v1
	v_cvt_f16_f32_e32 v2, v0
	v_add_u32_e32 v0, 1, v60
	v_mov_b32_e32 v1, v61
	v_lshl_add_u64 v[0:1], v[0:1], 1, s[10:11]
	global_store_short v[0:1], v2, off
	s_or_b64 exec, exec, s[34:35]
	v_add_u32_e32 v60, s23, v60
	s_and_saveexec_b64 s[34:35], vcc
	s_cbranch_execz .LBB133_42
.LBB133_57:                             ;   in Loop: Header=BB133_12 Depth=1
	v_cvt_f32_i32_e32 v0, v19
	s_waitcnt vmcnt(3)
	v_cvt_f32_f16_e32 v1, v23
	v_add_f32_e32 v0, v17, v0
	v_add_f32_e32 v0, v0, v1
	v_cvt_f16_f32_e32 v2, v0
	v_lshl_add_u64 v[0:1], v[60:61], 1, s[10:11]
	global_store_short v[0:1], v2, off
	s_or_b64 exec, exec, s[34:35]
	s_and_saveexec_b64 s[34:35], s[6:7]
	s_cbranch_execz .LBB133_43
.LBB133_58:                             ;   in Loop: Header=BB133_12 Depth=1
	v_cvt_f32_i32_e32 v0, v18
	s_waitcnt vmcnt(2)
	v_cvt_f32_f16_e32 v1, v22
	v_add_f32_e32 v0, v16, v0
	v_add_f32_e32 v0, v0, v1
	v_cvt_f16_f32_e32 v2, v0
	v_add_u32_e32 v0, 1, v60
	v_mov_b32_e32 v1, v61
	v_lshl_add_u64 v[0:1], v[0:1], 1, s[10:11]
	global_store_short v[0:1], v2, off
	s_or_b64 exec, exec, s[34:35]
	v_add_u32_e32 v60, s23, v60
	s_and_saveexec_b64 s[34:35], vcc
	s_cbranch_execz .LBB133_44
.LBB133_59:                             ;   in Loop: Header=BB133_12 Depth=1
	v_cvt_f32_i32_e32 v0, v15
	s_waitcnt vmcnt(1)
	v_cvt_f32_f16_e32 v1, v21
	v_add_f32_e32 v0, v13, v0
	v_add_f32_e32 v0, v0, v1
	v_cvt_f16_f32_e32 v2, v0
	v_lshl_add_u64 v[0:1], v[60:61], 1, s[10:11]
	global_store_short v[0:1], v2, off
	s_or_b64 exec, exec, s[34:35]
	s_and_b64 exec, exec, s[6:7]
	s_cbranch_execnz .LBB133_45
	s_branch .LBB133_46
.LBB133_60:
	s_endpgm
	.section	.rodata,"a",@progbits
	.p2align	6, 0x0
	.amdhsa_kernel _Z16wvSplitK_hf_big_I6__halfLi32ELi2ELi16ELi8ELi2ELi5EEviiiiiiPKT_S3_S3_PS1_ii
		.amdhsa_group_segment_fixed_size 65536
		.amdhsa_private_segment_fixed_size 0
		.amdhsa_kernarg_size 64
		.amdhsa_user_sgpr_count 2
		.amdhsa_user_sgpr_dispatch_ptr 0
		.amdhsa_user_sgpr_queue_ptr 0
		.amdhsa_user_sgpr_kernarg_segment_ptr 1
		.amdhsa_user_sgpr_dispatch_id 0
		.amdhsa_user_sgpr_kernarg_preload_length 0
		.amdhsa_user_sgpr_kernarg_preload_offset 0
		.amdhsa_user_sgpr_private_segment_size 0
		.amdhsa_uses_dynamic_stack 0
		.amdhsa_enable_private_segment 0
		.amdhsa_system_sgpr_workgroup_id_x 1
		.amdhsa_system_sgpr_workgroup_id_y 0
		.amdhsa_system_sgpr_workgroup_id_z 0
		.amdhsa_system_sgpr_workgroup_info 0
		.amdhsa_system_vgpr_workitem_id 1
		.amdhsa_next_free_vgpr 88
		.amdhsa_next_free_sgpr 56
		.amdhsa_accum_offset 88
		.amdhsa_reserve_vcc 1
		.amdhsa_float_round_mode_32 0
		.amdhsa_float_round_mode_16_64 0
		.amdhsa_float_denorm_mode_32 3
		.amdhsa_float_denorm_mode_16_64 3
		.amdhsa_dx10_clamp 1
		.amdhsa_ieee_mode 1
		.amdhsa_fp16_overflow 0
		.amdhsa_tg_split 0
		.amdhsa_exception_fp_ieee_invalid_op 0
		.amdhsa_exception_fp_denorm_src 0
		.amdhsa_exception_fp_ieee_div_zero 0
		.amdhsa_exception_fp_ieee_overflow 0
		.amdhsa_exception_fp_ieee_underflow 0
		.amdhsa_exception_fp_ieee_inexact 0
		.amdhsa_exception_int_div_zero 0
	.end_amdhsa_kernel
	.section	.text._Z16wvSplitK_hf_big_I6__halfLi32ELi2ELi16ELi8ELi2ELi5EEviiiiiiPKT_S3_S3_PS1_ii,"axG",@progbits,_Z16wvSplitK_hf_big_I6__halfLi32ELi2ELi16ELi8ELi2ELi5EEviiiiiiPKT_S3_S3_PS1_ii,comdat
.Lfunc_end133:
	.size	_Z16wvSplitK_hf_big_I6__halfLi32ELi2ELi16ELi8ELi2ELi5EEviiiiiiPKT_S3_S3_PS1_ii, .Lfunc_end133-_Z16wvSplitK_hf_big_I6__halfLi32ELi2ELi16ELi8ELi2ELi5EEviiiiiiPKT_S3_S3_PS1_ii
                                        ; -- End function
	.section	.AMDGPU.csdata,"",@progbits
; Kernel info:
; codeLenInByte = 4728
; NumSgprs: 62
; NumVgprs: 88
; NumAgprs: 0
; TotalNumVgprs: 88
; ScratchSize: 0
; MemoryBound: 0
; FloatMode: 240
; IeeeMode: 1
; LDSByteSize: 65536 bytes/workgroup (compile time only)
; SGPRBlocks: 7
; VGPRBlocks: 10
; NumSGPRsForWavesPerEU: 62
; NumVGPRsForWavesPerEU: 88
; AccumOffset: 88
; Occupancy: 2
; WaveLimiterHint : 0
; COMPUTE_PGM_RSRC2:SCRATCH_EN: 0
; COMPUTE_PGM_RSRC2:USER_SGPR: 2
; COMPUTE_PGM_RSRC2:TRAP_HANDLER: 0
; COMPUTE_PGM_RSRC2:TGID_X_EN: 1
; COMPUTE_PGM_RSRC2:TGID_Y_EN: 0
; COMPUTE_PGM_RSRC2:TGID_Z_EN: 0
; COMPUTE_PGM_RSRC2:TIDIG_COMP_CNT: 1
; COMPUTE_PGM_RSRC3_GFX90A:ACCUM_OFFSET: 21
; COMPUTE_PGM_RSRC3_GFX90A:TG_SPLIT: 0
	.section	.text._Z16wvSplitK_hf_sml_I6__halfLi32ELi3ELi16ELi8ELi2ELi5EEviiiiiiPKT_S3_S3_PS1_ii,"axG",@progbits,_Z16wvSplitK_hf_sml_I6__halfLi32ELi3ELi16ELi8ELi2ELi5EEviiiiiiPKT_S3_S3_PS1_ii,comdat
	.protected	_Z16wvSplitK_hf_sml_I6__halfLi32ELi3ELi16ELi8ELi2ELi5EEviiiiiiPKT_S3_S3_PS1_ii ; -- Begin function _Z16wvSplitK_hf_sml_I6__halfLi32ELi3ELi16ELi8ELi2ELi5EEviiiiiiPKT_S3_S3_PS1_ii
	.globl	_Z16wvSplitK_hf_sml_I6__halfLi32ELi3ELi16ELi8ELi2ELi5EEviiiiiiPKT_S3_S3_PS1_ii
	.p2align	8
	.type	_Z16wvSplitK_hf_sml_I6__halfLi32ELi3ELi16ELi8ELi2ELi5EEviiiiiiPKT_S3_S3_PS1_ii,@function
_Z16wvSplitK_hf_sml_I6__halfLi32ELi3ELi16ELi8ELi2ELi5EEviiiiiiPKT_S3_S3_PS1_ii: ; @_Z16wvSplitK_hf_sml_I6__halfLi32ELi3ELi16ELi8ELi2ELi5EEviiiiiiPKT_S3_S3_PS1_ii
; %bb.0:
	s_load_dwordx4 s[4:7], s[0:1], 0x0
	v_and_b32_e32 v4, 0x3ff, v0
	v_bfe_u32 v5, v0, 10, 10
	v_lshlrev_b32_e32 v78, 3, v4
	v_lshl_add_u32 v6, v5, 8, v78
	s_waitcnt lgkmcnt(0)
	s_mul_i32 s3, s6, 5
	s_min_u32 s3, s3, 0x8000
	v_cmp_gt_u32_e32 vcc, s3, v6
	s_and_saveexec_b64 s[8:9], vcc
	s_cbranch_execz .LBB134_9
; %bb.1:
	s_load_dwordx2 s[10:11], s[0:1], 0x20
	v_lshlrev_b32_e32 v0, 1, v6
	v_add_u32_e32 v1, 0x1000, v6
	v_cmp_gt_u32_e32 vcc, s3, v1
	s_waitcnt lgkmcnt(0)
	global_load_dwordx4 v[8:11], v0, s[10:11]
	s_waitcnt vmcnt(0)
	ds_write_b128 v0, v[8:11]
	s_and_saveexec_b64 s[12:13], vcc
	s_xor_b64 s[12:13], exec, s[12:13]
	s_cbranch_execz .LBB134_9
; %bb.2:
	v_mov_b32_e32 v1, 0
	v_lshl_add_u64 v[2:3], s[10:11], 0, v[0:1]
	v_add_co_u32_e32 v8, vcc, 0x2000, v2
	v_add_u32_e32 v1, 0x2000, v6
	s_nop 0
	v_addc_co_u32_e32 v9, vcc, 0, v3, vcc
	global_load_dwordx4 v[8:11], v[8:9], off
	v_cmp_gt_u32_e32 vcc, s3, v1
	s_waitcnt vmcnt(0)
	ds_write_b128 v0, v[8:11] offset:8192
	s_and_saveexec_b64 s[10:11], vcc
	s_xor_b64 s[10:11], exec, s[10:11]
	s_cbranch_execz .LBB134_9
; %bb.3:
	v_add_co_u32_e32 v8, vcc, 0x4000, v2
	v_add_u32_e32 v1, 0x3000, v6
	s_nop 0
	v_addc_co_u32_e32 v9, vcc, 0, v3, vcc
	global_load_dwordx4 v[8:11], v[8:9], off
	v_cmp_gt_u32_e32 vcc, s3, v1
	s_waitcnt vmcnt(0)
	ds_write_b128 v0, v[8:11] offset:16384
	s_and_saveexec_b64 s[10:11], vcc
	s_xor_b64 s[10:11], exec, s[10:11]
	s_cbranch_execz .LBB134_9
; %bb.4:
	;; [unrolled: 12-line block ×6, first 2 shown]
	v_add_co_u32_e32 v2, vcc, 0xe000, v2
	s_nop 1
	v_addc_co_u32_e32 v3, vcc, 0, v3, vcc
	global_load_dwordx4 v[6:9], v[2:3], off
	s_waitcnt vmcnt(0)
	ds_write_b128 v0, v[6:9] offset:57344
.LBB134_9:
	s_or_b64 exec, exec, s[8:9]
	s_load_dwordx2 s[16:17], s[0:1], 0x38
	s_waitcnt lgkmcnt(0)
	s_barrier
	v_cmp_gt_u32_e32 vcc, s16, v5
	s_and_saveexec_b64 s[8:9], vcc
	s_cbranch_execz .LBB134_26
; %bb.10:
	s_load_dwordx2 s[12:13], s[0:1], 0x10
	s_mul_i32 s2, s2, s16
	v_add_u32_e32 v0, s2, v5
	v_lshl_add_u32 v56, v0, 1, v0
	v_cmp_gt_u32_e32 vcc, s7, v56
	s_and_b64 exec, exec, vcc
	s_cbranch_execz .LBB134_26
; %bb.11:
	s_load_dwordx4 s[8:11], s[0:1], 0x28
	s_load_dwordx2 s[14:15], s[0:1], 0x18
	s_cmp_lg_u32 s4, 0
	s_cselect_b64 s[2:3], -1, 0
	s_add_i32 s24, s4, -8
	s_add_i32 s25, s7, -1
	s_waitcnt lgkmcnt(0)
	s_cmp_lg_u64 s[8:9], 0
	s_mul_i32 s20, s16, s17
	s_cselect_b64 s[16:17], -1, 0
	s_abs_i32 s21, s13
	v_cvt_f32_u32_e32 v0, s12
	v_cvt_f32_u32_e32 v1, s21
	s_mul_i32 s13, s20, 3
	s_sub_i32 s20, 0, s12
	v_rcp_iflag_f32_e32 v0, v0
	v_rcp_iflag_f32_e32 v1, v1
	v_cmp_eq_u32_e64 s[0:1], 31, v4
	s_mov_b64 s[18:19], 0
	v_mul_f32_e32 v0, 0x4f7ffffe, v0
	v_mul_f32_e32 v1, 0x4f7ffffe, v1
	v_cvt_u32_f32_e32 v0, v0
	v_cvt_u32_f32_e32 v1, v1
	v_lshlrev_b32_e32 v80, 4, v4
	s_mul_i32 s31, s6, 6
	v_mul_lo_u32 v2, s20, v0
	s_sub_i32 s20, 0, s21
	v_readfirstlane_b32 s22, v1
	s_mul_i32 s20, s20, s22
	s_mul_hi_u32 s20, s22, s20
	s_add_i32 s22, s22, s20
	s_sub_i32 s20, 1, s21
	s_cmp_lt_u32 s21, 2
	s_cselect_b32 s20, s20, 1
	s_sub_i32 s23, s20, s21
	s_cmp_ge_u32 s20, s21
	s_cselect_b32 s26, s23, s20
	s_lshr_b32 s20, s22, 31
	s_mul_i32 s20, s20, s21
	s_sub_i32 s20, 2, s20
	s_sub_i32 s23, s20, s21
	s_cmp_ge_u32 s20, s21
	s_cselect_b32 s20, s23, s20
	s_sub_i32 s23, s20, s21
	s_cmp_ge_u32 s20, s21
	s_cselect_b32 s27, s23, s20
	s_mul_hi_u32 s20, s22, 3
	s_mul_i32 s20, s20, s21
	s_sub_i32 s20, 3, s20
	s_sub_i32 s23, s20, s21
	s_cmp_ge_u32 s20, s21
	s_cselect_b32 s20, s23, s20
	s_sub_i32 s23, s20, s21
	s_cmp_ge_u32 s20, s21
	s_cselect_b32 s28, s23, s20
	s_lshr_b32 s20, s22, 30
	s_mul_i32 s20, s20, s21
	s_sub_i32 s20, 4, s20
	s_sub_i32 s22, s20, s21
	s_cmp_ge_u32 s20, s21
	s_cselect_b32 s20, s22, s20
	s_sub_i32 s22, s20, s21
	v_mul_hi_u32 v2, v0, v2
	s_cmp_ge_u32 s20, s21
	v_add_u32_e32 v79, v0, v2
	s_cselect_b32 s29, s22, s20
	v_cndmask_b32_e64 v0, 0, 1, s[2:3]
	s_mul_i32 s26, s26, s12
	s_mul_i32 s27, s27, s12
	;; [unrolled: 1-line block ×4, first 2 shown]
	s_lshl_b32 s30, s6, 3
	s_lshl_b32 s33, s6, 2
	;; [unrolled: 1-line block ×3, first 2 shown]
	v_cmp_ne_u32_e64 s[2:3], 1, v0
	v_mov_b32_e32 v59, 0
	s_branch .LBB134_14
.LBB134_12:                             ;   in Loop: Header=BB134_14 Depth=1
	v_cvt_f32_i32_e32 v2, v2
	v_cvt_f32_i32_e32 v4, v4
	;; [unrolled: 1-line block ×4, first 2 shown]
	v_add_f32_e32 v0, v0, v2
	v_add_f32_e32 v2, v1, v4
	v_cvt_f32_i32_e32 v1, v10
	v_add_f32_e32 v4, v5, v8
	v_cvt_f32_i32_e32 v5, v12
	v_cvt_f32_i32_e32 v8, v18
	v_add_f32_e32 v7, v7, v1
	v_cvt_f32_i32_e32 v1, v16
	v_add_f32_e32 v5, v9, v5
	v_add_f32_e32 v8, v15, v8
	;; [unrolled: 1-line block ×4, first 2 shown]
	v_cvt_f32_i32_e32 v1, v20
	s_waitcnt vmcnt(14)
	v_cvt_f32_f16_e32 v14, v44
	v_add_u32_e32 v58, s7, v56
	v_cvt_f32_i32_e32 v6, v13
	v_add_f32_e32 v12, v17, v1
	v_cvt_f32_i32_e32 v1, v28
	v_add_f32_e32 v0, v0, v14
	v_cvt_f16_f32_e32 v14, v0
	s_waitcnt vmcnt(13)
	v_cvt_f32_f16_e32 v17, v43
	v_add_f32_e32 v15, v23, v1
	v_cvt_f32_i32_e32 v1, v26
	v_add_f32_e32 v6, v11, v6
	v_cvt_f32_i32_e32 v10, v21
	v_cvt_f32_i32_e32 v11, v29
	v_add_f32_e32 v16, v24, v1
	v_lshl_add_u64 v[0:1], v[56:57], 1, s[10:11]
	global_store_short v[0:1], v14, off
	s_waitcnt vmcnt(13)
	v_cvt_f32_f16_e32 v14, v42
	v_add_f32_e32 v0, v2, v17
	v_cvt_f16_f32_e32 v2, v0
	v_lshl_add_u64 v[0:1], v[62:63], 1, s[10:11]
	v_add_f32_e32 v3, v3, v14
	v_cvt_f16_f32_e32 v3, v3
	s_waitcnt vmcnt(12)
	v_cvt_f32_f16_e32 v14, v41
	global_store_short v[0:1], v2, off
	v_lshl_add_u64 v[0:1], v[60:61], 1, s[10:11]
	global_store_short v[0:1], v3, off
	v_add_f32_e32 v0, v4, v14
	v_cvt_f16_f32_e32 v2, v0
	s_waitcnt vmcnt(13)
	v_cvt_f32_f16_e32 v3, v39
	v_lshl_add_u64 v[0:1], v[58:59], 1, s[10:11]
	v_add_f32_e32 v10, v19, v10
	global_store_short v[0:1], v2, off
	v_add_f32_e32 v0, v7, v3
	v_cvt_f16_f32_e32 v2, v0
	s_waitcnt vmcnt(13)
	v_cvt_f32_f16_e32 v3, v37
	v_add_u32_e32 v0, 1, v58
	v_mov_b32_e32 v1, v59
	v_lshl_add_u64 v[0:1], v[0:1], 1, s[10:11]
	global_store_short v[0:1], v2, off
	v_add_f32_e32 v0, v5, v3
	v_cvt_f16_f32_e32 v2, v0
	s_waitcnt vmcnt(13)
	v_cvt_f32_f16_e32 v3, v35
	v_add_u32_e32 v0, 2, v58
	v_mov_b32_e32 v1, v59
	v_lshl_add_u64 v[0:1], v[0:1], 1, s[10:11]
	global_store_short v[0:1], v2, off
	v_add_f32_e32 v0, v6, v3
	v_cvt_f16_f32_e32 v2, v0
	s_waitcnt vmcnt(13)
	v_cvt_f32_f16_e32 v3, v33
	v_add_u32_e32 v58, s7, v58
	v_lshl_add_u64 v[0:1], v[58:59], 1, s[10:11]
	global_store_short v[0:1], v2, off
	v_add_f32_e32 v0, v9, v3
	v_cvt_f16_f32_e32 v2, v0
	s_waitcnt vmcnt(13)
	v_cvt_f32_f16_e32 v3, v40
	v_add_u32_e32 v0, 1, v58
	v_mov_b32_e32 v1, v59
	v_lshl_add_u64 v[0:1], v[0:1], 1, s[10:11]
	global_store_short v[0:1], v2, off
	v_add_f32_e32 v0, v8, v3
	v_cvt_f16_f32_e32 v2, v0
	s_waitcnt vmcnt(13)
	v_cvt_f32_f16_e32 v3, v38
	v_add_u32_e32 v0, 2, v58
	v_mov_b32_e32 v1, v59
	v_lshl_add_u64 v[0:1], v[0:1], 1, s[10:11]
	global_store_short v[0:1], v2, off
	v_add_f32_e32 v0, v12, v3
	v_cvt_f16_f32_e32 v2, v0
	s_waitcnt vmcnt(13)
	v_cvt_f32_f16_e32 v3, v36
	v_add_u32_e32 v58, s7, v58
	v_lshl_add_u64 v[0:1], v[58:59], 1, s[10:11]
	global_store_short v[0:1], v2, off
	v_add_f32_e32 v0, v10, v3
	v_cvt_f16_f32_e32 v2, v0
	s_waitcnt vmcnt(13)
	v_cvt_f32_f16_e32 v3, v34
	v_add_u32_e32 v0, 1, v58
	v_mov_b32_e32 v1, v59
	v_add_f32_e32 v11, v22, v11
	v_lshl_add_u64 v[0:1], v[0:1], 1, s[10:11]
	global_store_short v[0:1], v2, off
	v_add_f32_e32 v0, v11, v3
	v_cvt_f16_f32_e32 v2, v0
	s_waitcnt vmcnt(13)
	v_cvt_f32_f16_e32 v3, v32
	v_add_u32_e32 v0, 2, v58
	v_mov_b32_e32 v1, v59
	v_lshl_add_u64 v[0:1], v[0:1], 1, s[10:11]
	v_cvt_f32_i32_e32 v13, v27
	global_store_short v[0:1], v2, off
	v_add_f32_e32 v0, v15, v3
	v_cvt_f16_f32_e32 v2, v0
	s_waitcnt vmcnt(13)
	v_cvt_f32_f16_e32 v3, v31
	v_add_u32_e32 v58, s7, v58
	v_add_f32_e32 v13, v25, v13
	v_lshl_add_u64 v[0:1], v[58:59], 1, s[10:11]
	global_store_short v[0:1], v2, off
	v_add_f32_e32 v0, v13, v3
	s_waitcnt vmcnt(13)
	v_cvt_f32_f16_e32 v3, v30
	v_cvt_f16_f32_e32 v2, v0
	v_add_u32_e32 v0, 1, v58
	v_mov_b32_e32 v1, v59
	v_add_f32_e32 v3, v16, v3
	v_cvt_f16_f32_e32 v3, v3
	v_lshl_add_u64 v[0:1], v[0:1], 1, s[10:11]
	v_add_u32_e32 v58, 2, v58
	global_store_short v[0:1], v2, off
	v_lshl_add_u64 v[0:1], v[58:59], 1, s[10:11]
	global_store_short v[0:1], v3, off
.LBB134_13:                             ;   in Loop: Header=BB134_14 Depth=1
	s_or_b64 exec, exec, s[20:21]
	v_add_u32_e32 v56, s13, v56
	v_cmp_le_u32_e32 vcc, s7, v56
	s_or_b64 s[18:19], vcc, s[18:19]
	s_andn2_b64 exec, exec, s[18:19]
	s_cbranch_execz .LBB134_26
.LBB134_14:                             ; =>This Loop Header: Depth=1
                                        ;     Child Loop BB134_18 Depth 2
	s_mov_b32 s34, 0
	s_and_b64 vcc, exec, s[2:3]
	v_add_u32_e32 v62, 1, v56
	v_add_u32_e32 v60, 2, v56
	v_mov_b32_e32 v92, v59
	v_mov_b32_e32 v91, v59
	;; [unrolled: 1-line block ×15, first 2 shown]
	s_cbranch_vccnz .LBB134_21
; %bb.15:                               ;   in Loop: Header=BB134_14 Depth=1
	v_min_u32_e32 v0, s25, v56
	v_mul_lo_u32 v58, v0, s5
	v_min_u32_e32 v0, s25, v62
	v_min_u32_e32 v2, s25, v60
	v_mul_lo_u32 v0, v0, s5
	v_mov_b32_e32 v1, v59
	v_mul_lo_u32 v2, v2, s5
	v_mov_b32_e32 v3, v59
	v_mov_b32_e32 v86, 0
	v_lshlrev_b64 v[64:65], 1, v[58:59]
	v_lshlrev_b64 v[66:67], 1, v[0:1]
	;; [unrolled: 1-line block ×3, first 2 shown]
	v_mov_b32_e32 v93, v80
	v_mov_b32_e32 v85, 0
	;; [unrolled: 1-line block ×15, first 2 shown]
	s_branch .LBB134_18
.LBB134_16:                             ;   in Loop: Header=BB134_18 Depth=2
	s_or_b64 exec, exec, s[22:23]
.LBB134_17:                             ;   in Loop: Header=BB134_18 Depth=2
	s_or_b64 exec, exec, s[20:21]
	s_waitcnt vmcnt(5) lgkmcnt(1)
	;;#ASMSTART
	v_dot2c_f32_f16 v92, v52, v32
	;;#ASMEND
	s_waitcnt vmcnt(4)
	;;#ASMSTART
	v_dot2c_f32_f16 v91, v52, v24
	;;#ASMEND
	s_waitcnt vmcnt(3)
	;;#ASMSTART
	v_dot2c_f32_f16 v90, v52, v28
	;;#ASMEND
	;;#ASMSTART
	v_dot2c_f32_f16 v89, v48, v32
	;;#ASMEND
	;; [unrolled: 3-line block ×10, first 2 shown]
	s_waitcnt lgkmcnt(0)
	;;#ASMSTART
	v_dot2c_f32_f16 v63, v40, v32
	;;#ASMEND
	;;#ASMSTART
	v_dot2c_f32_f16 v61, v40, v24
	;;#ASMEND
	;;#ASMSTART
	v_dot2c_f32_f16 v57, v40, v28
	;;#ASMEND
	;;#ASMSTART
	v_dot2c_f32_f16 v92, v53, v33
	;;#ASMEND
	;;#ASMSTART
	v_dot2c_f32_f16 v91, v53, v25
	;;#ASMEND
	;;#ASMSTART
	v_dot2c_f32_f16 v90, v53, v29
	;;#ASMEND
	;;#ASMSTART
	v_dot2c_f32_f16 v89, v49, v33
	;;#ASMEND
	;;#ASMSTART
	v_dot2c_f32_f16 v88, v49, v25
	;;#ASMEND
	;;#ASMSTART
	v_dot2c_f32_f16 v87, v49, v29
	;;#ASMEND
	;;#ASMSTART
	v_dot2c_f32_f16 v86, v75, v33
	;;#ASMEND
	;;#ASMSTART
	v_dot2c_f32_f16 v85, v75, v25
	;;#ASMEND
	;;#ASMSTART
	v_dot2c_f32_f16 v84, v75, v29
	;;#ASMEND
	;;#ASMSTART
	v_dot2c_f32_f16 v83, v45, v33
	;;#ASMEND
	;;#ASMSTART
	v_dot2c_f32_f16 v82, v45, v25
	;;#ASMEND
	;;#ASMSTART
	v_dot2c_f32_f16 v81, v45, v29
	;;#ASMEND
	s_nop 0
	;;#ASMSTART
	v_dot2c_f32_f16 v63, v41, v33
	;;#ASMEND
	;;#ASMSTART
	v_dot2c_f32_f16 v61, v41, v25
	;;#ASMEND
	;;#ASMSTART
	v_dot2c_f32_f16 v57, v41, v29
	;;#ASMEND
	;;#ASMSTART
	v_dot2c_f32_f16 v92, v54, v34
	;;#ASMEND
	;;#ASMSTART
	v_dot2c_f32_f16 v91, v54, v26
	;;#ASMEND
	;;#ASMSTART
	v_dot2c_f32_f16 v90, v54, v30
	;;#ASMEND
	;;#ASMSTART
	v_dot2c_f32_f16 v89, v50, v34
	;;#ASMEND
	;;#ASMSTART
	v_dot2c_f32_f16 v88, v50, v26
	;;#ASMEND
	;;#ASMSTART
	v_dot2c_f32_f16 v87, v50, v30
	;;#ASMEND
	;;#ASMSTART
	v_dot2c_f32_f16 v86, v76, v34
	;;#ASMEND
	;;#ASMSTART
	v_dot2c_f32_f16 v85, v76, v26
	;;#ASMEND
	;;#ASMSTART
	v_dot2c_f32_f16 v84, v76, v30
	;;#ASMEND
	;;#ASMSTART
	v_dot2c_f32_f16 v83, v46, v34
	;;#ASMEND
	;;#ASMSTART
	v_dot2c_f32_f16 v82, v46, v26
	;;#ASMEND
	;;#ASMSTART
	v_dot2c_f32_f16 v81, v46, v30
	;;#ASMEND
	s_nop 0
	;; [unrolled: 46-line block ×3, first 2 shown]
	;;#ASMSTART
	v_dot2c_f32_f16 v63, v43, v35
	;;#ASMEND
	;;#ASMSTART
	v_dot2c_f32_f16 v61, v43, v27
	;;#ASMEND
	;; [unrolled: 3-line block ×3, first 2 shown]
	s_waitcnt vmcnt(2)
	;;#ASMSTART
	v_dot2c_f32_f16 v92, v36, v8
	;;#ASMEND
	s_waitcnt vmcnt(1)
	;;#ASMSTART
	v_dot2c_f32_f16 v91, v36, v4
	;;#ASMEND
	;; [unrolled: 4-line block ×3, first 2 shown]
	;;#ASMSTART
	v_dot2c_f32_f16 v89, v20, v8
	;;#ASMEND
	;;#ASMSTART
	v_dot2c_f32_f16 v88, v20, v4
	;;#ASMEND
	;; [unrolled: 3-line block ×14, first 2 shown]
	s_nop 0
	;;#ASMSTART
	v_dot2c_f32_f16 v90, v37, v1
	;;#ASMEND
	;;#ASMSTART
	v_dot2c_f32_f16 v89, v21, v9
	;;#ASMEND
	;; [unrolled: 3-line block ×13, first 2 shown]
	s_addk_i32 s34, 0x200
	;;#ASMSTART
	v_dot2c_f32_f16 v92, v38, v10
	;;#ASMEND
	;;#ASMSTART
	v_dot2c_f32_f16 v91, v38, v6
	;;#ASMEND
	;; [unrolled: 3-line block ×15, first 2 shown]
	s_cmp_ge_u32 s34, s4
	v_add_u32_e32 v93, 0x400, v93
	;;#ASMSTART
	v_dot2c_f32_f16 v92, v39, v11
	;;#ASMEND
	;;#ASMSTART
	v_dot2c_f32_f16 v91, v39, v7
	;;#ASMEND
	;; [unrolled: 3-line block ×15, first 2 shown]
	s_cbranch_scc1 .LBB134_21
.LBB134_18:                             ;   Parent Loop BB134_14 Depth=1
                                        ; =>  This Inner Loop Header: Depth=2
	v_add_u32_e32 v16, s34, v78
	v_min_u32_e32 v58, s24, v16
	v_lshl_add_u64 v[0:1], v[58:59], 1, s[14:15]
	v_add_u32_e32 v94, 0x100, v16
	v_lshl_add_u64 v[2:3], v[0:1], 0, v[64:65]
	v_min_u32_e32 v58, s24, v94
	v_lshl_add_u64 v[4:5], v[0:1], 0, v[66:67]
	global_load_dwordx4 v[32:35], v[2:3], off nt
	global_load_dwordx4 v[24:27], v[4:5], off nt
	v_lshl_add_u64 v[2:3], v[58:59], 1, s[14:15]
	v_lshl_add_u64 v[0:1], v[0:1], 0, v[68:69]
	;; [unrolled: 1-line block ×4, first 2 shown]
	global_load_dwordx4 v[28:31], v[0:1], off nt
	global_load_dwordx4 v[8:11], v[4:5], off nt
	v_lshl_add_u64 v[14:15], v[2:3], 0, v[68:69]
	global_load_dwordx4 v[4:7], v[12:13], off nt
	global_load_dwordx4 v[0:3], v[14:15], off nt
	v_cmp_gt_u32_e32 vcc, s4, v16
	v_mov_b32_e32 v52, 0
	v_mov_b32_e32 v53, 0
	v_mov_b32_e32 v54, 0
	v_mov_b32_e32 v55, 0
	v_mov_b32_e32 v48, 0
	v_mov_b32_e32 v49, 0
	v_mov_b32_e32 v50, 0
	v_mov_b32_e32 v51, 0
	v_mov_b32_e32 v74, 0
	v_mov_b32_e32 v75, 0
	v_mov_b32_e32 v76, 0
	v_mov_b32_e32 v77, 0
	v_mov_b32_e32 v44, 0
	v_mov_b32_e32 v45, 0
	v_mov_b32_e32 v46, 0
	v_mov_b32_e32 v47, 0
	v_mov_b32_e32 v40, 0
	v_mov_b32_e32 v41, 0
	v_mov_b32_e32 v42, 0
	v_mov_b32_e32 v43, 0
	v_mov_b32_e32 v36, 0
	v_mov_b32_e32 v37, 0
	v_mov_b32_e32 v38, 0
	v_mov_b32_e32 v39, 0
	v_mov_b32_e32 v20, 0
	v_mov_b32_e32 v21, 0
	v_mov_b32_e32 v22, 0
	v_mov_b32_e32 v23, 0
	v_mov_b32_e32 v72, 0
	v_mov_b32_e32 v73, 0
	v_mov_b32_e32 v70, 0
	v_mov_b32_e32 v71, 0
	v_mov_b32_e32 v16, 0
	v_mov_b32_e32 v17, 0
	v_mov_b32_e32 v18, 0
	v_mov_b32_e32 v19, 0
	v_mov_b32_e32 v12, 0
	v_mov_b32_e32 v13, 0
	v_mov_b32_e32 v14, 0
	v_mov_b32_e32 v15, 0
	s_and_saveexec_b64 s[20:21], vcc
	s_cbranch_execz .LBB134_17
; %bb.19:                               ;   in Loop: Header=BB134_18 Depth=2
	v_add_u32_e32 v97, s6, v93
	v_add_u32_e32 v58, s33, v93
	ds_read_b128 v[48:51], v97
	ds_read2_b32 v[74:75], v58 offset1:1
	v_add_u32_e32 v96, s31, v93
	ds_read2_b32 v[76:77], v58 offset0:2 offset1:3
	ds_read_b128 v[44:47], v96
	v_add_u32_e32 v95, s30, v93
	ds_read_b128 v[52:55], v93
	ds_read2_b64 v[40:43], v95 offset1:1
	v_cmp_gt_u32_e32 vcc, s4, v94
	v_mov_b32_e32 v15, 0
	v_mov_b32_e32 v14, 0
	;; [unrolled: 1-line block ×20, first 2 shown]
	s_and_saveexec_b64 s[22:23], vcc
	s_cbranch_execz .LBB134_16
; %bb.20:                               ;   in Loop: Header=BB134_18 Depth=2
	ds_read_b128 v[20:23], v97 offset:512
	ds_read2_b32 v[72:73], v58 offset0:128 offset1:129
	ds_read2_b32 v[70:71], v58 offset0:130 offset1:131
	ds_read_b128 v[16:19], v96 offset:512
	ds_read_b128 v[36:39], v93 offset:512
	ds_read2_b64 v[12:15], v95 offset0:64 offset1:65
	s_branch .LBB134_16
.LBB134_21:                             ;   in Loop: Header=BB134_14 Depth=1
	; sched_barrier mask(0x00000000)
	v_cvt_i32_f32_e32 v0, v92
	v_cvt_i32_f32_e32 v1, v91
	;; [unrolled: 1-line block ×4, first 2 shown]
	v_cvt_f32_i32_dpp v0, v0 row_shr:8 row_mask:0xf bank_mask:0xf bound_ctrl:1
	v_cvt_f32_i32_dpp v1, v1 row_shr:8 row_mask:0xf bank_mask:0xf bound_ctrl:1
	;; [unrolled: 1-line block ×4, first 2 shown]
	v_add_f32_e32 v0, v92, v0
	v_cvt_i32_f32_e32 v5, v0
	v_add_f32_e32 v1, v91, v1
	v_cvt_i32_f32_e32 v6, v1
	v_add_f32_e32 v2, v90, v2
	v_cvt_f32_i32_dpp v5, v5 row_shr:4 row_mask:0xf bank_mask:0xf bound_ctrl:1
	v_cvt_i32_f32_e32 v7, v2
	v_cvt_f32_i32_dpp v6, v6 row_shr:4 row_mask:0xf bank_mask:0xf bound_ctrl:1
	v_add_f32_e32 v3, v89, v3
	v_add_f32_e32 v0, v0, v5
	v_cvt_i32_f32_e32 v5, v0
	v_add_f32_e32 v1, v1, v6
	v_cvt_i32_f32_e32 v6, v1
	v_cvt_f32_i32_dpp v7, v7 row_shr:4 row_mask:0xf bank_mask:0xf bound_ctrl:1
	v_cvt_f32_i32_dpp v5, v5 row_shr:2 row_mask:0xf bank_mask:0xf bound_ctrl:1
	v_cvt_i32_f32_e32 v8, v3
	v_cvt_f32_i32_dpp v6, v6 row_shr:2 row_mask:0xf bank_mask:0xf bound_ctrl:1
	v_add_f32_e32 v2, v2, v7
	v_add_f32_e32 v0, v0, v5
	v_cvt_i32_f32_e32 v5, v0
	v_cvt_i32_f32_e32 v7, v2
	v_add_f32_e32 v1, v1, v6
	v_cvt_i32_f32_e32 v6, v1
	v_cvt_f32_i32_dpp v5, v5 row_shr:1 row_mask:0xf bank_mask:0xf bound_ctrl:1
	v_cvt_f32_i32_dpp v7, v7 row_shr:2 row_mask:0xf bank_mask:0xf bound_ctrl:1
	v_cvt_i32_f32_e32 v4, v88
	v_cvt_f32_i32_dpp v6, v6 row_shr:1 row_mask:0xf bank_mask:0xf bound_ctrl:1
	v_add_f32_e32 v0, v0, v5
	v_cvt_i32_f32_e32 v5, v0
	v_add_f32_e32 v7, v2, v7
	v_cvt_i32_f32_e32 v2, v7
	v_add_f32_e32 v1, v1, v6
	v_cvt_f32_i32_dpp v5, v5 row_bcast:15 row_mask:0xf bank_mask:0xf bound_ctrl:1
	v_cvt_f32_i32_dpp v8, v8 row_shr:4 row_mask:0xf bank_mask:0xf bound_ctrl:1
	v_cvt_i32_f32_e32 v6, v1
	v_cvt_f32_i32_dpp v9, v2 row_shr:1 row_mask:0xf bank_mask:0xf bound_ctrl:1
	v_add_f32_e32 v0, v0, v5
	v_cvt_i32_f32_e32 v5, v0
	v_cvt_f32_i32_dpp v6, v6 row_bcast:15 row_mask:0xf bank_mask:0xf bound_ctrl:1
	v_cvt_f32_i32_dpp v4, v4 row_shr:8 row_mask:0xf bank_mask:0xf bound_ctrl:1
	v_add_f32_e32 v3, v3, v8
	v_mov_b32_dpp v2, v5 row_bcast:31 row_mask:0xf bank_mask:0xf bound_ctrl:1
	v_add_f32_e32 v5, v7, v9
	v_cvt_i32_f32_e32 v7, v3
	v_add_f32_e32 v1, v1, v6
	v_add_f32_e32 v9, v88, v4
	v_cvt_i32_f32_e32 v6, v1
	v_cvt_i32_f32_e32 v8, v5
	;; [unrolled: 1-line block ×3, first 2 shown]
	v_cvt_f32_i32_dpp v7, v7 row_shr:2 row_mask:0xf bank_mask:0xf bound_ctrl:1
	v_mov_b32_dpp v4, v6 row_bcast:31 row_mask:0xf bank_mask:0xf bound_ctrl:1
	v_cvt_f32_i32_dpp v6, v8 row_bcast:15 row_mask:0xf bank_mask:0xf bound_ctrl:1
	v_cvt_f32_i32_dpp v8, v10 row_shr:4 row_mask:0xf bank_mask:0xf bound_ctrl:1
	v_add_f32_e32 v7, v3, v7
	v_cvt_i32_f32_e32 v10, v7
	v_add_f32_e32 v3, v5, v6
	v_add_f32_e32 v5, v9, v8
	v_cvt_i32_f32_e32 v6, v5
	v_cvt_f32_i32_dpp v8, v10 row_shr:1 row_mask:0xf bank_mask:0xf bound_ctrl:1
	v_cvt_i32_f32_e32 v9, v87
	v_cvt_i32_f32_e32 v10, v3
	v_cvt_f32_i32_dpp v6, v6 row_shr:2 row_mask:0xf bank_mask:0xf bound_ctrl:1
	v_add_f32_e32 v7, v7, v8
	v_cvt_f32_i32_dpp v8, v9 row_shr:8 row_mask:0xf bank_mask:0xf bound_ctrl:1
	v_cvt_i32_f32_e32 v9, v7
	v_add_f32_e32 v11, v5, v6
	v_cvt_i32_f32_e32 v5, v11
	v_add_f32_e32 v8, v87, v8
	v_cvt_i32_f32_e32 v12, v8
	v_cvt_f32_i32_dpp v9, v9 row_bcast:15 row_mask:0xf bank_mask:0xf bound_ctrl:1
	v_cvt_f32_i32_dpp v13, v5 row_shr:1 row_mask:0xf bank_mask:0xf bound_ctrl:1
	v_mov_b32_dpp v6, v10 row_bcast:31 row_mask:0xf bank_mask:0xf bound_ctrl:1
	v_cvt_f32_i32_dpp v10, v12 row_shr:4 row_mask:0xf bank_mask:0xf bound_ctrl:1
	v_add_f32_e32 v5, v7, v9
	v_cvt_i32_f32_e32 v9, v86
	v_add_f32_e32 v7, v11, v13
	v_add_f32_e32 v8, v8, v10
	v_cvt_i32_f32_e32 v10, v8
	v_cvt_f32_i32_dpp v9, v9 row_shr:8 row_mask:0xf bank_mask:0xf bound_ctrl:1
	v_cvt_i32_f32_e32 v12, v5
	v_cvt_i32_f32_e32 v11, v7
	v_cvt_f32_i32_dpp v10, v10 row_shr:2 row_mask:0xf bank_mask:0xf bound_ctrl:1
	v_add_f32_e32 v9, v86, v9
	v_cvt_i32_f32_e32 v13, v9
	v_cvt_f32_i32_dpp v11, v11 row_bcast:15 row_mask:0xf bank_mask:0xf bound_ctrl:1
	v_add_f32_e32 v10, v8, v10
	v_mov_b32_dpp v8, v12 row_bcast:31 row_mask:0xf bank_mask:0xf bound_ctrl:1
	v_cvt_f32_i32_dpp v12, v13 row_shr:4 row_mask:0xf bank_mask:0xf bound_ctrl:1
	v_cvt_i32_f32_e32 v14, v10
	v_cvt_i32_f32_e32 v13, v85
	v_add_f32_e32 v7, v7, v11
	v_add_f32_e32 v9, v9, v12
	v_cvt_f32_i32_dpp v11, v14 row_shr:1 row_mask:0xf bank_mask:0xf bound_ctrl:1
	v_cvt_i32_f32_e32 v12, v9
	v_cvt_f32_i32_dpp v13, v13 row_shr:8 row_mask:0xf bank_mask:0xf bound_ctrl:1
	v_cvt_i32_f32_e32 v14, v7
	v_add_f32_e32 v11, v10, v11
	v_cvt_f32_i32_dpp v10, v12 row_shr:2 row_mask:0xf bank_mask:0xf bound_ctrl:1
	v_add_f32_e32 v13, v85, v13
	v_cvt_i32_f32_e32 v12, v11
	v_cvt_i32_f32_e32 v15, v13
	v_add_f32_e32 v16, v9, v10
	v_cvt_i32_f32_e32 v9, v16
	v_cvt_f32_i32_dpp v12, v12 row_bcast:15 row_mask:0xf bank_mask:0xf bound_ctrl:1
	v_cvt_f32_i32_dpp v15, v15 row_shr:4 row_mask:0xf bank_mask:0xf bound_ctrl:1
	v_mov_b32_dpp v10, v14 row_bcast:31 row_mask:0xf bank_mask:0xf bound_ctrl:1
	v_cvt_f32_i32_dpp v14, v9 row_shr:1 row_mask:0xf bank_mask:0xf bound_ctrl:1
	v_add_f32_e32 v9, v11, v12
	v_add_f32_e32 v11, v13, v15
	v_cvt_i32_f32_e32 v12, v11
	v_add_f32_e32 v13, v16, v14
	v_cvt_i32_f32_e32 v14, v84
	v_cvt_i32_f32_e32 v15, v13
	v_cvt_f32_i32_dpp v12, v12 row_shr:2 row_mask:0xf bank_mask:0xf bound_ctrl:1
	v_cvt_i32_f32_e32 v16, v9
	v_cvt_f32_i32_dpp v14, v14 row_shr:8 row_mask:0xf bank_mask:0xf bound_ctrl:1
	v_cvt_f32_i32_dpp v15, v15 row_bcast:15 row_mask:0xf bank_mask:0xf bound_ctrl:1
	v_add_f32_e32 v17, v11, v12
	v_cvt_i32_f32_e32 v11, v17
	v_add_f32_e32 v14, v84, v14
	v_cvt_i32_f32_e32 v18, v14
	v_mov_b32_dpp v12, v16 row_bcast:31 row_mask:0xf bank_mask:0xf bound_ctrl:1
	v_cvt_f32_i32_dpp v16, v11 row_shr:1 row_mask:0xf bank_mask:0xf bound_ctrl:1
	v_add_f32_e32 v11, v13, v15
	v_cvt_f32_i32_dpp v13, v18 row_shr:4 row_mask:0xf bank_mask:0xf bound_ctrl:1
	v_cvt_i32_f32_e32 v15, v11
	v_add_f32_e32 v16, v17, v16
	v_cvt_i32_f32_e32 v17, v83
	v_add_f32_e32 v14, v14, v13
	v_cvt_i32_f32_e32 v18, v14
	v_cvt_i32_f32_e32 v19, v16
	v_cvt_f32_i32_dpp v17, v17 row_shr:8 row_mask:0xf bank_mask:0xf bound_ctrl:1
	v_mov_b32_dpp v13, v15 row_bcast:31 row_mask:0xf bank_mask:0xf bound_ctrl:1
	v_cvt_f32_i32_dpp v15, v18 row_shr:2 row_mask:0xf bank_mask:0xf bound_ctrl:1
	v_cvt_f32_i32_dpp v18, v19 row_bcast:15 row_mask:0xf bank_mask:0xf bound_ctrl:1
	v_add_f32_e32 v17, v83, v17
	v_cvt_i32_f32_e32 v19, v17
	v_cvt_i32_f32_e32 v20, v82
	v_add_f32_e32 v15, v14, v15
	v_add_f32_e32 v14, v16, v18
	v_cvt_f32_i32_dpp v19, v19 row_shr:4 row_mask:0xf bank_mask:0xf bound_ctrl:1
	v_cvt_f32_i32_dpp v16, v20 row_shr:8 row_mask:0xf bank_mask:0xf bound_ctrl:1
	v_cvt_i32_f32_e32 v21, v15
	v_add_f32_e32 v17, v17, v19
	v_cvt_i32_f32_e32 v19, v17
	v_add_f32_e32 v16, v82, v16
	v_cvt_f32_i32_dpp v18, v21 row_shr:1 row_mask:0xf bank_mask:0xf bound_ctrl:1
	v_cvt_i32_f32_e32 v20, v16
	v_cvt_f32_i32_dpp v19, v19 row_shr:2 row_mask:0xf bank_mask:0xf bound_ctrl:1
	v_cvt_i32_f32_e32 v21, v14
	v_add_f32_e32 v15, v15, v18
	v_cvt_f32_i32_dpp v18, v20 row_shr:4 row_mask:0xf bank_mask:0xf bound_ctrl:1
	v_add_f32_e32 v17, v17, v19
	v_cvt_i32_f32_e32 v19, v17
	v_cvt_i32_f32_e32 v20, v15
	v_add_f32_e32 v18, v16, v18
	v_cvt_i32_f32_e32 v22, v18
	v_cvt_f32_i32_dpp v19, v19 row_shr:1 row_mask:0xf bank_mask:0xf bound_ctrl:1
	v_mov_b32_dpp v16, v21 row_bcast:31 row_mask:0xf bank_mask:0xf bound_ctrl:1
	v_cvt_f32_i32_dpp v20, v20 row_bcast:15 row_mask:0xf bank_mask:0xf bound_ctrl:1
	v_cvt_f32_i32_dpp v21, v22 row_shr:2 row_mask:0xf bank_mask:0xf bound_ctrl:1
	v_add_f32_e32 v17, v17, v19
	v_cvt_i32_f32_e32 v19, v81
	v_add_f32_e32 v15, v15, v20
	v_add_f32_e32 v18, v18, v21
	v_cvt_i32_f32_e32 v20, v18
	v_cvt_f32_i32_dpp v19, v19 row_shr:8 row_mask:0xf bank_mask:0xf bound_ctrl:1
	v_cvt_i32_f32_e32 v22, v15
	v_cvt_i32_f32_e32 v21, v17
	v_cvt_f32_i32_dpp v20, v20 row_shr:1 row_mask:0xf bank_mask:0xf bound_ctrl:1
	v_add_f32_e32 v19, v81, v19
	v_cvt_i32_f32_e32 v23, v19
	v_cvt_f32_i32_dpp v21, v21 row_bcast:15 row_mask:0xf bank_mask:0xf bound_ctrl:1
	v_add_f32_e32 v20, v18, v20
	v_mov_b32_dpp v18, v22 row_bcast:31 row_mask:0xf bank_mask:0xf bound_ctrl:1
	v_cvt_f32_i32_dpp v22, v23 row_shr:4 row_mask:0xf bank_mask:0xf bound_ctrl:1
	v_cvt_i32_f32_e32 v24, v20
	v_cvt_i32_f32_e32 v23, v63
	v_add_f32_e32 v17, v17, v21
	v_add_f32_e32 v22, v19, v22
	v_cvt_f32_i32_dpp v21, v24 row_bcast:15 row_mask:0xf bank_mask:0xf bound_ctrl:1
	v_cvt_i32_f32_e32 v24, v22
	v_cvt_f32_i32_dpp v23, v23 row_shr:8 row_mask:0xf bank_mask:0xf bound_ctrl:1
	v_cvt_i32_f32_e32 v25, v17
	v_add_f32_e32 v19, v20, v21
	v_cvt_f32_i32_dpp v20, v24 row_shr:2 row_mask:0xf bank_mask:0xf bound_ctrl:1
	v_add_f32_e32 v23, v63, v23
	v_cvt_i32_f32_e32 v24, v23
	v_cvt_i32_f32_e32 v21, v19
	v_add_f32_e32 v22, v22, v20
	v_cvt_i32_f32_e32 v26, v22
	v_cvt_f32_i32_dpp v24, v24 row_shr:4 row_mask:0xf bank_mask:0xf bound_ctrl:1
	v_mov_b32_dpp v20, v25 row_bcast:31 row_mask:0xf bank_mask:0xf bound_ctrl:1
	v_mov_b32_dpp v21, v21 row_bcast:31 row_mask:0xf bank_mask:0xf bound_ctrl:1
	v_cvt_f32_i32_dpp v25, v26 row_shr:1 row_mask:0xf bank_mask:0xf bound_ctrl:1
	v_cvt_i32_f32_e32 v26, v61
	v_add_f32_e32 v23, v23, v24
	v_cvt_i32_f32_e32 v24, v57
	v_cvt_i32_f32_e32 v27, v23
	v_cvt_f32_i32_dpp v26, v26 row_shr:8 row_mask:0xf bank_mask:0xf bound_ctrl:1
	v_add_f32_e32 v22, v22, v25
	v_cvt_f32_i32_dpp v24, v24 row_shr:8 row_mask:0xf bank_mask:0xf bound_ctrl:1
	v_cvt_f32_i32_dpp v25, v27 row_shr:2 row_mask:0xf bank_mask:0xf bound_ctrl:1
	v_add_f32_e32 v26, v61, v26
	v_cvt_i32_f32_e32 v27, v26
	v_add_f32_e32 v24, v57, v24
	v_cvt_i32_f32_e32 v28, v24
	v_add_f32_e32 v23, v23, v25
	v_cvt_f32_i32_dpp v27, v27 row_shr:4 row_mask:0xf bank_mask:0xf bound_ctrl:1
	v_cvt_i32_f32_e32 v29, v22
	v_cvt_f32_i32_dpp v25, v28 row_shr:4 row_mask:0xf bank_mask:0xf bound_ctrl:1
	v_cvt_i32_f32_e32 v28, v23
	v_add_f32_e32 v26, v26, v27
	v_cvt_i32_f32_e32 v27, v26
	v_add_f32_e32 v24, v24, v25
	v_cvt_i32_f32_e32 v25, v24
	v_cvt_f32_i32_dpp v28, v28 row_shr:1 row_mask:0xf bank_mask:0xf bound_ctrl:1
	v_cvt_f32_i32_dpp v27, v27 row_shr:2 row_mask:0xf bank_mask:0xf bound_ctrl:1
	v_cvt_f32_i32_dpp v29, v29 row_bcast:15 row_mask:0xf bank_mask:0xf bound_ctrl:1
	v_cvt_f32_i32_dpp v25, v25 row_shr:2 row_mask:0xf bank_mask:0xf bound_ctrl:1
	v_add_f32_e32 v23, v23, v28
	v_add_f32_e32 v26, v26, v27
	v_cvt_i32_f32_e32 v27, v26
	v_add_f32_e32 v24, v24, v25
	v_cvt_i32_f32_e32 v25, v24
	v_cvt_i32_f32_e32 v28, v23
	v_cvt_f32_i32_dpp v27, v27 row_shr:1 row_mask:0xf bank_mask:0xf bound_ctrl:1
	v_add_f32_e32 v22, v22, v29
	v_cvt_f32_i32_dpp v25, v25 row_shr:1 row_mask:0xf bank_mask:0xf bound_ctrl:1
	v_cvt_f32_i32_dpp v28, v28 row_bcast:15 row_mask:0xf bank_mask:0xf bound_ctrl:1
	v_add_f32_e32 v26, v26, v27
	v_cvt_i32_f32_e32 v27, v26
	v_add_f32_e32 v24, v24, v25
	v_cvt_i32_f32_e32 v25, v24
	v_add_f32_e32 v23, v23, v28
	v_cvt_f32_i32_dpp v27, v27 row_bcast:15 row_mask:0xf bank_mask:0xf bound_ctrl:1
	v_cvt_i32_f32_e32 v29, v22
	v_cvt_f32_i32_dpp v28, v25 row_bcast:15 row_mask:0xf bank_mask:0xf bound_ctrl:1
	v_cvt_i32_f32_e32 v30, v23
	v_add_f32_e32 v25, v26, v27
	v_cvt_i32_f32_e32 v26, v25
	v_add_f32_e32 v24, v24, v28
	v_cvt_i32_f32_e32 v31, v24
	v_mov_b32_dpp v29, v29 row_bcast:31 row_mask:0xf bank_mask:0xf bound_ctrl:1
	v_mov_b32_dpp v28, v30 row_bcast:31 row_mask:0xf bank_mask:0xf bound_ctrl:1
	;; [unrolled: 1-line block ×4, first 2 shown]
	s_and_saveexec_b64 s[20:21], s[0:1]
	s_cbranch_execz .LBB134_13
; %bb.22:                               ;   in Loop: Header=BB134_14 Depth=1
	s_and_b64 vcc, exec, s[16:17]
	s_cbranch_vccz .LBB134_24
; %bb.23:                               ;   in Loop: Header=BB134_14 Depth=1
	v_mul_hi_u32 v30, v56, v79
	v_mul_lo_u32 v30, v30, s12
	v_sub_u32_e32 v30, v56, v30
	v_subrev_u32_e32 v31, s12, v30
	v_cmp_le_u32_e32 vcc, s12, v30
	v_mul_hi_u32 v32, v62, v79
	v_mul_lo_u32 v32, v32, s12
	v_cndmask_b32_e32 v30, v30, v31, vcc
	v_subrev_u32_e32 v31, s12, v30
	v_cmp_le_u32_e32 vcc, s12, v30
	v_sub_u32_e32 v32, v62, v32
	v_subrev_u32_e32 v33, s12, v32
	v_cndmask_b32_e32 v58, v30, v31, vcc
	v_cmp_le_u32_e32 vcc, s12, v32
	v_add_u32_e32 v36, s26, v58
	v_mov_b32_e32 v37, v59
	v_cndmask_b32_e32 v32, v32, v33, vcc
	v_subrev_u32_e32 v33, s12, v32
	v_cmp_le_u32_e32 vcc, s12, v32
	v_lshl_add_u64 v[50:51], v[36:37], 1, s[8:9]
	v_lshl_add_u64 v[30:31], v[58:59], 1, s[8:9]
	v_cndmask_b32_e32 v32, v32, v33, vcc
	v_mov_b32_e32 v33, v59
	v_lshl_add_u64 v[46:47], v[32:33], 1, s[8:9]
	v_mul_hi_u32 v33, v60, v79
	v_mul_lo_u32 v33, v33, s12
	v_sub_u32_e32 v33, v60, v33
	v_subrev_u32_e32 v34, s12, v33
	v_cmp_le_u32_e32 vcc, s12, v33
	v_add_u32_e32 v36, s26, v32
	v_lshl_add_u64 v[52:53], v[36:37], 1, s[8:9]
	v_cndmask_b32_e32 v33, v33, v34, vcc
	v_subrev_u32_e32 v34, s12, v33
	v_cmp_le_u32_e32 vcc, s12, v33
	v_mov_b32_e32 v35, v59
	v_mov_b32_e32 v57, v59
	v_cndmask_b32_e32 v34, v33, v34, vcc
	v_add_u32_e32 v36, s26, v34
	v_lshl_add_u64 v[54:55], v[36:37], 1, s[8:9]
	v_add_u32_e32 v36, s27, v58
	v_lshl_add_u64 v[64:65], v[36:37], 1, s[8:9]
	;; [unrolled: 2-line block ×3, first 2 shown]
	v_lshl_add_u64 v[66:67], v[36:37], 1, s[8:9]
	global_load_ushort v44, v[30:31], off
	global_load_ushort v43, v[46:47], off
	;; [unrolled: 1-line block ×8, first 2 shown]
	v_add_u32_e32 v30, s27, v34
	v_mov_b32_e32 v31, v59
	v_lshl_add_u64 v[46:47], v[30:31], 1, s[8:9]
	v_add_u32_e32 v30, s28, v58
	v_add_u32_e32 v58, s29, v58
	v_lshl_add_u64 v[48:49], v[30:31], 1, s[8:9]
	v_add_u32_e32 v30, s28, v32
	v_lshl_add_u64 v[54:55], v[58:59], 1, s[8:9]
	;; [unrolled: 2-line block ×5, first 2 shown]
	v_lshl_add_u64 v[66:67], v[58:59], 1, s[8:9]
	global_load_ushort v40, v[46:47], off
	global_load_ushort v38, v[48:49], off
	;; [unrolled: 1-line block ×7, first 2 shown]
	v_mov_b32_e32 v63, v59
	v_mov_b32_e32 v61, v59
	s_cbranch_execnz .LBB134_12
	s_branch .LBB134_25
.LBB134_24:                             ;   in Loop: Header=BB134_14 Depth=1
                                        ; implicit-def: $vgpr30
                                        ; implicit-def: $vgpr31
                                        ; implicit-def: $vgpr32
                                        ; implicit-def: $vgpr34
                                        ; implicit-def: $vgpr36
                                        ; implicit-def: $vgpr38
                                        ; implicit-def: $vgpr40
                                        ; implicit-def: $vgpr33
                                        ; implicit-def: $vgpr35
                                        ; implicit-def: $vgpr37
                                        ; implicit-def: $vgpr39
                                        ; implicit-def: $vgpr41
                                        ; implicit-def: $vgpr42
                                        ; implicit-def: $vgpr43
                                        ; implicit-def: $vgpr44
.LBB134_25:                             ;   in Loop: Header=BB134_14 Depth=1
	v_mov_b32_e32 v57, v59
	v_mov_b32_e32 v63, v59
	;; [unrolled: 1-line block ×3, first 2 shown]
	s_waitcnt vmcnt(14)
	v_mov_b32_e32 v44, 0
	s_waitcnt vmcnt(13)
	v_mov_b32_e32 v43, 0
	;; [unrolled: 2-line block ×15, first 2 shown]
	s_branch .LBB134_12
.LBB134_26:
	s_endpgm
	.section	.rodata,"a",@progbits
	.p2align	6, 0x0
	.amdhsa_kernel _Z16wvSplitK_hf_sml_I6__halfLi32ELi3ELi16ELi8ELi2ELi5EEviiiiiiPKT_S3_S3_PS1_ii
		.amdhsa_group_segment_fixed_size 65536
		.amdhsa_private_segment_fixed_size 0
		.amdhsa_kernarg_size 64
		.amdhsa_user_sgpr_count 2
		.amdhsa_user_sgpr_dispatch_ptr 0
		.amdhsa_user_sgpr_queue_ptr 0
		.amdhsa_user_sgpr_kernarg_segment_ptr 1
		.amdhsa_user_sgpr_dispatch_id 0
		.amdhsa_user_sgpr_kernarg_preload_length 0
		.amdhsa_user_sgpr_kernarg_preload_offset 0
		.amdhsa_user_sgpr_private_segment_size 0
		.amdhsa_uses_dynamic_stack 0
		.amdhsa_enable_private_segment 0
		.amdhsa_system_sgpr_workgroup_id_x 1
		.amdhsa_system_sgpr_workgroup_id_y 0
		.amdhsa_system_sgpr_workgroup_id_z 0
		.amdhsa_system_sgpr_workgroup_info 0
		.amdhsa_system_vgpr_workitem_id 1
		.amdhsa_next_free_vgpr 98
		.amdhsa_next_free_sgpr 35
		.amdhsa_accum_offset 100
		.amdhsa_reserve_vcc 1
		.amdhsa_float_round_mode_32 0
		.amdhsa_float_round_mode_16_64 0
		.amdhsa_float_denorm_mode_32 3
		.amdhsa_float_denorm_mode_16_64 3
		.amdhsa_dx10_clamp 1
		.amdhsa_ieee_mode 1
		.amdhsa_fp16_overflow 0
		.amdhsa_tg_split 0
		.amdhsa_exception_fp_ieee_invalid_op 0
		.amdhsa_exception_fp_denorm_src 0
		.amdhsa_exception_fp_ieee_div_zero 0
		.amdhsa_exception_fp_ieee_overflow 0
		.amdhsa_exception_fp_ieee_underflow 0
		.amdhsa_exception_fp_ieee_inexact 0
		.amdhsa_exception_int_div_zero 0
	.end_amdhsa_kernel
	.section	.text._Z16wvSplitK_hf_sml_I6__halfLi32ELi3ELi16ELi8ELi2ELi5EEviiiiiiPKT_S3_S3_PS1_ii,"axG",@progbits,_Z16wvSplitK_hf_sml_I6__halfLi32ELi3ELi16ELi8ELi2ELi5EEviiiiiiPKT_S3_S3_PS1_ii,comdat
.Lfunc_end134:
	.size	_Z16wvSplitK_hf_sml_I6__halfLi32ELi3ELi16ELi8ELi2ELi5EEviiiiiiPKT_S3_S3_PS1_ii, .Lfunc_end134-_Z16wvSplitK_hf_sml_I6__halfLi32ELi3ELi16ELi8ELi2ELi5EEviiiiiiPKT_S3_S3_PS1_ii
                                        ; -- End function
	.section	.AMDGPU.csdata,"",@progbits
; Kernel info:
; codeLenInByte = 5396
; NumSgprs: 41
; NumVgprs: 98
; NumAgprs: 0
; TotalNumVgprs: 98
; ScratchSize: 0
; MemoryBound: 0
; FloatMode: 240
; IeeeMode: 1
; LDSByteSize: 65536 bytes/workgroup (compile time only)
; SGPRBlocks: 5
; VGPRBlocks: 12
; NumSGPRsForWavesPerEU: 41
; NumVGPRsForWavesPerEU: 98
; AccumOffset: 100
; Occupancy: 2
; WaveLimiterHint : 0
; COMPUTE_PGM_RSRC2:SCRATCH_EN: 0
; COMPUTE_PGM_RSRC2:USER_SGPR: 2
; COMPUTE_PGM_RSRC2:TRAP_HANDLER: 0
; COMPUTE_PGM_RSRC2:TGID_X_EN: 1
; COMPUTE_PGM_RSRC2:TGID_Y_EN: 0
; COMPUTE_PGM_RSRC2:TGID_Z_EN: 0
; COMPUTE_PGM_RSRC2:TIDIG_COMP_CNT: 1
; COMPUTE_PGM_RSRC3_GFX90A:ACCUM_OFFSET: 24
; COMPUTE_PGM_RSRC3_GFX90A:TG_SPLIT: 0
	.section	.text._Z12wvSplitK_hf_I6__halfLi32ELi3ELi16ELi8ELi2ELi5EEviiiiiiPKT_S3_S3_PS1_ii,"axG",@progbits,_Z12wvSplitK_hf_I6__halfLi32ELi3ELi16ELi8ELi2ELi5EEviiiiiiPKT_S3_S3_PS1_ii,comdat
	.protected	_Z12wvSplitK_hf_I6__halfLi32ELi3ELi16ELi8ELi2ELi5EEviiiiiiPKT_S3_S3_PS1_ii ; -- Begin function _Z12wvSplitK_hf_I6__halfLi32ELi3ELi16ELi8ELi2ELi5EEviiiiiiPKT_S3_S3_PS1_ii
	.globl	_Z12wvSplitK_hf_I6__halfLi32ELi3ELi16ELi8ELi2ELi5EEviiiiiiPKT_S3_S3_PS1_ii
	.p2align	8
	.type	_Z12wvSplitK_hf_I6__halfLi32ELi3ELi16ELi8ELi2ELi5EEviiiiiiPKT_S3_S3_PS1_ii,@function
_Z12wvSplitK_hf_I6__halfLi32ELi3ELi16ELi8ELi2ELi5EEviiiiiiPKT_S3_S3_PS1_ii: ; @_Z12wvSplitK_hf_I6__halfLi32ELi3ELi16ELi8ELi2ELi5EEviiiiiiPKT_S3_S3_PS1_ii
; %bb.0:
	s_load_dwordx2 s[22:23], s[0:1], 0x38
	s_load_dwordx2 s[16:17], s[0:1], 0x20
	s_load_dwordx4 s[8:11], s[0:1], 0x0
	s_load_dwordx2 s[18:19], s[0:1], 0x10
	v_bfe_u32 v5, v0, 10, 10
	s_waitcnt lgkmcnt(0)
	s_mul_i32 s2, s2, s22
	v_add_u32_e32 v1, s2, v5
	v_lshl_add_u32 v70, v1, 1, v1
	s_mov_b32 s4, 1
	v_add_u32_e32 v1, 3, v70
	s_mov_b32 s6, s4
	v_cmp_gt_u32_e32 vcc, s11, v70
	v_cmp_le_u32_e64 s[2:3], s11, v1
	s_mov_b32 s5, s4
	v_mov_b32_e32 v66, s6
	s_and_b64 s[12:13], vcc, s[2:3]
	v_mov_b32_e32 v65, s5
	v_mov_b32_e32 v64, s4
	s_and_saveexec_b64 s[2:3], s[12:13]
	s_cbranch_execz .LBB135_6
; %bb.1:
	s_add_i32 s7, s11, -3
	v_mov_b32_e32 v66, s6
	v_cmp_ne_u32_e32 vcc, s7, v70
	v_mov_b32_e32 v65, s5
	v_mov_b32_e32 v64, s4
	s_and_saveexec_b64 s[12:13], vcc
	s_cbranch_execz .LBB135_5
; %bb.2:
	v_subrev_u32_e32 v1, s7, v70
	v_cmp_lt_u32_e32 vcc, 1, v1
	s_mov_b64 s[14:15], 0
	s_mov_b64 s[20:21], 0
	v_cndmask_b32_e32 v2, 1, v1, vcc
	s_mov_b32 s5, s4
	s_mov_b32 s6, s4
.LBB135_3:                              ; =>This Inner Loop Header: Depth=1
	s_cmp_lg_u32 s20, 2
	s_cselect_b32 s6, s6, 0
	s_cmp_lg_u32 s20, 1
	s_cselect_b32 s5, s5, 0
	s_cmp_lg_u32 s20, 0
	s_cselect_b32 s4, s4, 0
	s_add_u32 s20, s20, 1
	s_addc_u32 s21, s21, 0
	v_cmp_eq_u32_e32 vcc, s20, v2
	v_mov_b32_e32 v66, s6
	s_or_b64 s[14:15], vcc, s[14:15]
	v_mov_b32_e32 v65, s5
	v_mov_b32_e32 v64, s4
	s_andn2_b64 exec, exec, s[14:15]
	s_cbranch_execnz .LBB135_3
; %bb.4:
	s_or_b64 exec, exec, s[14:15]
	v_mov_b32_e32 v70, s7
.LBB135_5:
	s_or_b64 exec, exec, s[12:13]
.LBB135_6:
	s_or_b64 exec, exec, s[2:3]
	v_and_b32_e32 v4, 0x3ff, v0
	v_lshlrev_b32_e32 v68, 3, v4
	s_mul_i32 s2, s10, 5
	v_lshl_add_u32 v6, v5, 8, v68
	s_min_u32 s4, s2, 0x8000
	v_cmp_gt_u32_e32 vcc, s4, v6
	s_and_saveexec_b64 s[2:3], vcc
	s_cbranch_execz .LBB135_15
; %bb.7:
	v_lshlrev_b32_e32 v0, 1, v6
	global_load_dwordx4 v[8:11], v0, s[16:17]
	v_add_u32_e32 v1, 0x1000, v6
	v_cmp_gt_u32_e32 vcc, s4, v1
	s_waitcnt vmcnt(0)
	ds_write_b128 v0, v[8:11]
	s_and_saveexec_b64 s[6:7], vcc
	s_xor_b64 s[6:7], exec, s[6:7]
	s_cbranch_execz .LBB135_15
; %bb.8:
	v_mov_b32_e32 v1, 0
	v_lshl_add_u64 v[2:3], s[16:17], 0, v[0:1]
	v_add_co_u32_e32 v8, vcc, 0x2000, v2
	v_add_u32_e32 v1, 0x2000, v6
	s_nop 0
	v_addc_co_u32_e32 v9, vcc, 0, v3, vcc
	global_load_dwordx4 v[8:11], v[8:9], off
	v_cmp_gt_u32_e32 vcc, s4, v1
	s_waitcnt vmcnt(0)
	ds_write_b128 v0, v[8:11] offset:8192
	s_and_saveexec_b64 s[6:7], vcc
	s_xor_b64 s[6:7], exec, s[6:7]
	s_cbranch_execz .LBB135_15
; %bb.9:
	v_add_co_u32_e32 v8, vcc, 0x4000, v2
	v_add_u32_e32 v1, 0x3000, v6
	s_nop 0
	v_addc_co_u32_e32 v9, vcc, 0, v3, vcc
	global_load_dwordx4 v[8:11], v[8:9], off
	v_cmp_gt_u32_e32 vcc, s4, v1
	s_waitcnt vmcnt(0)
	ds_write_b128 v0, v[8:11] offset:16384
	s_and_saveexec_b64 s[6:7], vcc
	s_xor_b64 s[6:7], exec, s[6:7]
	s_cbranch_execz .LBB135_15
; %bb.10:
	;; [unrolled: 12-line block ×6, first 2 shown]
	v_add_co_u32_e32 v2, vcc, 0xe000, v2
	s_nop 1
	v_addc_co_u32_e32 v3, vcc, 0, v3, vcc
	global_load_dwordx4 v[6:9], v[2:3], off
	s_waitcnt vmcnt(0)
	ds_write_b128 v0, v[6:9] offset:57344
.LBB135_15:
	s_or_b64 exec, exec, s[2:3]
	v_cmp_gt_u32_e32 vcc, s22, v5
	v_cmp_gt_u32_e64 s[2:3], s11, v70
	s_and_b64 s[2:3], vcc, s[2:3]
	s_waitcnt lgkmcnt(0)
	s_barrier
	s_and_saveexec_b64 s[4:5], s[2:3]
	s_cbranch_execz .LBB135_104
; %bb.16:
	s_load_dwordx4 s[12:15], s[0:1], 0x28
	s_load_dwordx2 s[20:21], s[0:1], 0x18
	s_cmp_lg_u32 s8, 0
	s_cselect_b64 s[2:3], -1, 0
	s_add_i32 s33, s8, -8
	s_add_i32 s36, s11, -1
	s_waitcnt lgkmcnt(0)
	s_cmp_lg_u64 s[12:13], 0
	s_cselect_b64 s[24:25], -1, 0
	s_abs_i32 s4, s19
	v_cvt_f32_u32_e32 v0, s18
	v_cvt_f32_u32_e32 v1, s4
	s_sub_i32 s5, 0, s18
	s_add_i32 s38, s11, -3
	v_rcp_iflag_f32_e32 v0, v0
	v_rcp_iflag_f32_e32 v1, v1
	s_lshl_b32 s19, s10, 1
	v_lshlrev_b32_e32 v69, 4, v4
	v_mul_f32_e32 v0, 0x4f7ffffe, v0
	v_mul_f32_e32 v1, 0x4f7ffffe, v1
	v_cvt_u32_f32_e32 v0, v0
	v_cvt_u32_f32_e32 v1, v1
	s_mul_i32 s37, s22, s23
	v_cmp_eq_u32_e64 s[0:1], 31, v4
	v_mul_lo_u32 v2, s5, v0
	s_sub_i32 s5, 0, s4
	v_readfirstlane_b32 s6, v1
	s_mul_i32 s5, s5, s6
	s_mul_hi_u32 s5, s6, s5
	s_add_i32 s6, s6, s5
	s_sub_i32 s5, 1, s4
	s_cmp_lt_u32 s4, 2
	s_cselect_b32 s5, s5, 1
	s_sub_i32 s7, s5, s4
	s_cmp_ge_u32 s5, s4
	s_cselect_b32 s39, s7, s5
	s_lshr_b32 s5, s6, 31
	s_mul_i32 s5, s5, s4
	s_sub_i32 s5, 2, s5
	s_sub_i32 s7, s5, s4
	s_cmp_ge_u32 s5, s4
	s_cselect_b32 s5, s7, s5
	s_sub_i32 s7, s5, s4
	s_cmp_ge_u32 s5, s4
	s_cselect_b32 s40, s7, s5
	s_mul_hi_u32 s5, s6, 3
	s_mul_i32 s5, s5, s4
	s_sub_i32 s5, 3, s5
	s_sub_i32 s7, s5, s4
	s_cmp_ge_u32 s5, s4
	s_cselect_b32 s5, s7, s5
	s_sub_i32 s7, s5, s4
	s_cmp_ge_u32 s5, s4
	s_cselect_b32 s41, s7, s5
	s_lshr_b32 s5, s6, 30
	s_mul_i32 s5, s5, s4
	s_sub_i32 s5, 4, s5
	s_sub_i32 s6, s5, s4
	s_cmp_ge_u32 s5, s4
	s_cselect_b32 s5, s6, s5
	s_sub_i32 s6, s5, s4
	v_mul_hi_u32 v2, v0, v2
	s_cmp_ge_u32 s5, s4
	v_add_u32_e32 v67, v0, v2
	s_cselect_b32 s42, s6, s5
	s_lshl_b32 s43, s10, 2
	v_mad_u64_u32 v[74:75], s[4:5], s10, 3, v[68:69]
	v_cndmask_b32_e64 v0, 0, 1, s[2:3]
	s_mov_b64 s[22:23], 0
	s_mul_i32 s37, s37, 3
	v_mov_b32_e32 v73, 0
	s_mul_i32 s39, s39, s18
	s_mul_i32 s40, s40, s18
	;; [unrolled: 1-line block ×4, first 2 shown]
	v_add_u32_e32 v94, s19, v68
	s_mul_i32 s44, s10, 6
	s_lshl_b32 s45, s10, 3
	v_add_u32_e32 v75, s43, v68
	v_add_u32_e32 v95, s10, v68
	v_cmp_ne_u32_e64 s[2:3], 1, v0
	s_movk_i32 s10, 0x7fff
	s_mov_b32 s26, 0
	s_branch .LBB135_19
.LBB135_17:                             ;   in Loop: Header=BB135_19 Depth=1
	s_or_b64 exec, exec, s[28:29]
	v_mov_b32_e32 v70, s38
.LBB135_18:                             ;   in Loop: Header=BB135_19 Depth=1
	s_or_b64 exec, exec, s[6:7]
	v_cmp_le_u32_e32 vcc, s11, v70
	s_or_b64 s[22:23], vcc, s[22:23]
	s_andn2_b64 exec, exec, s[22:23]
	s_cbranch_execz .LBB135_104
.LBB135_19:                             ; =>This Loop Header: Depth=1
                                        ;     Child Loop BB135_24 Depth 2
                                        ;     Child Loop BB135_88 Depth 2
	s_and_b64 vcc, exec, s[2:3]
	v_add_u32_e32 v78, 1, v70
	v_add_u32_e32 v76, 2, v70
	v_mov_b32_e32 v107, v73
	v_mov_b32_e32 v106, v73
	;; [unrolled: 1-line block ×15, first 2 shown]
	s_cbranch_vccnz .LBB135_66
; %bb.20:                               ;   in Loop: Header=BB135_19 Depth=1
	v_min_u32_e32 v0, s36, v70
	v_mul_lo_u32 v72, v0, s9
	v_min_u32_e32 v0, s36, v78
	v_min_u32_e32 v2, s36, v76
	v_mul_lo_u32 v0, v0, s9
	v_mov_b32_e32 v1, v73
	v_mul_lo_u32 v2, v2, s9
	v_mov_b32_e32 v3, v73
	v_mov_b32_e32 v101, 0
	v_lshlrev_b64 v[80:81], 1, v[72:73]
	v_lshlrev_b64 v[82:83], 1, v[0:1]
	;; [unrolled: 1-line block ×3, first 2 shown]
	v_mov_b32_e32 v108, v69
	v_mov_b32_e32 v100, 0
	;; [unrolled: 1-line block ×15, first 2 shown]
	s_mov_b32 s30, s26
	s_branch .LBB135_24
.LBB135_21:                             ;   in Loop: Header=BB135_24 Depth=2
	s_or_b64 exec, exec, s[28:29]
.LBB135_22:                             ;   in Loop: Header=BB135_24 Depth=2
	s_or_b64 exec, exec, s[6:7]
.LBB135_23:                             ;   in Loop: Header=BB135_24 Depth=2
	s_or_b64 exec, exec, s[4:5]
	s_waitcnt vmcnt(0) lgkmcnt(0)
	;;#ASMSTART
	v_dot2c_f32_f16 v107, v40, v20
	;;#ASMEND
	;;#ASMSTART
	v_dot2c_f32_f16 v106, v40, v12
	;;#ASMEND
	;;#ASMSTART
	v_dot2c_f32_f16 v105, v40, v16
	;;#ASMEND
	;;#ASMSTART
	v_dot2c_f32_f16 v104, v36, v20
	;;#ASMEND
	;;#ASMSTART
	v_dot2c_f32_f16 v103, v36, v12
	;;#ASMEND
	;;#ASMSTART
	v_dot2c_f32_f16 v102, v36, v16
	;;#ASMEND
	;;#ASMSTART
	v_dot2c_f32_f16 v101, v32, v20
	;;#ASMEND
	;;#ASMSTART
	v_dot2c_f32_f16 v100, v32, v12
	;;#ASMEND
	;;#ASMSTART
	v_dot2c_f32_f16 v99, v32, v16
	;;#ASMEND
	;;#ASMSTART
	v_dot2c_f32_f16 v98, v28, v20
	;;#ASMEND
	;;#ASMSTART
	v_dot2c_f32_f16 v97, v28, v12
	;;#ASMEND
	;;#ASMSTART
	v_dot2c_f32_f16 v96, v28, v16
	;;#ASMEND
	;;#ASMSTART
	v_dot2c_f32_f16 v79, v24, v20
	;;#ASMEND
	;;#ASMSTART
	v_dot2c_f32_f16 v77, v24, v12
	;;#ASMEND
	;;#ASMSTART
	v_dot2c_f32_f16 v71, v24, v16
	;;#ASMEND
	s_nop 0
	;;#ASMSTART
	v_dot2c_f32_f16 v107, v41, v21
	;;#ASMEND
	;;#ASMSTART
	v_dot2c_f32_f16 v106, v41, v13
	;;#ASMEND
	;;#ASMSTART
	v_dot2c_f32_f16 v105, v41, v17
	;;#ASMEND
	;;#ASMSTART
	v_dot2c_f32_f16 v104, v37, v21
	;;#ASMEND
	;;#ASMSTART
	v_dot2c_f32_f16 v103, v37, v13
	;;#ASMEND
	;;#ASMSTART
	v_dot2c_f32_f16 v102, v37, v17
	;;#ASMEND
	;;#ASMSTART
	v_dot2c_f32_f16 v101, v33, v21
	;;#ASMEND
	;;#ASMSTART
	v_dot2c_f32_f16 v100, v33, v13
	;;#ASMEND
	;;#ASMSTART
	v_dot2c_f32_f16 v99, v33, v17
	;;#ASMEND
	;;#ASMSTART
	v_dot2c_f32_f16 v98, v29, v21
	;;#ASMEND
	;;#ASMSTART
	v_dot2c_f32_f16 v97, v29, v13
	;;#ASMEND
	;;#ASMSTART
	v_dot2c_f32_f16 v96, v29, v17
	;;#ASMEND
	;;#ASMSTART
	v_dot2c_f32_f16 v79, v25, v21
	;;#ASMEND
	;;#ASMSTART
	v_dot2c_f32_f16 v77, v25, v13
	;;#ASMEND
	;;#ASMSTART
	v_dot2c_f32_f16 v71, v25, v17
	;;#ASMEND
	s_nop 0
	;;#ASMSTART
	v_dot2c_f32_f16 v107, v42, v22
	;;#ASMEND
	;;#ASMSTART
	v_dot2c_f32_f16 v106, v42, v14
	;;#ASMEND
	;;#ASMSTART
	v_dot2c_f32_f16 v105, v42, v18
	;;#ASMEND
	;;#ASMSTART
	v_dot2c_f32_f16 v104, v38, v22
	;;#ASMEND
	;;#ASMSTART
	v_dot2c_f32_f16 v103, v38, v14
	;;#ASMEND
	;;#ASMSTART
	v_dot2c_f32_f16 v102, v38, v18
	;;#ASMEND
	;;#ASMSTART
	v_dot2c_f32_f16 v101, v34, v22
	;;#ASMEND
	;;#ASMSTART
	v_dot2c_f32_f16 v100, v34, v14
	;;#ASMEND
	;;#ASMSTART
	v_dot2c_f32_f16 v99, v34, v18
	;;#ASMEND
	;;#ASMSTART
	v_dot2c_f32_f16 v98, v30, v22
	;;#ASMEND
	;;#ASMSTART
	v_dot2c_f32_f16 v97, v30, v14
	;;#ASMEND
	;;#ASMSTART
	v_dot2c_f32_f16 v96, v30, v18
	;;#ASMEND
	;;#ASMSTART
	v_dot2c_f32_f16 v79, v26, v22
	;;#ASMEND
	;;#ASMSTART
	v_dot2c_f32_f16 v77, v26, v14
	;;#ASMEND
	;;#ASMSTART
	v_dot2c_f32_f16 v71, v26, v18
	;;#ASMEND
	s_nop 0
	;;#ASMSTART
	v_dot2c_f32_f16 v107, v43, v23
	;;#ASMEND
	;;#ASMSTART
	v_dot2c_f32_f16 v106, v43, v15
	;;#ASMEND
	;;#ASMSTART
	v_dot2c_f32_f16 v105, v43, v19
	;;#ASMEND
	;;#ASMSTART
	v_dot2c_f32_f16 v104, v39, v23
	;;#ASMEND
	;;#ASMSTART
	v_dot2c_f32_f16 v103, v39, v15
	;;#ASMEND
	;;#ASMSTART
	v_dot2c_f32_f16 v102, v39, v19
	;;#ASMEND
	;;#ASMSTART
	v_dot2c_f32_f16 v101, v35, v23
	;;#ASMEND
	;;#ASMSTART
	v_dot2c_f32_f16 v100, v35, v15
	;;#ASMEND
	;;#ASMSTART
	v_dot2c_f32_f16 v99, v35, v19
	;;#ASMEND
	;;#ASMSTART
	v_dot2c_f32_f16 v98, v31, v23
	;;#ASMEND
	;;#ASMSTART
	v_dot2c_f32_f16 v97, v31, v15
	;;#ASMEND
	;;#ASMSTART
	v_dot2c_f32_f16 v96, v31, v19
	;;#ASMEND
	;;#ASMSTART
	v_dot2c_f32_f16 v79, v27, v23
	;;#ASMEND
	;;#ASMSTART
	v_dot2c_f32_f16 v77, v27, v15
	;;#ASMEND
	;;#ASMSTART
	v_dot2c_f32_f16 v71, v27, v19
	;;#ASMEND
	s_nop 0
	;;#ASMSTART
	v_dot2c_f32_f16 v107, v60, v8
	;;#ASMEND
	;;#ASMSTART
	v_dot2c_f32_f16 v106, v60, v4
	;;#ASMEND
	;;#ASMSTART
	v_dot2c_f32_f16 v105, v60, v0
	;;#ASMEND
	;;#ASMSTART
	v_dot2c_f32_f16 v104, v56, v8
	;;#ASMEND
	;;#ASMSTART
	v_dot2c_f32_f16 v103, v56, v4
	;;#ASMEND
	;;#ASMSTART
	v_dot2c_f32_f16 v102, v56, v0
	;;#ASMEND
	;;#ASMSTART
	v_dot2c_f32_f16 v101, v52, v8
	;;#ASMEND
	;;#ASMSTART
	v_dot2c_f32_f16 v100, v52, v4
	;;#ASMEND
	;;#ASMSTART
	v_dot2c_f32_f16 v99, v52, v0
	;;#ASMEND
	;;#ASMSTART
	v_dot2c_f32_f16 v98, v48, v8
	;;#ASMEND
	;;#ASMSTART
	v_dot2c_f32_f16 v97, v48, v4
	;;#ASMEND
	;;#ASMSTART
	v_dot2c_f32_f16 v96, v48, v0
	;;#ASMEND
	;;#ASMSTART
	v_dot2c_f32_f16 v79, v44, v8
	;;#ASMEND
	;;#ASMSTART
	v_dot2c_f32_f16 v77, v44, v4
	;;#ASMEND
	;;#ASMSTART
	v_dot2c_f32_f16 v71, v44, v0
	;;#ASMEND
	s_nop 0
	;;#ASMSTART
	v_dot2c_f32_f16 v107, v61, v9
	;;#ASMEND
	;;#ASMSTART
	v_dot2c_f32_f16 v106, v61, v5
	;;#ASMEND
	;;#ASMSTART
	v_dot2c_f32_f16 v105, v61, v1
	;;#ASMEND
	;;#ASMSTART
	v_dot2c_f32_f16 v104, v57, v9
	;;#ASMEND
	;;#ASMSTART
	v_dot2c_f32_f16 v103, v57, v5
	;;#ASMEND
	;;#ASMSTART
	v_dot2c_f32_f16 v102, v57, v1
	;;#ASMEND
	;;#ASMSTART
	v_dot2c_f32_f16 v101, v53, v9
	;;#ASMEND
	;;#ASMSTART
	v_dot2c_f32_f16 v100, v53, v5
	;;#ASMEND
	;;#ASMSTART
	v_dot2c_f32_f16 v99, v53, v1
	;;#ASMEND
	;;#ASMSTART
	v_dot2c_f32_f16 v98, v49, v9
	;;#ASMEND
	;;#ASMSTART
	v_dot2c_f32_f16 v97, v49, v5
	;;#ASMEND
	;;#ASMSTART
	v_dot2c_f32_f16 v96, v49, v1
	;;#ASMEND
	;;#ASMSTART
	v_dot2c_f32_f16 v79, v45, v9
	;;#ASMEND
	;;#ASMSTART
	v_dot2c_f32_f16 v77, v45, v5
	;;#ASMEND
	;;#ASMSTART
	v_dot2c_f32_f16 v71, v45, v1
	;;#ASMEND
	s_addk_i32 s30, 0x200
	;;#ASMSTART
	v_dot2c_f32_f16 v107, v62, v10
	;;#ASMEND
	;;#ASMSTART
	v_dot2c_f32_f16 v106, v62, v6
	;;#ASMEND
	;; [unrolled: 3-line block ×15, first 2 shown]
	s_cmp_ge_u32 s30, s8
	v_add_u32_e32 v108, 0x400, v108
	;;#ASMSTART
	v_dot2c_f32_f16 v107, v63, v11
	;;#ASMEND
	;;#ASMSTART
	v_dot2c_f32_f16 v106, v63, v7
	;;#ASMEND
	;; [unrolled: 3-line block ×15, first 2 shown]
	s_cbranch_scc1 .LBB135_66
.LBB135_24:                             ;   Parent Loop BB135_19 Depth=1
                                        ; =>  This Inner Loop Header: Depth=2
	v_add_u32_e32 v88, s30, v68
	v_min_u32_e32 v72, s33, v88
	v_lshl_add_u64 v[0:1], v[72:73], 1, s[20:21]
	v_add_u32_e32 v86, 0x100, v88
	v_lshl_add_u64 v[2:3], v[0:1], 0, v[80:81]
	v_min_u32_e32 v72, s33, v86
	v_lshl_add_u64 v[4:5], v[0:1], 0, v[82:83]
	global_load_dwordx4 v[20:23], v[2:3], off nt
	global_load_dwordx4 v[12:15], v[4:5], off nt
	v_lshl_add_u64 v[2:3], v[72:73], 1, s[20:21]
	v_lshl_add_u64 v[0:1], v[0:1], 0, v[84:85]
	;; [unrolled: 1-line block ×4, first 2 shown]
	global_load_dwordx4 v[16:19], v[0:1], off nt
	global_load_dwordx4 v[8:11], v[4:5], off nt
	v_lshl_add_u64 v[26:27], v[2:3], 0, v[84:85]
	global_load_dwordx4 v[4:7], v[24:25], off nt
	global_load_dwordx4 v[0:3], v[26:27], off nt
	s_mov_b32 s27, s26
	v_cmp_gt_u32_e32 vcc, s8, v88
	v_mov_b64_e32 v[50:51], s[26:27]
	v_mov_b32_e32 v47, 0
	v_mov_b32_e32 v46, 0
	;; [unrolled: 1-line block ×3, first 2 shown]
	s_waitcnt vmcnt(20)
	v_mov_b32_e32 v44, 0
	v_mov_b64_e32 v[48:49], s[26:27]
	v_mov_b64_e32 v[54:55], s[26:27]
	;; [unrolled: 1-line block ×9, first 2 shown]
	s_waitcnt vmcnt(6)
	v_mov_b64_e32 v[30:31], s[26:27]
	v_mov_b64_e32 v[28:29], s[26:27]
	;; [unrolled: 1-line block ×8, first 2 shown]
	s_and_saveexec_b64 s[4:5], vcc
	s_cbranch_execz .LBB135_23
; %bb.25:                               ;   in Loop: Header=BB135_24 Depth=2
	v_cmp_lt_u32_e32 vcc, s10, v88
                                        ; implicit-def: $vgpr42_vgpr43
	s_and_saveexec_b64 s[6:7], vcc
	s_xor_b64 s[6:7], exec, s[6:7]
	s_cbranch_execz .LBB135_27
; %bb.26:                               ;   in Loop: Header=BB135_24 Depth=2
	v_mov_b32_e32 v89, v73
	v_lshl_add_u64 v[24:25], v[88:89], 1, s[16:17]
	global_load_dwordx4 v[40:43], v[24:25], off
.LBB135_27:                             ;   in Loop: Header=BB135_24 Depth=2
	s_andn2_saveexec_b64 s[6:7], s[6:7]
	s_cbranch_execz .LBB135_29
; %bb.28:                               ;   in Loop: Header=BB135_24 Depth=2
	s_waitcnt vmcnt(0)
	ds_read_b128 v[40:43], v108
.LBB135_29:                             ;   in Loop: Header=BB135_24 Depth=2
	s_or_b64 exec, exec, s[6:7]
	v_add_u32_e32 v72, s30, v95
	v_cmp_lt_u32_e32 vcc, s10, v72
                                        ; implicit-def: $vgpr38_vgpr39
	s_and_saveexec_b64 s[6:7], vcc
	s_xor_b64 s[6:7], exec, s[6:7]
	s_cbranch_execz .LBB135_31
; %bb.30:                               ;   in Loop: Header=BB135_24 Depth=2
	v_lshl_add_u64 v[24:25], v[72:73], 1, s[16:17]
	global_load_dwordx4 v[36:39], v[24:25], off
.LBB135_31:                             ;   in Loop: Header=BB135_24 Depth=2
	s_andn2_saveexec_b64 s[6:7], s[6:7]
	s_cbranch_execz .LBB135_33
; %bb.32:                               ;   in Loop: Header=BB135_24 Depth=2
	v_add_u32_e32 v24, s19, v108
	s_waitcnt vmcnt(0)
	ds_read_b128 v[36:39], v24
.LBB135_33:                             ;   in Loop: Header=BB135_24 Depth=2
	s_or_b64 exec, exec, s[6:7]
	v_add_u32_e32 v92, s30, v94
	v_cmp_lt_u32_e32 vcc, s10, v92
                                        ; implicit-def: $vgpr34_vgpr35
	s_and_saveexec_b64 s[6:7], vcc
	s_xor_b64 s[6:7], exec, s[6:7]
	s_cbranch_execz .LBB135_35
; %bb.34:                               ;   in Loop: Header=BB135_24 Depth=2
	v_mov_b32_e32 v93, v73
	v_lshl_add_u64 v[24:25], v[92:93], 1, s[16:17]
	global_load_dwordx4 v[32:35], v[24:25], off
.LBB135_35:                             ;   in Loop: Header=BB135_24 Depth=2
	s_andn2_saveexec_b64 s[6:7], s[6:7]
	s_cbranch_execz .LBB135_37
; %bb.36:                               ;   in Loop: Header=BB135_24 Depth=2
	v_add_u32_e32 v24, s43, v108
	s_waitcnt vmcnt(0)
	ds_read2_b32 v[32:33], v24 offset1:1
	ds_read2_b32 v[34:35], v24 offset0:2 offset1:3
.LBB135_37:                             ;   in Loop: Header=BB135_24 Depth=2
	s_or_b64 exec, exec, s[6:7]
	v_add_u32_e32 v90, s30, v74
	v_cmp_lt_u32_e32 vcc, s10, v90
                                        ; implicit-def: $vgpr30_vgpr31
	s_and_saveexec_b64 s[6:7], vcc
	s_xor_b64 s[6:7], exec, s[6:7]
	s_cbranch_execz .LBB135_39
; %bb.38:                               ;   in Loop: Header=BB135_24 Depth=2
	v_mov_b32_e32 v91, v73
	v_lshl_add_u64 v[24:25], v[90:91], 1, s[16:17]
	global_load_dwordx4 v[28:31], v[24:25], off
.LBB135_39:                             ;   in Loop: Header=BB135_24 Depth=2
	s_andn2_saveexec_b64 s[6:7], s[6:7]
	s_cbranch_execz .LBB135_41
; %bb.40:                               ;   in Loop: Header=BB135_24 Depth=2
	v_add_u32_e32 v24, s44, v108
	s_waitcnt vmcnt(0)
	ds_read_b128 v[28:31], v24
.LBB135_41:                             ;   in Loop: Header=BB135_24 Depth=2
	s_or_b64 exec, exec, s[6:7]
	v_add_u32_e32 v88, s30, v75
	v_cmp_lt_u32_e32 vcc, s10, v88
                                        ; implicit-def: $vgpr26_vgpr27
	s_and_saveexec_b64 s[6:7], vcc
	s_xor_b64 s[6:7], exec, s[6:7]
	s_cbranch_execz .LBB135_43
; %bb.42:                               ;   in Loop: Header=BB135_24 Depth=2
	v_mov_b32_e32 v89, v73
	v_lshl_add_u64 v[24:25], v[88:89], 1, s[16:17]
	global_load_dwordx4 v[24:27], v[24:25], off
.LBB135_43:                             ;   in Loop: Header=BB135_24 Depth=2
	s_andn2_saveexec_b64 s[6:7], s[6:7]
	s_cbranch_execz .LBB135_45
; %bb.44:                               ;   in Loop: Header=BB135_24 Depth=2
	s_waitcnt vmcnt(0)
	v_add_u32_e32 v24, s45, v108
	ds_read2_b64 v[24:27], v24 offset1:1
.LBB135_45:                             ;   in Loop: Header=BB135_24 Depth=2
	s_or_b64 exec, exec, s[6:7]
	s_mov_b32 s27, s26
	v_cmp_gt_u32_e32 vcc, s8, v86
	v_mov_b32_e32 v47, 0
	v_mov_b64_e32 v[50:51], s[26:27]
	v_mov_b32_e32 v46, 0
	v_mov_b32_e32 v45, 0
	v_mov_b32_e32 v44, 0
	v_mov_b64_e32 v[48:49], s[26:27]
	v_mov_b64_e32 v[54:55], s[26:27]
	;; [unrolled: 1-line block ×7, first 2 shown]
	s_and_saveexec_b64 s[6:7], vcc
	s_cbranch_execz .LBB135_22
; %bb.46:                               ;   in Loop: Header=BB135_24 Depth=2
	v_cmp_lt_u32_e32 vcc, s10, v86
                                        ; implicit-def: $vgpr62_vgpr63
	s_and_saveexec_b64 s[28:29], vcc
	s_xor_b64 s[28:29], exec, s[28:29]
	s_cbranch_execz .LBB135_48
; %bb.47:                               ;   in Loop: Header=BB135_24 Depth=2
	v_mov_b32_e32 v87, v73
	v_lshl_add_u64 v[44:45], v[86:87], 1, s[16:17]
	global_load_dwordx4 v[60:63], v[44:45], off
.LBB135_48:                             ;   in Loop: Header=BB135_24 Depth=2
	s_andn2_saveexec_b64 s[28:29], s[28:29]
	s_cbranch_execz .LBB135_50
; %bb.49:                               ;   in Loop: Header=BB135_24 Depth=2
	s_waitcnt vmcnt(0)
	ds_read_b128 v[60:63], v108 offset:512
.LBB135_50:                             ;   in Loop: Header=BB135_24 Depth=2
	s_or_b64 exec, exec, s[28:29]
	v_add_u32_e32 v72, 0x100, v72
	v_cmp_lt_u32_e32 vcc, s10, v72
                                        ; implicit-def: $vgpr58_vgpr59
	s_and_saveexec_b64 s[28:29], vcc
	s_xor_b64 s[28:29], exec, s[28:29]
	s_cbranch_execz .LBB135_52
; %bb.51:                               ;   in Loop: Header=BB135_24 Depth=2
	v_lshl_add_u64 v[44:45], v[72:73], 1, s[16:17]
	global_load_dwordx4 v[56:59], v[44:45], off
.LBB135_52:                             ;   in Loop: Header=BB135_24 Depth=2
	s_andn2_saveexec_b64 s[28:29], s[28:29]
	s_cbranch_execz .LBB135_54
; %bb.53:                               ;   in Loop: Header=BB135_24 Depth=2
	v_add_u32_e32 v44, s19, v108
	s_waitcnt vmcnt(0)
	ds_read_b128 v[56:59], v44 offset:512
.LBB135_54:                             ;   in Loop: Header=BB135_24 Depth=2
	s_or_b64 exec, exec, s[28:29]
	v_add_u32_e32 v72, 0x100, v92
	v_cmp_lt_u32_e32 vcc, s10, v72
                                        ; implicit-def: $vgpr54_vgpr55
	s_and_saveexec_b64 s[28:29], vcc
	s_xor_b64 s[28:29], exec, s[28:29]
	s_cbranch_execz .LBB135_56
; %bb.55:                               ;   in Loop: Header=BB135_24 Depth=2
	v_lshl_add_u64 v[44:45], v[72:73], 1, s[16:17]
	global_load_dwordx4 v[52:55], v[44:45], off
.LBB135_56:                             ;   in Loop: Header=BB135_24 Depth=2
	s_andn2_saveexec_b64 s[28:29], s[28:29]
	s_cbranch_execz .LBB135_58
; %bb.57:                               ;   in Loop: Header=BB135_24 Depth=2
	v_add_u32_e32 v44, s43, v108
	s_waitcnt vmcnt(0)
	ds_read2_b32 v[52:53], v44 offset0:128 offset1:129
	ds_read2_b32 v[54:55], v44 offset0:130 offset1:131
.LBB135_58:                             ;   in Loop: Header=BB135_24 Depth=2
	s_or_b64 exec, exec, s[28:29]
	v_add_u32_e32 v72, 0x100, v90
	v_cmp_lt_u32_e32 vcc, s10, v72
                                        ; implicit-def: $vgpr50_vgpr51
	s_and_saveexec_b64 s[28:29], vcc
	s_xor_b64 s[28:29], exec, s[28:29]
	s_cbranch_execz .LBB135_60
; %bb.59:                               ;   in Loop: Header=BB135_24 Depth=2
	v_lshl_add_u64 v[44:45], v[72:73], 1, s[16:17]
	global_load_dwordx4 v[48:51], v[44:45], off
.LBB135_60:                             ;   in Loop: Header=BB135_24 Depth=2
	s_andn2_saveexec_b64 s[28:29], s[28:29]
	s_cbranch_execz .LBB135_62
; %bb.61:                               ;   in Loop: Header=BB135_24 Depth=2
	v_add_u32_e32 v44, s44, v108
	s_waitcnt vmcnt(0)
	ds_read_b128 v[48:51], v44 offset:512
.LBB135_62:                             ;   in Loop: Header=BB135_24 Depth=2
	s_or_b64 exec, exec, s[28:29]
	v_add_u32_e32 v72, 0x100, v88
	v_cmp_lt_u32_e32 vcc, s10, v72
                                        ; implicit-def: $vgpr47
	s_and_saveexec_b64 s[28:29], vcc
	s_xor_b64 s[28:29], exec, s[28:29]
	s_cbranch_execz .LBB135_64
; %bb.63:                               ;   in Loop: Header=BB135_24 Depth=2
	v_lshl_add_u64 v[44:45], v[72:73], 1, s[16:17]
	global_load_dwordx4 v[44:47], v[44:45], off
.LBB135_64:                             ;   in Loop: Header=BB135_24 Depth=2
	s_andn2_saveexec_b64 s[28:29], s[28:29]
	s_cbranch_execz .LBB135_21
; %bb.65:                               ;   in Loop: Header=BB135_24 Depth=2
	s_waitcnt vmcnt(0)
	v_add_u32_e32 v44, s45, v108
	ds_read2_b64 v[44:47], v44 offset0:64 offset1:65
	s_branch .LBB135_21
.LBB135_66:                             ;   in Loop: Header=BB135_19 Depth=1
	v_cvt_i32_f32_e32 v0, v107
	v_cvt_i32_f32_e32 v1, v106
	;; [unrolled: 1-line block ×4, first 2 shown]
	v_cvt_f32_i32_dpp v0, v0 row_shr:8 row_mask:0xf bank_mask:0xf bound_ctrl:1
	v_cvt_f32_i32_dpp v1, v1 row_shr:8 row_mask:0xf bank_mask:0xf bound_ctrl:1
	;; [unrolled: 1-line block ×4, first 2 shown]
	v_add_f32_e32 v0, v107, v0
	v_cvt_i32_f32_e32 v4, v0
	v_add_f32_e32 v1, v106, v1
	v_cvt_i32_f32_e32 v6, v1
	v_add_f32_e32 v2, v105, v2
	v_cvt_f32_i32_dpp v4, v4 row_shr:4 row_mask:0xf bank_mask:0xf bound_ctrl:1
	v_cvt_i32_f32_e32 v7, v2
	v_cvt_f32_i32_dpp v6, v6 row_shr:4 row_mask:0xf bank_mask:0xf bound_ctrl:1
	v_add_f32_e32 v3, v104, v3
	v_add_f32_e32 v0, v0, v4
	v_cvt_i32_f32_e32 v4, v0
	v_add_f32_e32 v1, v1, v6
	v_cvt_i32_f32_e32 v6, v1
	v_cvt_f32_i32_dpp v7, v7 row_shr:4 row_mask:0xf bank_mask:0xf bound_ctrl:1
	v_cvt_f32_i32_dpp v4, v4 row_shr:2 row_mask:0xf bank_mask:0xf bound_ctrl:1
	v_cvt_i32_f32_e32 v8, v3
	v_cvt_f32_i32_dpp v6, v6 row_shr:2 row_mask:0xf bank_mask:0xf bound_ctrl:1
	v_add_f32_e32 v2, v2, v7
	v_add_f32_e32 v0, v0, v4
	v_cvt_i32_f32_e32 v4, v0
	v_add_f32_e32 v1, v1, v6
	v_cvt_i32_f32_e32 v6, v1
	v_cvt_i32_f32_e32 v7, v2
	v_cvt_f32_i32_dpp v4, v4 row_shr:1 row_mask:0xf bank_mask:0xf bound_ctrl:1
	v_cvt_i32_f32_e32 v5, v103
	v_cvt_f32_i32_dpp v6, v6 row_shr:1 row_mask:0xf bank_mask:0xf bound_ctrl:1
	v_cvt_f32_i32_dpp v7, v7 row_shr:2 row_mask:0xf bank_mask:0xf bound_ctrl:1
	v_add_f32_e32 v0, v0, v4
	v_cvt_i32_f32_e32 v4, v0
	v_add_f32_e32 v1, v1, v6
	v_add_f32_e32 v2, v2, v7
	v_cvt_i32_f32_e32 v6, v1
	v_cvt_f32_i32_dpp v4, v4 row_bcast:15 row_mask:0xf bank_mask:0xf bound_ctrl:1
	v_cvt_i32_f32_e32 v7, v2
	v_cvt_f32_i32_dpp v8, v8 row_shr:4 row_mask:0xf bank_mask:0xf bound_ctrl:1
	v_cvt_f32_i32_dpp v6, v6 row_bcast:15 row_mask:0xf bank_mask:0xf bound_ctrl:1
	v_add_f32_e32 v4, v0, v4
	v_cvt_i32_f32_e32 v0, v4
	v_cvt_f32_i32_dpp v7, v7 row_shr:1 row_mask:0xf bank_mask:0xf bound_ctrl:1
	v_add_f32_e32 v1, v1, v6
	v_cvt_i32_f32_e32 v9, v1
	v_mov_b32_dpp v6, v0 row_bcast:31 row_mask:0xf bank_mask:0xf bound_ctrl:1
	v_add_f32_e32 v0, v2, v7
	v_cvt_f32_i32_dpp v2, v5 row_shr:8 row_mask:0xf bank_mask:0xf bound_ctrl:1
	v_add_f32_e32 v5, v3, v8
	v_cvt_i32_f32_e32 v3, v5
	v_cvt_i32_f32_e32 v7, v0
	v_add_f32_e32 v2, v103, v2
	v_cvt_i32_f32_e32 v8, v2
	v_cvt_f32_i32_dpp v10, v3 row_shr:2 row_mask:0xf bank_mask:0xf bound_ctrl:1
	v_mov_b32_dpp v3, v9 row_bcast:31 row_mask:0xf bank_mask:0xf bound_ctrl:1
	v_cvt_f32_i32_dpp v7, v7 row_bcast:15 row_mask:0xf bank_mask:0xf bound_ctrl:1
	v_cvt_f32_i32_dpp v8, v8 row_shr:4 row_mask:0xf bank_mask:0xf bound_ctrl:1
	v_add_f32_e32 v5, v5, v10
	v_cvt_i32_f32_e32 v9, v5
	v_add_f32_e32 v0, v0, v7
	v_add_f32_e32 v2, v2, v8
	v_cvt_i32_f32_e32 v7, v2
	v_cvt_f32_i32_dpp v8, v9 row_shr:1 row_mask:0xf bank_mask:0xf bound_ctrl:1
	v_cvt_i32_f32_e32 v9, v102
	v_cvt_i32_f32_e32 v10, v0
	v_cvt_f32_i32_dpp v7, v7 row_shr:2 row_mask:0xf bank_mask:0xf bound_ctrl:1
	v_add_f32_e32 v5, v5, v8
	v_cvt_f32_i32_dpp v8, v9 row_shr:8 row_mask:0xf bank_mask:0xf bound_ctrl:1
	v_cvt_i32_f32_e32 v9, v5
	v_add_f32_e32 v11, v2, v7
	v_cvt_i32_f32_e32 v2, v11
	v_add_f32_e32 v8, v102, v8
	v_cvt_i32_f32_e32 v12, v8
	v_cvt_f32_i32_dpp v9, v9 row_bcast:15 row_mask:0xf bank_mask:0xf bound_ctrl:1
	v_mov_b32_dpp v7, v10 row_bcast:31 row_mask:0xf bank_mask:0xf bound_ctrl:1
	v_cvt_f32_i32_dpp v13, v2 row_shr:1 row_mask:0xf bank_mask:0xf bound_ctrl:1
	v_cvt_f32_i32_dpp v10, v12 row_shr:4 row_mask:0xf bank_mask:0xf bound_ctrl:1
	v_add_f32_e32 v2, v5, v9
	v_cvt_i32_f32_e32 v9, v101
	v_add_f32_e32 v5, v11, v13
	v_add_f32_e32 v8, v8, v10
	v_cvt_i32_f32_e32 v10, v8
	v_cvt_f32_i32_dpp v9, v9 row_shr:8 row_mask:0xf bank_mask:0xf bound_ctrl:1
	v_cvt_i32_f32_e32 v11, v5
	v_cvt_i32_f32_e32 v12, v2
	v_cvt_f32_i32_dpp v10, v10 row_shr:2 row_mask:0xf bank_mask:0xf bound_ctrl:1
	v_add_f32_e32 v9, v101, v9
	v_cvt_i32_f32_e32 v13, v9
	v_cvt_f32_i32_dpp v11, v11 row_bcast:15 row_mask:0xf bank_mask:0xf bound_ctrl:1
	v_add_f32_e32 v8, v8, v10
	v_cvt_i32_f32_e32 v14, v8
	v_mov_b32_dpp v10, v12 row_bcast:31 row_mask:0xf bank_mask:0xf bound_ctrl:1
	v_cvt_f32_i32_dpp v12, v13 row_shr:4 row_mask:0xf bank_mask:0xf bound_ctrl:1
	v_cvt_i32_f32_e32 v13, v100
	v_add_f32_e32 v5, v5, v11
	v_cvt_f32_i32_dpp v11, v14 row_shr:1 row_mask:0xf bank_mask:0xf bound_ctrl:1
	v_add_f32_e32 v9, v9, v12
	v_cvt_f32_i32_dpp v13, v13 row_shr:8 row_mask:0xf bank_mask:0xf bound_ctrl:1
	v_cvt_i32_f32_e32 v12, v9
	v_add_f32_e32 v8, v8, v11
	v_cvt_i32_f32_e32 v14, v5
	v_add_f32_e32 v13, v100, v13
	v_cvt_f32_i32_dpp v11, v12 row_shr:2 row_mask:0xf bank_mask:0xf bound_ctrl:1
	v_cvt_i32_f32_e32 v12, v8
	v_cvt_i32_f32_e32 v15, v13
	;; [unrolled: 1-line block ×3, first 2 shown]
	v_add_f32_e32 v9, v9, v11
	v_cvt_f32_i32_dpp v12, v12 row_bcast:15 row_mask:0xf bank_mask:0xf bound_ctrl:1
	v_cvt_f32_i32_dpp v15, v15 row_shr:4 row_mask:0xf bank_mask:0xf bound_ctrl:1
	v_cvt_i32_f32_e32 v16, v9
	v_mov_b32_dpp v11, v14 row_bcast:31 row_mask:0xf bank_mask:0xf bound_ctrl:1
	v_add_f32_e32 v8, v8, v12
	v_add_f32_e32 v12, v13, v15
	v_cvt_i32_f32_e32 v13, v12
	v_cvt_f32_i32_dpp v14, v16 row_shr:1 row_mask:0xf bank_mask:0xf bound_ctrl:1
	v_cvt_i32_f32_e32 v16, v8
	v_cvt_f32_i32_dpp v13, v13 row_shr:2 row_mask:0xf bank_mask:0xf bound_ctrl:1
	v_add_f32_e32 v9, v9, v14
	v_cvt_i32_f32_e32 v14, v99
	v_cvt_i32_f32_e32 v15, v9
	v_add_f32_e32 v13, v12, v13
	v_cvt_i32_f32_e32 v17, v13
	v_cvt_f32_i32_dpp v14, v14 row_shr:8 row_mask:0xf bank_mask:0xf bound_ctrl:1
	v_mov_b32_dpp v12, v16 row_bcast:31 row_mask:0xf bank_mask:0xf bound_ctrl:1
	v_cvt_f32_i32_dpp v15, v15 row_bcast:15 row_mask:0xf bank_mask:0xf bound_ctrl:1
	v_cvt_f32_i32_dpp v16, v17 row_shr:1 row_mask:0xf bank_mask:0xf bound_ctrl:1
	v_add_f32_e32 v14, v99, v14
	v_cvt_i32_f32_e32 v18, v14
	v_add_f32_e32 v9, v9, v15
	v_add_f32_e32 v16, v13, v16
	v_cvt_i32_f32_e32 v13, v98
	v_cvt_f32_i32_dpp v15, v18 row_shr:4 row_mask:0xf bank_mask:0xf bound_ctrl:1
	v_cvt_i32_f32_e32 v17, v9
	v_cvt_i32_f32_e32 v18, v16
	v_cvt_f32_i32_dpp v19, v13 row_shr:8 row_mask:0xf bank_mask:0xf bound_ctrl:1
	v_add_f32_e32 v14, v14, v15
	v_mov_b32_dpp v13, v17 row_bcast:31 row_mask:0xf bank_mask:0xf bound_ctrl:1
	v_cvt_f32_i32_dpp v17, v18 row_bcast:15 row_mask:0xf bank_mask:0xf bound_ctrl:1
	v_add_f32_e32 v18, v98, v19
	v_cvt_i32_f32_e32 v15, v14
	v_cvt_i32_f32_e32 v19, v18
	s_nop 0
	v_cvt_f32_i32_dpp v15, v15 row_shr:2 row_mask:0xf bank_mask:0xf bound_ctrl:1
	v_cvt_f32_i32_dpp v19, v19 row_shr:4 row_mask:0xf bank_mask:0xf bound_ctrl:1
	v_add_f32_e32 v15, v14, v15
	v_add_f32_e32 v14, v16, v17
	v_cvt_f32_i32_dpp v16, v20 row_shr:8 row_mask:0xf bank_mask:0xf bound_ctrl:1
	v_add_f32_e32 v18, v18, v19
	v_cvt_i32_f32_e32 v21, v15
	v_cvt_i32_f32_e32 v19, v18
	v_add_f32_e32 v16, v97, v16
	v_cvt_i32_f32_e32 v20, v16
	v_cvt_f32_i32_dpp v17, v21 row_shr:1 row_mask:0xf bank_mask:0xf bound_ctrl:1
	v_cvt_f32_i32_dpp v19, v19 row_shr:2 row_mask:0xf bank_mask:0xf bound_ctrl:1
	v_cvt_i32_f32_e32 v21, v14
	v_add_f32_e32 v15, v15, v17
	v_cvt_f32_i32_dpp v17, v20 row_shr:4 row_mask:0xf bank_mask:0xf bound_ctrl:1
	v_add_f32_e32 v18, v18, v19
	v_cvt_i32_f32_e32 v19, v18
	v_cvt_i32_f32_e32 v20, v15
	v_add_f32_e32 v16, v16, v17
	v_cvt_i32_f32_e32 v17, v16
	v_cvt_f32_i32_dpp v19, v19 row_shr:1 row_mask:0xf bank_mask:0xf bound_ctrl:1
	v_cvt_f32_i32_dpp v22, v20 row_bcast:15 row_mask:0xf bank_mask:0xf bound_ctrl:1
	v_mov_b32_dpp v20, v21 row_bcast:31 row_mask:0xf bank_mask:0xf bound_ctrl:1
	v_cvt_f32_i32_dpp v17, v17 row_shr:2 row_mask:0xf bank_mask:0xf bound_ctrl:1
	v_add_f32_e32 v18, v18, v19
	v_cvt_i32_f32_e32 v19, v96
	v_cvt_i32_f32_e32 v21, v18
	v_add_f32_e32 v16, v16, v17
	v_cvt_i32_f32_e32 v17, v16
	v_cvt_f32_i32_dpp v19, v19 row_shr:8 row_mask:0xf bank_mask:0xf bound_ctrl:1
	v_cvt_f32_i32_dpp v21, v21 row_bcast:15 row_mask:0xf bank_mask:0xf bound_ctrl:1
	v_add_f32_e32 v15, v15, v22
	v_cvt_f32_i32_dpp v17, v17 row_shr:1 row_mask:0xf bank_mask:0xf bound_ctrl:1
	v_add_f32_e32 v19, v96, v19
	v_cvt_i32_f32_e32 v23, v19
	v_cvt_i32_f32_e32 v22, v15
	v_add_f32_e32 v17, v16, v17
	v_cvt_i32_f32_e32 v24, v17
	v_cvt_f32_i32_dpp v23, v23 row_shr:4 row_mask:0xf bank_mask:0xf bound_ctrl:1
	v_add_f32_e32 v16, v18, v21
	v_cvt_i32_f32_e32 v21, v79
	v_cvt_f32_i32_dpp v18, v24 row_bcast:15 row_mask:0xf bank_mask:0xf bound_ctrl:1
	v_add_f32_e32 v19, v19, v23
	v_cvt_i32_f32_e32 v23, v19
	v_cvt_f32_i32_dpp v21, v21 row_shr:8 row_mask:0xf bank_mask:0xf bound_ctrl:1
	v_add_f32_e32 v17, v17, v18
	v_cvt_i32_f32_e32 v24, v16
	v_cvt_f32_i32_dpp v18, v23 row_shr:2 row_mask:0xf bank_mask:0xf bound_ctrl:1
	v_add_f32_e32 v21, v79, v21
	v_cvt_i32_f32_e32 v25, v21
	v_cvt_i32_f32_e32 v23, v17
	v_add_f32_e32 v18, v19, v18
	v_cvt_i32_f32_e32 v26, v18
	v_cvt_f32_i32_dpp v25, v25 row_shr:4 row_mask:0xf bank_mask:0xf bound_ctrl:1
	v_mov_b32_dpp v19, v23 row_bcast:31 row_mask:0xf bank_mask:0xf bound_ctrl:1
	v_mov_b32_dpp v22, v22 row_bcast:31 row_mask:0xf bank_mask:0xf bound_ctrl:1
	v_cvt_f32_i32_dpp v23, v26 row_shr:1 row_mask:0xf bank_mask:0xf bound_ctrl:1
	v_cvt_i32_f32_e32 v26, v77
	v_add_f32_e32 v21, v21, v25
	v_cvt_i32_f32_e32 v25, v71
	v_add_f32_e32 v18, v18, v23
	v_cvt_f32_i32_dpp v26, v26 row_shr:8 row_mask:0xf bank_mask:0xf bound_ctrl:1
	v_cvt_i32_f32_e32 v27, v21
	v_cvt_f32_i32_dpp v23, v25 row_shr:8 row_mask:0xf bank_mask:0xf bound_ctrl:1
	v_cvt_i32_f32_e32 v29, v18
	v_add_f32_e32 v26, v77, v26
	v_cvt_f32_i32_dpp v25, v27 row_shr:2 row_mask:0xf bank_mask:0xf bound_ctrl:1
	v_add_f32_e32 v23, v71, v23
	v_cvt_i32_f32_e32 v27, v26
	v_cvt_i32_f32_e32 v28, v23
	v_add_f32_e32 v21, v21, v25
	v_cvt_f32_i32_dpp v29, v29 row_bcast:15 row_mask:0xf bank_mask:0xf bound_ctrl:1
	v_cvt_f32_i32_dpp v27, v27 row_shr:4 row_mask:0xf bank_mask:0xf bound_ctrl:1
	v_cvt_f32_i32_dpp v25, v28 row_shr:4 row_mask:0xf bank_mask:0xf bound_ctrl:1
	v_cvt_i32_f32_e32 v28, v21
	v_mov_b32_dpp v24, v24 row_bcast:31 row_mask:0xf bank_mask:0xf bound_ctrl:1
	v_add_f32_e32 v26, v26, v27
	v_add_f32_e32 v23, v23, v25
	v_cvt_i32_f32_e32 v27, v26
	v_cvt_i32_f32_e32 v25, v23
	v_cvt_f32_i32_dpp v28, v28 row_shr:1 row_mask:0xf bank_mask:0xf bound_ctrl:1
	v_cvt_f32_i32_dpp v27, v27 row_shr:2 row_mask:0xf bank_mask:0xf bound_ctrl:1
	v_cvt_f32_i32_dpp v25, v25 row_shr:2 row_mask:0xf bank_mask:0xf bound_ctrl:1
	v_add_f32_e32 v21, v21, v28
	v_cvt_i32_f32_e32 v28, v21
	v_add_f32_e32 v26, v26, v27
	v_add_f32_e32 v23, v23, v25
	v_cvt_i32_f32_e32 v27, v26
	v_cvt_i32_f32_e32 v25, v23
	s_waitcnt vmcnt(0)
	v_cvt_f32_i32_dpp v30, v27 row_shr:1 row_mask:0xf bank_mask:0xf bound_ctrl:1
	v_add_f32_e32 v27, v18, v29
	v_cvt_f32_i32_dpp v18, v25 row_shr:1 row_mask:0xf bank_mask:0xf bound_ctrl:1
	v_cvt_f32_i32_dpp v25, v28 row_bcast:15 row_mask:0xf bank_mask:0xf bound_ctrl:1
	v_add_f32_e32 v28, v26, v30
	v_cvt_i32_f32_e32 v26, v28
	v_add_f32_e32 v18, v23, v18
	v_cvt_i32_f32_e32 v23, v18
	v_cvt_i32_f32_e32 v29, v27
	v_cvt_f32_i32_dpp v30, v26 row_bcast:15 row_mask:0xf bank_mask:0xf bound_ctrl:1
	v_add_f32_e32 v26, v21, v25
	v_cvt_f32_i32_dpp v21, v23 row_bcast:15 row_mask:0xf bank_mask:0xf bound_ctrl:1
	v_cvt_i32_f32_e32 v25, v26
	v_add_f32_e32 v23, v28, v30
	v_cvt_i32_f32_e32 v30, v23
	v_add_f32_e32 v18, v18, v21
	v_cvt_i32_f32_e32 v21, v18
	v_mov_b32_dpp v29, v29 row_bcast:31 row_mask:0xf bank_mask:0xf bound_ctrl:1
	v_mov_b32_dpp v28, v25 row_bcast:31 row_mask:0xf bank_mask:0xf bound_ctrl:1
	v_mov_b32_dpp v25, v30 row_bcast:31 row_mask:0xf bank_mask:0xf bound_ctrl:1
	v_mov_b32_dpp v21, v21 row_bcast:31 row_mask:0xf bank_mask:0xf bound_ctrl:1
	s_and_saveexec_b64 s[28:29], s[0:1]
	s_cbranch_execz .LBB135_85
; %bb.67:                               ;   in Loop: Header=BB135_19 Depth=1
	s_andn2_b64 vcc, exec, s[24:25]
	v_mov_b32_e32 v44, 0
	v_mov_b32_e32 v43, 0
	;; [unrolled: 1-line block ×15, first 2 shown]
	s_cbranch_vccnz .LBB135_69
; %bb.68:                               ;   in Loop: Header=BB135_19 Depth=1
	v_mul_hi_u32 v30, v70, v67
	v_mul_lo_u32 v30, v30, s18
	v_sub_u32_e32 v30, v70, v30
	v_subrev_u32_e32 v31, s18, v30
	v_cmp_le_u32_e32 vcc, s18, v30
	v_mul_hi_u32 v32, v78, v67
	v_mul_lo_u32 v32, v32, s18
	v_cndmask_b32_e32 v30, v30, v31, vcc
	v_subrev_u32_e32 v31, s18, v30
	v_cmp_le_u32_e32 vcc, s18, v30
	v_sub_u32_e32 v32, v78, v32
	v_subrev_u32_e32 v33, s18, v32
	v_cndmask_b32_e32 v72, v30, v31, vcc
	v_cmp_le_u32_e32 vcc, s18, v32
	v_add_u32_e32 v36, s39, v72
	v_mov_b32_e32 v37, v73
	v_cndmask_b32_e32 v32, v32, v33, vcc
	v_subrev_u32_e32 v33, s18, v32
	v_cmp_le_u32_e32 vcc, s18, v32
	v_lshl_add_u64 v[50:51], v[36:37], 1, s[12:13]
	v_lshl_add_u64 v[30:31], v[72:73], 1, s[12:13]
	v_cndmask_b32_e32 v32, v32, v33, vcc
	v_mov_b32_e32 v33, v73
	v_lshl_add_u64 v[46:47], v[32:33], 1, s[12:13]
	v_mul_hi_u32 v33, v76, v67
	v_mul_lo_u32 v33, v33, s18
	v_sub_u32_e32 v33, v76, v33
	v_subrev_u32_e32 v34, s18, v33
	v_cmp_le_u32_e32 vcc, s18, v33
	v_add_u32_e32 v36, s39, v32
	v_lshl_add_u64 v[52:53], v[36:37], 1, s[12:13]
	v_cndmask_b32_e32 v33, v33, v34, vcc
	v_subrev_u32_e32 v34, s18, v33
	v_cmp_le_u32_e32 vcc, s18, v33
	v_mov_b32_e32 v35, v73
	s_nop 0
	v_cndmask_b32_e32 v34, v33, v34, vcc
	v_add_u32_e32 v36, s39, v34
	v_lshl_add_u64 v[54:55], v[36:37], 1, s[12:13]
	v_add_u32_e32 v36, s40, v72
	v_lshl_add_u64 v[56:57], v[36:37], 1, s[12:13]
	;; [unrolled: 2-line block ×3, first 2 shown]
	v_lshl_add_u64 v[58:59], v[36:37], 1, s[12:13]
	global_load_ushort v44, v[30:31], off
	global_load_ushort v43, v[46:47], off
	;; [unrolled: 1-line block ×8, first 2 shown]
	v_add_u32_e32 v30, s40, v34
	v_mov_b32_e32 v31, v73
	v_lshl_add_u64 v[46:47], v[30:31], 1, s[12:13]
	v_add_u32_e32 v30, s41, v72
	v_add_u32_e32 v72, s42, v72
	v_lshl_add_u64 v[48:49], v[30:31], 1, s[12:13]
	v_add_u32_e32 v30, s41, v32
	v_lshl_add_u64 v[54:55], v[72:73], 1, s[12:13]
	;; [unrolled: 2-line block ×5, first 2 shown]
	v_lshl_add_u64 v[58:59], v[72:73], 1, s[12:13]
	global_load_ushort v38, v[46:47], off
	global_load_ushort v36, v[48:49], off
	;; [unrolled: 1-line block ×7, first 2 shown]
.LBB135_69:                             ;   in Loop: Header=BB135_19 Depth=1
	v_cmp_ne_u32_e32 vcc, 0, v64
	s_and_saveexec_b64 s[4:5], vcc
	s_cbranch_execnz .LBB135_90
; %bb.70:                               ;   in Loop: Header=BB135_19 Depth=1
	s_or_b64 exec, exec, s[4:5]
	v_cmp_ne_u32_e64 s[4:5], 0, v65
	s_and_saveexec_b64 s[6:7], s[4:5]
	s_cbranch_execnz .LBB135_91
.LBB135_71:                             ;   in Loop: Header=BB135_19 Depth=1
	s_or_b64 exec, exec, s[6:7]
	v_cmp_ne_u32_e64 s[6:7], 0, v66
	s_and_saveexec_b64 s[30:31], s[6:7]
	s_cbranch_execnz .LBB135_92
.LBB135_72:                             ;   in Loop: Header=BB135_19 Depth=1
	s_or_b64 exec, exec, s[30:31]
	v_add_u32_e32 v72, s11, v70
	s_and_saveexec_b64 s[30:31], vcc
	s_cbranch_execnz .LBB135_93
.LBB135_73:                             ;   in Loop: Header=BB135_19 Depth=1
	s_or_b64 exec, exec, s[30:31]
	s_and_saveexec_b64 s[30:31], s[4:5]
	s_cbranch_execnz .LBB135_94
.LBB135_74:                             ;   in Loop: Header=BB135_19 Depth=1
	s_or_b64 exec, exec, s[30:31]
	s_and_saveexec_b64 s[30:31], s[6:7]
	s_cbranch_execnz .LBB135_95
.LBB135_75:                             ;   in Loop: Header=BB135_19 Depth=1
	s_or_b64 exec, exec, s[30:31]
	v_add_u32_e32 v72, s11, v72
	s_and_saveexec_b64 s[30:31], vcc
	s_cbranch_execnz .LBB135_96
.LBB135_76:                             ;   in Loop: Header=BB135_19 Depth=1
	s_or_b64 exec, exec, s[30:31]
	s_and_saveexec_b64 s[30:31], s[4:5]
	s_cbranch_execnz .LBB135_97
.LBB135_77:                             ;   in Loop: Header=BB135_19 Depth=1
	s_or_b64 exec, exec, s[30:31]
	s_and_saveexec_b64 s[30:31], s[6:7]
	s_cbranch_execnz .LBB135_98
.LBB135_78:                             ;   in Loop: Header=BB135_19 Depth=1
	s_or_b64 exec, exec, s[30:31]
	v_add_u32_e32 v72, s11, v72
	s_and_saveexec_b64 s[30:31], vcc
	s_cbranch_execnz .LBB135_99
.LBB135_79:                             ;   in Loop: Header=BB135_19 Depth=1
	s_or_b64 exec, exec, s[30:31]
	s_and_saveexec_b64 s[30:31], s[4:5]
	s_cbranch_execnz .LBB135_100
.LBB135_80:                             ;   in Loop: Header=BB135_19 Depth=1
	s_or_b64 exec, exec, s[30:31]
	s_and_saveexec_b64 s[30:31], s[6:7]
	s_cbranch_execnz .LBB135_101
.LBB135_81:                             ;   in Loop: Header=BB135_19 Depth=1
	s_or_b64 exec, exec, s[30:31]
	v_add_u32_e32 v72, s11, v72
	s_and_saveexec_b64 s[30:31], vcc
	s_cbranch_execnz .LBB135_102
.LBB135_82:                             ;   in Loop: Header=BB135_19 Depth=1
	s_or_b64 exec, exec, s[30:31]
	s_and_saveexec_b64 s[30:31], s[4:5]
	s_cbranch_execnz .LBB135_103
.LBB135_83:                             ;   in Loop: Header=BB135_19 Depth=1
	s_or_b64 exec, exec, s[30:31]
	s_and_b64 exec, exec, s[6:7]
	s_cbranch_execz .LBB135_85
.LBB135_84:                             ;   in Loop: Header=BB135_19 Depth=1
	v_cvt_f32_i32_e32 v0, v21
	s_waitcnt vmcnt(0)
	v_cvt_f32_f16_e32 v1, v30
	v_add_u32_e32 v72, 2, v72
	v_add_f32_e32 v0, v18, v0
	v_add_f32_e32 v0, v0, v1
	v_cvt_f16_f32_e32 v2, v0
	v_lshl_add_u64 v[0:1], v[72:73], 1, s[14:15]
	global_store_short v[0:1], v2, off
.LBB135_85:                             ;   in Loop: Header=BB135_19 Depth=1
	s_or_b64 exec, exec, s[28:29]
	v_add_u32_e32 v70, s37, v70
	v_add_u32_e32 v0, 3, v70
	v_cmp_gt_u32_e32 vcc, s11, v70
	v_cmp_le_u32_e64 s[4:5], s11, v0
	s_and_b64 s[4:5], vcc, s[4:5]
	s_and_saveexec_b64 s[6:7], s[4:5]
	s_cbranch_execz .LBB135_18
; %bb.86:                               ;   in Loop: Header=BB135_19 Depth=1
	v_cmp_ne_u32_e32 vcc, s38, v70
	s_and_saveexec_b64 s[28:29], vcc
	s_cbranch_execz .LBB135_17
; %bb.87:                               ;   in Loop: Header=BB135_19 Depth=1
	v_subrev_u32_e32 v0, s38, v70
	v_cmp_lt_u32_e32 vcc, 1, v0
	s_mov_b64 s[30:31], 0
	s_mov_b64 s[34:35], 0
	v_cndmask_b32_e32 v0, 1, v0, vcc
.LBB135_88:                             ;   Parent Loop BB135_19 Depth=1
                                        ; =>  This Inner Loop Header: Depth=2
	s_cmp_lg_u32 s34, 2
	s_cselect_b64 vcc, -1, 0
	s_cmp_lg_u32 s34, 1
	v_cndmask_b32_e32 v66, 0, v66, vcc
	s_cselect_b64 vcc, -1, 0
	s_cmp_lg_u32 s34, 0
	v_cndmask_b32_e32 v65, 0, v65, vcc
	s_cselect_b64 vcc, -1, 0
	s_add_u32 s34, s34, 1
	s_addc_u32 s35, s35, 0
	v_cmp_eq_u32_e64 s[4:5], s34, v0
	s_or_b64 s[30:31], s[4:5], s[30:31]
	v_cndmask_b32_e32 v64, 0, v64, vcc
	s_andn2_b64 exec, exec, s[30:31]
	s_cbranch_execnz .LBB135_88
; %bb.89:                               ;   in Loop: Header=BB135_19 Depth=1
	s_or_b64 exec, exec, s[30:31]
	s_branch .LBB135_17
.LBB135_90:                             ;   in Loop: Header=BB135_19 Depth=1
	v_cvt_f32_i32_e32 v6, v6
	s_waitcnt vmcnt(14)
	v_cvt_f32_f16_e32 v44, v44
	v_mov_b32_e32 v71, v73
	v_add_f32_e32 v4, v4, v6
	v_add_f32_e32 v4, v4, v44
	v_cvt_f16_f32_e32 v4, v4
	v_lshl_add_u64 v[44:45], v[70:71], 1, s[14:15]
	global_store_short v[44:45], v4, off
	s_or_b64 exec, exec, s[4:5]
	v_cmp_ne_u32_e64 s[4:5], 0, v65
	s_and_saveexec_b64 s[6:7], s[4:5]
	s_cbranch_execz .LBB135_71
.LBB135_91:                             ;   in Loop: Header=BB135_19 Depth=1
	v_cvt_f32_i32_e32 v3, v3
	s_waitcnt vmcnt(13)
	v_cvt_f32_f16_e32 v4, v43
	v_mov_b32_e32 v79, v73
	v_lshl_add_u64 v[44:45], v[78:79], 1, s[14:15]
	v_add_f32_e32 v1, v1, v3
	v_add_f32_e32 v1, v1, v4
	v_cvt_f16_f32_e32 v1, v1
	global_store_short v[44:45], v1, off
	s_or_b64 exec, exec, s[6:7]
	v_cmp_ne_u32_e64 s[6:7], 0, v66
	s_and_saveexec_b64 s[30:31], s[6:7]
	s_cbranch_execz .LBB135_72
.LBB135_92:                             ;   in Loop: Header=BB135_19 Depth=1
	v_cvt_f32_i32_e32 v1, v7
	s_waitcnt vmcnt(12)
	v_cvt_f32_f16_e32 v3, v42
	v_mov_b32_e32 v77, v73
	v_add_f32_e32 v0, v0, v1
	v_add_f32_e32 v0, v0, v3
	v_cvt_f16_f32_e32 v3, v0
	v_lshl_add_u64 v[0:1], v[76:77], 1, s[14:15]
	global_store_short v[0:1], v3, off
	s_or_b64 exec, exec, s[30:31]
	v_add_u32_e32 v72, s11, v70
	s_and_saveexec_b64 s[30:31], vcc
	s_cbranch_execz .LBB135_73
.LBB135_93:                             ;   in Loop: Header=BB135_19 Depth=1
	v_cvt_f32_i32_e32 v0, v10
	s_waitcnt vmcnt(11)
	v_cvt_f32_f16_e32 v1, v41
	v_add_f32_e32 v0, v2, v0
	v_add_f32_e32 v0, v0, v1
	v_cvt_f16_f32_e32 v2, v0
	v_lshl_add_u64 v[0:1], v[72:73], 1, s[14:15]
	global_store_short v[0:1], v2, off
	s_or_b64 exec, exec, s[30:31]
	s_and_saveexec_b64 s[30:31], s[4:5]
	s_cbranch_execz .LBB135_74
.LBB135_94:                             ;   in Loop: Header=BB135_19 Depth=1
	v_cvt_f32_i32_e32 v0, v11
	s_waitcnt vmcnt(10)
	v_cvt_f32_f16_e32 v1, v40
	v_add_f32_e32 v0, v5, v0
	v_add_f32_e32 v0, v0, v1
	v_cvt_f16_f32_e32 v2, v0
	v_add_u32_e32 v0, 1, v72
	v_mov_b32_e32 v1, v73
	v_lshl_add_u64 v[0:1], v[0:1], 1, s[14:15]
	global_store_short v[0:1], v2, off
	s_or_b64 exec, exec, s[30:31]
	s_and_saveexec_b64 s[30:31], s[6:7]
	s_cbranch_execz .LBB135_75
.LBB135_95:                             ;   in Loop: Header=BB135_19 Depth=1
	v_cvt_f32_i32_e32 v0, v12
	s_waitcnt vmcnt(9)
	v_cvt_f32_f16_e32 v1, v39
	v_add_f32_e32 v0, v8, v0
	v_add_f32_e32 v0, v0, v1
	v_cvt_f16_f32_e32 v2, v0
	v_add_u32_e32 v0, 2, v72
	v_mov_b32_e32 v1, v73
	v_lshl_add_u64 v[0:1], v[0:1], 1, s[14:15]
	global_store_short v[0:1], v2, off
	s_or_b64 exec, exec, s[30:31]
	v_add_u32_e32 v72, s11, v72
	s_and_saveexec_b64 s[30:31], vcc
	s_cbranch_execz .LBB135_76
.LBB135_96:                             ;   in Loop: Header=BB135_19 Depth=1
	v_cvt_f32_i32_e32 v0, v13
	s_waitcnt vmcnt(8)
	v_cvt_f32_f16_e32 v1, v37
	v_add_f32_e32 v0, v9, v0
	v_add_f32_e32 v0, v0, v1
	v_cvt_f16_f32_e32 v2, v0
	v_lshl_add_u64 v[0:1], v[72:73], 1, s[14:15]
	global_store_short v[0:1], v2, off
	s_or_b64 exec, exec, s[30:31]
	s_and_saveexec_b64 s[30:31], s[4:5]
	s_cbranch_execz .LBB135_77
.LBB135_97:                             ;   in Loop: Header=BB135_19 Depth=1
	v_cvt_f32_i32_e32 v0, v20
	s_waitcnt vmcnt(7)
	v_cvt_f32_f16_e32 v1, v35
	v_add_f32_e32 v0, v14, v0
	v_add_f32_e32 v0, v0, v1
	v_cvt_f16_f32_e32 v2, v0
	v_add_u32_e32 v0, 1, v72
	v_mov_b32_e32 v1, v73
	v_lshl_add_u64 v[0:1], v[0:1], 1, s[14:15]
	global_store_short v[0:1], v2, off
	s_or_b64 exec, exec, s[30:31]
	s_and_saveexec_b64 s[30:31], s[6:7]
	s_cbranch_execz .LBB135_78
.LBB135_98:                             ;   in Loop: Header=BB135_19 Depth=1
	v_cvt_f32_i32_e32 v0, v22
	s_waitcnt vmcnt(6)
	v_cvt_f32_f16_e32 v1, v38
	v_add_f32_e32 v0, v15, v0
	v_add_f32_e32 v0, v0, v1
	v_cvt_f16_f32_e32 v2, v0
	v_add_u32_e32 v0, 2, v72
	v_mov_b32_e32 v1, v73
	v_lshl_add_u64 v[0:1], v[0:1], 1, s[14:15]
	global_store_short v[0:1], v2, off
	s_or_b64 exec, exec, s[30:31]
	v_add_u32_e32 v72, s11, v72
	s_and_saveexec_b64 s[30:31], vcc
	s_cbranch_execz .LBB135_79
.LBB135_99:                             ;   in Loop: Header=BB135_19 Depth=1
	v_cvt_f32_i32_e32 v0, v24
	s_waitcnt vmcnt(5)
	v_cvt_f32_f16_e32 v1, v36
	v_add_f32_e32 v0, v16, v0
	v_add_f32_e32 v0, v0, v1
	v_cvt_f16_f32_e32 v2, v0
	v_lshl_add_u64 v[0:1], v[72:73], 1, s[14:15]
	global_store_short v[0:1], v2, off
	s_or_b64 exec, exec, s[30:31]
	s_and_saveexec_b64 s[30:31], s[4:5]
	s_cbranch_execz .LBB135_80
.LBB135_100:                            ;   in Loop: Header=BB135_19 Depth=1
	v_cvt_f32_i32_e32 v0, v19
	s_waitcnt vmcnt(4)
	v_cvt_f32_f16_e32 v1, v34
	v_add_f32_e32 v0, v17, v0
	v_add_f32_e32 v0, v0, v1
	v_cvt_f16_f32_e32 v2, v0
	v_add_u32_e32 v0, 1, v72
	v_mov_b32_e32 v1, v73
	v_lshl_add_u64 v[0:1], v[0:1], 1, s[14:15]
	global_store_short v[0:1], v2, off
	s_or_b64 exec, exec, s[30:31]
	s_and_saveexec_b64 s[30:31], s[6:7]
	s_cbranch_execz .LBB135_81
.LBB135_101:                            ;   in Loop: Header=BB135_19 Depth=1
	v_cvt_f32_i32_e32 v0, v29
	s_waitcnt vmcnt(3)
	v_cvt_f32_f16_e32 v1, v33
	v_add_f32_e32 v0, v27, v0
	v_add_f32_e32 v0, v0, v1
	v_cvt_f16_f32_e32 v2, v0
	v_add_u32_e32 v0, 2, v72
	v_mov_b32_e32 v1, v73
	v_lshl_add_u64 v[0:1], v[0:1], 1, s[14:15]
	global_store_short v[0:1], v2, off
	s_or_b64 exec, exec, s[30:31]
	v_add_u32_e32 v72, s11, v72
	s_and_saveexec_b64 s[30:31], vcc
	s_cbranch_execz .LBB135_82
.LBB135_102:                            ;   in Loop: Header=BB135_19 Depth=1
	v_cvt_f32_i32_e32 v0, v28
	s_waitcnt vmcnt(2)
	v_cvt_f32_f16_e32 v1, v32
	v_add_f32_e32 v0, v26, v0
	v_add_f32_e32 v0, v0, v1
	v_cvt_f16_f32_e32 v2, v0
	v_lshl_add_u64 v[0:1], v[72:73], 1, s[14:15]
	global_store_short v[0:1], v2, off
	s_or_b64 exec, exec, s[30:31]
	s_and_saveexec_b64 s[30:31], s[4:5]
	s_cbranch_execz .LBB135_83
.LBB135_103:                            ;   in Loop: Header=BB135_19 Depth=1
	v_cvt_f32_i32_e32 v0, v25
	s_waitcnt vmcnt(1)
	v_cvt_f32_f16_e32 v1, v31
	v_add_f32_e32 v0, v23, v0
	v_add_f32_e32 v0, v0, v1
	v_cvt_f16_f32_e32 v2, v0
	v_add_u32_e32 v0, 1, v72
	v_mov_b32_e32 v1, v73
	v_lshl_add_u64 v[0:1], v[0:1], 1, s[14:15]
	global_store_short v[0:1], v2, off
	s_or_b64 exec, exec, s[30:31]
	s_and_b64 exec, exec, s[6:7]
	s_cbranch_execnz .LBB135_84
	s_branch .LBB135_85
.LBB135_104:
	s_endpgm
	.section	.rodata,"a",@progbits
	.p2align	6, 0x0
	.amdhsa_kernel _Z12wvSplitK_hf_I6__halfLi32ELi3ELi16ELi8ELi2ELi5EEviiiiiiPKT_S3_S3_PS1_ii
		.amdhsa_group_segment_fixed_size 65536
		.amdhsa_private_segment_fixed_size 0
		.amdhsa_kernarg_size 64
		.amdhsa_user_sgpr_count 2
		.amdhsa_user_sgpr_dispatch_ptr 0
		.amdhsa_user_sgpr_queue_ptr 0
		.amdhsa_user_sgpr_kernarg_segment_ptr 1
		.amdhsa_user_sgpr_dispatch_id 0
		.amdhsa_user_sgpr_kernarg_preload_length 0
		.amdhsa_user_sgpr_kernarg_preload_offset 0
		.amdhsa_user_sgpr_private_segment_size 0
		.amdhsa_uses_dynamic_stack 0
		.amdhsa_enable_private_segment 0
		.amdhsa_system_sgpr_workgroup_id_x 1
		.amdhsa_system_sgpr_workgroup_id_y 0
		.amdhsa_system_sgpr_workgroup_id_z 0
		.amdhsa_system_sgpr_workgroup_info 0
		.amdhsa_system_vgpr_workitem_id 1
		.amdhsa_next_free_vgpr 109
		.amdhsa_next_free_sgpr 46
		.amdhsa_accum_offset 112
		.amdhsa_reserve_vcc 1
		.amdhsa_float_round_mode_32 0
		.amdhsa_float_round_mode_16_64 0
		.amdhsa_float_denorm_mode_32 3
		.amdhsa_float_denorm_mode_16_64 3
		.amdhsa_dx10_clamp 1
		.amdhsa_ieee_mode 1
		.amdhsa_fp16_overflow 0
		.amdhsa_tg_split 0
		.amdhsa_exception_fp_ieee_invalid_op 0
		.amdhsa_exception_fp_denorm_src 0
		.amdhsa_exception_fp_ieee_div_zero 0
		.amdhsa_exception_fp_ieee_overflow 0
		.amdhsa_exception_fp_ieee_underflow 0
		.amdhsa_exception_fp_ieee_inexact 0
		.amdhsa_exception_int_div_zero 0
	.end_amdhsa_kernel
	.section	.text._Z12wvSplitK_hf_I6__halfLi32ELi3ELi16ELi8ELi2ELi5EEviiiiiiPKT_S3_S3_PS1_ii,"axG",@progbits,_Z12wvSplitK_hf_I6__halfLi32ELi3ELi16ELi8ELi2ELi5EEviiiiiiPKT_S3_S3_PS1_ii,comdat
.Lfunc_end135:
	.size	_Z12wvSplitK_hf_I6__halfLi32ELi3ELi16ELi8ELi2ELi5EEviiiiiiPKT_S3_S3_PS1_ii, .Lfunc_end135-_Z12wvSplitK_hf_I6__halfLi32ELi3ELi16ELi8ELi2ELi5EEviiiiiiPKT_S3_S3_PS1_ii
                                        ; -- End function
	.section	.AMDGPU.csdata,"",@progbits
; Kernel info:
; codeLenInByte = 6536
; NumSgprs: 52
; NumVgprs: 109
; NumAgprs: 0
; TotalNumVgprs: 109
; ScratchSize: 0
; MemoryBound: 1
; FloatMode: 240
; IeeeMode: 1
; LDSByteSize: 65536 bytes/workgroup (compile time only)
; SGPRBlocks: 6
; VGPRBlocks: 13
; NumSGPRsForWavesPerEU: 52
; NumVGPRsForWavesPerEU: 109
; AccumOffset: 112
; Occupancy: 2
; WaveLimiterHint : 0
; COMPUTE_PGM_RSRC2:SCRATCH_EN: 0
; COMPUTE_PGM_RSRC2:USER_SGPR: 2
; COMPUTE_PGM_RSRC2:TRAP_HANDLER: 0
; COMPUTE_PGM_RSRC2:TGID_X_EN: 1
; COMPUTE_PGM_RSRC2:TGID_Y_EN: 0
; COMPUTE_PGM_RSRC2:TGID_Z_EN: 0
; COMPUTE_PGM_RSRC2:TIDIG_COMP_CNT: 1
; COMPUTE_PGM_RSRC3_GFX90A:ACCUM_OFFSET: 27
; COMPUTE_PGM_RSRC3_GFX90A:TG_SPLIT: 0
	.section	.text._Z16wvSplitK_hf_big_I6__halfLi32ELi3ELi16ELi8ELi2ELi5EEviiiiiiPKT_S3_S3_PS1_ii,"axG",@progbits,_Z16wvSplitK_hf_big_I6__halfLi32ELi3ELi16ELi8ELi2ELi5EEviiiiiiPKT_S3_S3_PS1_ii,comdat
	.protected	_Z16wvSplitK_hf_big_I6__halfLi32ELi3ELi16ELi8ELi2ELi5EEviiiiiiPKT_S3_S3_PS1_ii ; -- Begin function _Z16wvSplitK_hf_big_I6__halfLi32ELi3ELi16ELi8ELi2ELi5EEviiiiiiPKT_S3_S3_PS1_ii
	.globl	_Z16wvSplitK_hf_big_I6__halfLi32ELi3ELi16ELi8ELi2ELi5EEviiiiiiPKT_S3_S3_PS1_ii
	.p2align	8
	.type	_Z16wvSplitK_hf_big_I6__halfLi32ELi3ELi16ELi8ELi2ELi5EEviiiiiiPKT_S3_S3_PS1_ii,@function
_Z16wvSplitK_hf_big_I6__halfLi32ELi3ELi16ELi8ELi2ELi5EEviiiiiiPKT_S3_S3_PS1_ii: ; @_Z16wvSplitK_hf_big_I6__halfLi32ELi3ELi16ELi8ELi2ELi5EEviiiiiiPKT_S3_S3_PS1_ii
; %bb.0:
	s_load_dwordx2 s[8:9], s[0:1], 0x38
	v_bfe_u32 v1, v0, 10, 10
	s_waitcnt lgkmcnt(0)
	v_cmp_gt_u32_e32 vcc, s8, v1
	s_and_saveexec_b64 s[4:5], vcc
	s_cbranch_execz .LBB136_70
; %bb.1:
	s_load_dwordx4 s[20:23], s[0:1], 0x0
	s_mul_i32 s2, s2, s8
	v_add_u32_e32 v2, s2, v1
	v_lshl_add_u32 v68, v2, 1, v2
	s_mov_b32 s4, 1
	v_add_u32_e32 v2, 3, v68
	s_mov_b32 s6, s4
	s_waitcnt lgkmcnt(0)
	v_cmp_gt_u32_e32 vcc, s23, v68
	v_cmp_le_u32_e64 s[2:3], s23, v2
	s_mov_b32 s5, s4
	v_mov_b32_e32 v66, s6
	s_and_b64 s[10:11], vcc, s[2:3]
	v_mov_b32_e32 v65, s5
	v_mov_b32_e32 v64, s4
	s_and_saveexec_b64 s[2:3], s[10:11]
	s_cbranch_execz .LBB136_7
; %bb.2:
	s_add_i32 s7, s23, -3
	v_mov_b32_e32 v66, s6
	v_cmp_ne_u32_e32 vcc, s7, v68
	v_mov_b32_e32 v65, s5
	v_mov_b32_e32 v64, s4
	s_and_saveexec_b64 s[10:11], vcc
	s_cbranch_execz .LBB136_6
; %bb.3:
	v_subrev_u32_e32 v2, s7, v68
	v_cmp_lt_u32_e32 vcc, 1, v2
	s_mov_b64 s[12:13], 0
	s_mov_b64 s[14:15], 0
	v_cndmask_b32_e32 v2, 1, v2, vcc
	s_mov_b32 s5, s4
	s_mov_b32 s6, s4
.LBB136_4:                              ; =>This Inner Loop Header: Depth=1
	s_cmp_lg_u32 s14, 2
	s_cselect_b32 s6, s6, 0
	s_cmp_lg_u32 s14, 1
	s_cselect_b32 s5, s5, 0
	;; [unrolled: 2-line block ×3, first 2 shown]
	s_add_u32 s14, s14, 1
	s_addc_u32 s15, s15, 0
	v_cmp_eq_u32_e32 vcc, s14, v2
	v_mov_b32_e32 v66, s6
	s_or_b64 s[12:13], vcc, s[12:13]
	v_mov_b32_e32 v65, s5
	v_mov_b32_e32 v64, s4
	s_andn2_b64 exec, exec, s[12:13]
	s_cbranch_execnz .LBB136_4
; %bb.5:
	s_or_b64 exec, exec, s[12:13]
	v_mov_b32_e32 v68, s7
.LBB136_6:
	s_or_b64 exec, exec, s[10:11]
.LBB136_7:
	s_or_b64 exec, exec, s[2:3]
	s_mul_i32 s44, s8, 3
	s_abs_i32 s2, s44
	v_cvt_f32_u32_e32 v2, s2
	s_sub_i32 s5, 0, s2
	s_abs_i32 s4, s23
	s_ashr_i32 s3, s23, 31
	v_rcp_iflag_f32_e32 v2, v2
	s_nop 0
	v_mul_f32_e32 v2, 0x4f7ffffe, v2
	v_cvt_u32_f32_e32 v2, v2
	s_nop 0
	v_readfirstlane_b32 s6, v2
	s_mul_i32 s5, s5, s6
	s_mul_hi_u32 s5, s6, s5
	s_add_i32 s6, s6, s5
	s_mul_hi_u32 s5, s4, s6
	s_mul_i32 s5, s5, s2
	s_sub_i32 s4, s4, s5
	s_sub_i32 s5, s4, s2
	s_cmp_ge_u32 s4, s2
	s_cselect_b32 s4, s5, s4
	s_sub_i32 s5, s4, s2
	s_cmp_ge_u32 s4, s2
	s_cselect_b32 s2, s5, s4
	s_xor_b32 s2, s2, s3
	s_sub_i32 s2, s2, s3
	s_add_i32 s3, s44, s23
	s_sub_i32 s3, s3, s2
	s_cmp_eq_u32 s2, 0
	s_cselect_b32 s33, s23, s3
	v_cmp_gt_u32_e32 vcc, s33, v68
	s_and_b64 exec, exec, vcc
	s_cbranch_execz .LBB136_70
; %bb.8:
	s_load_dwordx8 s[12:19], s[0:1], 0x10
	s_min_u32 s40, s22, 0x1800
	s_cmp_lg_u32 s20, 0
	s_cselect_b64 s[2:3], -1, 0
	s_cmp_lg_u32 s22, 0
	s_cselect_b64 s[4:5], -1, 0
	s_lshl_b32 s41, s8, 8
	s_add_i32 s42, s20, -8
	s_add_i32 s43, s23, -1
	s_waitcnt lgkmcnt(0)
	s_cmp_lg_u64 s[18:19], 0
	s_cselect_b64 s[26:27], -1, 0
	s_abs_i32 s6, s13
	v_cvt_f32_u32_e32 v2, s12
	v_cvt_f32_u32_e32 v3, s6
	s_sub_i32 s7, 0, s12
	s_mul_i32 s44, s44, s9
	v_rcp_iflag_f32_e32 v2, v2
	v_rcp_iflag_f32_e32 v3, v3
	s_add_i32 s13, s23, -3
	s_load_dwordx2 s[10:11], s[0:1], 0x30
	v_mul_f32_e32 v2, 0x4f7ffffe, v2
	v_mul_f32_e32 v3, 0x4f7ffffe, v3
	v_cvt_u32_f32_e32 v2, v2
	v_cvt_u32_f32_e32 v3, v3
	v_and_b32_e32 v0, 0x3ff, v0
	v_lshlrev_b32_e32 v67, 3, v0
	v_mul_lo_u32 v4, s7, v2
	s_sub_i32 s7, 0, s6
	v_readfirstlane_b32 s9, v3
	s_mul_i32 s7, s7, s9
	s_mul_hi_u32 s7, s9, s7
	s_add_i32 s9, s9, s7
	s_sub_i32 s7, 1, s6
	s_cmp_lt_u32 s6, 2
	s_cselect_b32 s7, s7, 1
	s_sub_i32 s28, s7, s6
	s_cmp_ge_u32 s7, s6
	s_cselect_b32 s45, s28, s7
	s_lshr_b32 s7, s9, 31
	s_mul_i32 s7, s7, s6
	s_sub_i32 s7, 2, s7
	s_sub_i32 s28, s7, s6
	s_cmp_ge_u32 s7, s6
	s_cselect_b32 s7, s28, s7
	s_sub_i32 s28, s7, s6
	s_cmp_ge_u32 s7, s6
	s_cselect_b32 s46, s28, s7
	s_mul_hi_u32 s7, s9, 3
	s_mul_i32 s7, s7, s6
	s_sub_i32 s7, 3, s7
	s_sub_i32 s28, s7, s6
	s_cmp_ge_u32 s7, s6
	s_cselect_b32 s7, s28, s7
	s_sub_i32 s28, s7, s6
	s_cmp_ge_u32 s7, s6
	s_cselect_b32 s47, s28, s7
	s_lshr_b32 s7, s9, 30
	s_mul_i32 s7, s7, s6
	s_sub_i32 s7, 4, s7
	s_sub_i32 s9, s7, s6
	s_cmp_ge_u32 s7, s6
	s_cselect_b32 s7, s9, s7
	v_cmp_eq_u32_e64 s[0:1], 31, v0
	v_mul_hi_u32 v4, v2, v4
	s_sub_i32 s9, s7, s6
	v_lshlrev_b32_e32 v0, 4, v0
	v_add_u32_e32 v73, v2, v4
	s_cmp_ge_u32 s7, s6
	v_lshl_add_u32 v82, v1, 9, v0
	v_lshl_add_u32 v72, v1, 8, v67
	v_cndmask_b32_e64 v0, 0, 1, s[2:3]
	s_cselect_b32 s48, s9, s7
	s_waitcnt lgkmcnt(0)
	s_add_u32 s28, s10, 2
	v_mad_u64_u32 v[74:75], s[6:7], s22, 3, v[72:73]
	v_cmp_ne_u32_e64 s[2:3], 1, v0
	v_cndmask_b32_e64 v0, 0, 1, s[4:5]
	s_mov_b64 s[24:25], 0
	v_mov_b32_e32 v71, 0
	s_mul_i32 s45, s45, s12
	s_mul_i32 s46, s46, s12
	;; [unrolled: 1-line block ×4, first 2 shown]
	s_addc_u32 s29, s11, 0
	s_lshl_b32 s49, s40, 3
	s_lshl_b32 s50, s8, 9
	s_mul_i32 s51, s40, 6
	s_lshl_b32 s52, s40, 2
	s_lshl_b32 s53, s40, 1
	v_lshl_add_u32 v83, s22, 1, v72
	v_lshl_add_u32 v75, s22, 2, v72
	v_add_u32_e32 v84, s22, v72
	v_cmp_ne_u32_e64 s[4:5], 1, v0
	s_branch .LBB136_12
.LBB136_9:                              ;   in Loop: Header=BB136_12 Depth=1
	s_or_b64 exec, exec, s[34:35]
	v_mov_b32_e32 v68, s13
.LBB136_10:                             ;   in Loop: Header=BB136_12 Depth=1
	s_or_b64 exec, exec, s[8:9]
.LBB136_11:                             ;   in Loop: Header=BB136_12 Depth=1
	s_or_b64 exec, exec, s[30:31]
	v_cmp_le_u32_e32 vcc, s33, v68
	s_or_b64 s[24:25], vcc, s[24:25]
	s_andn2_b64 exec, exec, s[24:25]
	s_cbranch_execz .LBB136_70
.LBB136_12:                             ; =>This Loop Header: Depth=1
                                        ;     Child Loop BB136_17 Depth 2
                                        ;       Child Loop BB136_22 Depth 3
                                        ;     Child Loop BB136_54 Depth 2
	s_mov_b32 s36, 0
	s_and_b64 vcc, exec, s[2:3]
	v_mov_b32_e32 v98, v71
	v_mov_b32_e32 v97, v71
	;; [unrolled: 1-line block ×15, first 2 shown]
	s_cbranch_vccnz .LBB136_29
; %bb.13:                               ;   in Loop: Header=BB136_12 Depth=1
	v_min_u32_e32 v0, s43, v68
	v_mul_lo_u32 v70, v0, s21
	v_add_u32_e32 v0, 1, v68
	v_add_u32_e32 v2, 2, v68
	v_min_u32_e32 v0, s43, v0
	v_min_u32_e32 v2, s43, v2
	v_mul_lo_u32 v0, v0, s21
	v_mov_b32_e32 v1, v71
	v_mul_lo_u32 v2, v2, s21
	v_mov_b32_e32 v3, v71
	v_cmp_gt_u32_e64 s[6:7], s23, v68
	v_mov_b32_e32 v92, 0
	v_lshlrev_b64 v[76:77], 1, v[70:71]
	v_lshlrev_b64 v[78:79], 1, v[0:1]
	;; [unrolled: 1-line block ×3, first 2 shown]
	v_mov_b32_e32 v91, 0
	v_mov_b32_e32 v90, 0
	v_mov_b32_e32 v89, 0
	v_mov_b32_e32 v88, 0
	v_mov_b32_e32 v87, 0
	v_mov_b32_e32 v86, 0
	v_mov_b32_e32 v85, 0
	v_mov_b32_e32 v69, 0
	v_mov_b32_e32 v93, 0
	v_mov_b32_e32 v94, 0
	v_mov_b32_e32 v95, 0
	v_mov_b32_e32 v96, 0
	v_mov_b32_e32 v97, 0
	v_mov_b32_e32 v98, 0
	s_mov_b32 s37, 0
	s_branch .LBB136_17
.LBB136_14:                             ;   in Loop: Header=BB136_17 Depth=2
	s_or_b64 exec, exec, s[34:35]
.LBB136_15:                             ;   in Loop: Header=BB136_17 Depth=2
	s_or_b64 exec, exec, s[30:31]
	s_waitcnt vmcnt(5) lgkmcnt(4)
	;;#ASMSTART
	v_dot2c_f32_f16 v98, v60, v36
	;;#ASMEND
	s_waitcnt vmcnt(4)
	;;#ASMSTART
	v_dot2c_f32_f16 v97, v60, v32
	;;#ASMEND
	s_waitcnt vmcnt(3)
	;;#ASMSTART
	v_dot2c_f32_f16 v96, v60, v28
	;;#ASMEND
	s_waitcnt lgkmcnt(3)
	;;#ASMSTART
	v_dot2c_f32_f16 v95, v56, v36
	;;#ASMEND
	;;#ASMSTART
	v_dot2c_f32_f16 v94, v56, v32
	;;#ASMEND
	;;#ASMSTART
	v_dot2c_f32_f16 v93, v56, v28
	;;#ASMEND
	s_waitcnt lgkmcnt(2)
	;;#ASMSTART
	v_dot2c_f32_f16 v92, v52, v36
	;;#ASMEND
	;;#ASMSTART
	v_dot2c_f32_f16 v91, v52, v32
	;;#ASMEND
	;; [unrolled: 10-line block ×4, first 2 shown]
	;;#ASMSTART
	v_dot2c_f32_f16 v69, v44, v28
	;;#ASMEND
	;;#ASMSTART
	v_dot2c_f32_f16 v98, v61, v37
	;;#ASMEND
	;;#ASMSTART
	v_dot2c_f32_f16 v97, v61, v33
	;;#ASMEND
	;;#ASMSTART
	v_dot2c_f32_f16 v96, v61, v29
	;;#ASMEND
	;;#ASMSTART
	v_dot2c_f32_f16 v95, v57, v37
	;;#ASMEND
	;;#ASMSTART
	v_dot2c_f32_f16 v94, v57, v33
	;;#ASMEND
	;;#ASMSTART
	v_dot2c_f32_f16 v93, v57, v29
	;;#ASMEND
	;;#ASMSTART
	v_dot2c_f32_f16 v92, v53, v37
	;;#ASMEND
	;;#ASMSTART
	v_dot2c_f32_f16 v91, v53, v33
	;;#ASMEND
	;;#ASMSTART
	v_dot2c_f32_f16 v90, v53, v29
	;;#ASMEND
	;;#ASMSTART
	v_dot2c_f32_f16 v89, v49, v37
	;;#ASMEND
	;;#ASMSTART
	v_dot2c_f32_f16 v88, v49, v33
	;;#ASMEND
	;;#ASMSTART
	v_dot2c_f32_f16 v87, v49, v29
	;;#ASMEND
	s_nop 0
	;;#ASMSTART
	v_dot2c_f32_f16 v86, v45, v37
	;;#ASMEND
	;;#ASMSTART
	v_dot2c_f32_f16 v85, v45, v33
	;;#ASMEND
	;;#ASMSTART
	v_dot2c_f32_f16 v69, v45, v29
	;;#ASMEND
	;;#ASMSTART
	v_dot2c_f32_f16 v98, v62, v38
	;;#ASMEND
	;;#ASMSTART
	v_dot2c_f32_f16 v97, v62, v34
	;;#ASMEND
	;;#ASMSTART
	v_dot2c_f32_f16 v96, v62, v30
	;;#ASMEND
	;;#ASMSTART
	v_dot2c_f32_f16 v95, v58, v38
	;;#ASMEND
	;;#ASMSTART
	v_dot2c_f32_f16 v94, v58, v34
	;;#ASMEND
	;;#ASMSTART
	v_dot2c_f32_f16 v93, v58, v30
	;;#ASMEND
	;;#ASMSTART
	v_dot2c_f32_f16 v92, v54, v38
	;;#ASMEND
	;;#ASMSTART
	v_dot2c_f32_f16 v91, v54, v34
	;;#ASMEND
	;;#ASMSTART
	v_dot2c_f32_f16 v90, v54, v30
	;;#ASMEND
	;;#ASMSTART
	v_dot2c_f32_f16 v89, v50, v38
	;;#ASMEND
	;;#ASMSTART
	v_dot2c_f32_f16 v88, v50, v34
	;;#ASMEND
	;;#ASMSTART
	v_dot2c_f32_f16 v87, v50, v30
	;;#ASMEND
	s_nop 0
	;;#ASMSTART
	v_dot2c_f32_f16 v86, v46, v38
	;;#ASMEND
	;;#ASMSTART
	v_dot2c_f32_f16 v85, v46, v34
	;;#ASMEND
	;; [unrolled: 46-line block ×3, first 2 shown]
	;;#ASMSTART
	v_dot2c_f32_f16 v69, v47, v31
	;;#ASMEND
	s_waitcnt vmcnt(2)
	;;#ASMSTART
	v_dot2c_f32_f16 v98, v40, v8
	;;#ASMEND
	s_waitcnt vmcnt(1)
	;; [unrolled: 4-line block ×3, first 2 shown]
	;;#ASMSTART
	v_dot2c_f32_f16 v96, v40, v0
	;;#ASMEND
	;;#ASMSTART
	v_dot2c_f32_f16 v95, v24, v8
	;;#ASMEND
	;;#ASMSTART
	v_dot2c_f32_f16 v94, v24, v4
	;;#ASMEND
	;;#ASMSTART
	v_dot2c_f32_f16 v93, v24, v0
	;;#ASMEND
	;;#ASMSTART
	v_dot2c_f32_f16 v92, v20, v8
	;;#ASMEND
	;;#ASMSTART
	v_dot2c_f32_f16 v91, v20, v4
	;;#ASMEND
	;;#ASMSTART
	v_dot2c_f32_f16 v90, v20, v0
	;;#ASMEND
	;;#ASMSTART
	v_dot2c_f32_f16 v89, v16, v8
	;;#ASMEND
	;;#ASMSTART
	v_dot2c_f32_f16 v88, v16, v4
	;;#ASMEND
	;;#ASMSTART
	v_dot2c_f32_f16 v87, v16, v0
	;;#ASMEND
	;;#ASMSTART
	v_dot2c_f32_f16 v86, v12, v8
	;;#ASMEND
	;;#ASMSTART
	v_dot2c_f32_f16 v85, v12, v4
	;;#ASMEND
	;;#ASMSTART
	v_dot2c_f32_f16 v69, v12, v0
	;;#ASMEND
	;;#ASMSTART
	v_dot2c_f32_f16 v98, v41, v9
	;;#ASMEND
	;;#ASMSTART
	v_dot2c_f32_f16 v97, v41, v5
	;;#ASMEND
	s_nop 0
	;;#ASMSTART
	v_dot2c_f32_f16 v96, v41, v1
	;;#ASMEND
	;;#ASMSTART
	v_dot2c_f32_f16 v95, v25, v9
	;;#ASMEND
	;;#ASMSTART
	v_dot2c_f32_f16 v94, v25, v5
	;;#ASMEND
	;;#ASMSTART
	v_dot2c_f32_f16 v93, v25, v1
	;;#ASMEND
	;;#ASMSTART
	v_dot2c_f32_f16 v92, v21, v9
	;;#ASMEND
	;;#ASMSTART
	v_dot2c_f32_f16 v91, v21, v5
	;;#ASMEND
	;;#ASMSTART
	v_dot2c_f32_f16 v90, v21, v1
	;;#ASMEND
	;;#ASMSTART
	v_dot2c_f32_f16 v89, v17, v9
	;;#ASMEND
	;;#ASMSTART
	v_dot2c_f32_f16 v88, v17, v5
	;;#ASMEND
	;;#ASMSTART
	v_dot2c_f32_f16 v87, v17, v1
	;;#ASMEND
	;;#ASMSTART
	v_dot2c_f32_f16 v86, v13, v9
	;;#ASMEND
	;;#ASMSTART
	v_dot2c_f32_f16 v85, v13, v5
	;;#ASMEND
	;;#ASMSTART
	v_dot2c_f32_f16 v69, v13, v1
	;;#ASMEND
	;;#ASMSTART
	v_dot2c_f32_f16 v98, v42, v10
	;;#ASMEND
	;;#ASMSTART
	v_dot2c_f32_f16 v97, v42, v6
	;;#ASMEND
	s_nop 0
	;; [unrolled: 46-line block ×3, first 2 shown]
	;;#ASMSTART
	v_dot2c_f32_f16 v96, v43, v3
	;;#ASMEND
	;;#ASMSTART
	v_dot2c_f32_f16 v95, v27, v11
	;;#ASMEND
	;; [unrolled: 3-line block ×13, first 2 shown]
.LBB136_16:                             ;   in Loop: Header=BB136_17 Depth=2
	s_or_b64 exec, exec, s[8:9]
	s_addk_i32 s37, 0x200
	s_cmp_ge_u32 s37, s20
	s_cbranch_scc1 .LBB136_29
.LBB136_17:                             ;   Parent Loop BB136_12 Depth=1
                                        ; =>  This Loop Header: Depth=2
                                        ;       Child Loop BB136_22 Depth 3
	s_cmp_eq_u32 s37, 0
	s_cselect_b64 s[8:9], -1, 0
	s_add_i32 s30, s36, s40
	s_cmp_eq_u32 s37, s30
	s_cselect_b64 s[34:35], -1, 0
	s_or_b64 s[34:35], s[8:9], s[34:35]
	s_andn2_b64 vcc, exec, s[34:35]
	s_cbranch_vccz .LBB136_19
; %bb.18:                               ;   in Loop: Header=BB136_17 Depth=2
	s_and_saveexec_b64 s[8:9], s[6:7]
	s_cbranch_execz .LBB136_16
	s_branch .LBB136_26
.LBB136_19:                             ;   in Loop: Header=BB136_17 Depth=2
	s_and_b64 s[8:9], s[8:9], exec
	s_cselect_b32 s36, s36, s30
	s_and_b64 vcc, exec, s[4:5]
	s_barrier
	s_cbranch_vccnz .LBB136_25
; %bb.20:                               ;   in Loop: Header=BB136_17 Depth=2
	v_add_u32_e32 v0, s36, v83
	v_add_u32_e32 v1, s36, v74
	;; [unrolled: 1-line block ×5, first 2 shown]
	s_mov_b32 s38, 0
	s_mov_b64 s[30:31], 0
	v_mov_b32_e32 v5, v82
                                        ; implicit-def: $sgpr34_sgpr35
	s_branch .LBB136_22
.LBB136_21:                             ;   in Loop: Header=BB136_22 Depth=3
	s_or_b64 exec, exec, s[8:9]
	s_and_b64 s[8:9], exec, s[34:35]
	s_or_b64 s[30:31], s[8:9], s[30:31]
	s_andn2_b64 exec, exec, s[30:31]
	s_cbranch_execz .LBB136_24
.LBB136_22:                             ;   Parent Loop BB136_12 Depth=1
                                        ;     Parent Loop BB136_17 Depth=2
                                        ; =>    This Inner Loop Header: Depth=3
	v_add_u32_e32 v6, s38, v72
	v_add_u32_e32 v70, s38, v4
	v_cmp_gt_u32_e32 vcc, s22, v70
	v_cmp_gt_u32_e64 s[8:9], s40, v6
	s_and_b64 s[54:55], s[8:9], vcc
	s_or_b64 s[34:35], s[34:35], exec
	s_and_saveexec_b64 s[8:9], s[54:55]
	s_cbranch_execz .LBB136_21
; %bb.23:                               ;   in Loop: Header=BB136_22 Depth=3
	v_lshl_add_u64 v[6:7], v[70:71], 1, s[16:17]
	v_add_u32_e32 v70, s38, v3
	v_lshl_add_u64 v[10:11], v[70:71], 1, s[16:17]
	v_add_u32_e32 v70, s38, v0
	;; [unrolled: 2-line block ×3, first 2 shown]
	v_lshl_add_u64 v[18:19], v[70:71], 1, s[16:17]
	global_load_dwordx4 v[6:9], v[6:7], off
	s_nop 0
	global_load_dwordx4 v[10:13], v[10:11], off
	s_nop 0
	;; [unrolled: 2-line block ×3, first 2 shown]
	global_load_dwordx4 v[18:21], v[18:19], off
	v_add_u32_e32 v70, s38, v2
	v_lshl_add_u64 v[22:23], v[70:71], 1, s[16:17]
	global_load_dwordx4 v[22:25], v[22:23], off
	s_add_i32 s38, s38, s41
	s_cmp_ge_u32 s38, s40
	s_cselect_b64 s[54:55], -1, 0
	s_andn2_b64 s[34:35], s[34:35], exec
	s_and_b64 s[54:55], s[54:55], exec
	v_add_u32_e32 v26, s53, v5
	v_add_u32_e32 v27, s52, v5
	;; [unrolled: 1-line block ×4, first 2 shown]
	s_or_b64 s[34:35], s[34:35], s[54:55]
	s_waitcnt vmcnt(4)
	ds_write_b128 v5, v[6:9]
	v_add_u32_e32 v5, s50, v5
	s_waitcnt vmcnt(3)
	ds_write2_b64 v26, v[10:11], v[12:13] offset1:1
	s_waitcnt vmcnt(2)
	ds_write2_b32 v27, v14, v15 offset1:1
	ds_write2_b32 v27, v16, v17 offset0:2 offset1:3
	s_waitcnt vmcnt(1)
	ds_write2_b64 v28, v[18:19], v[20:21] offset1:1
	s_waitcnt vmcnt(0)
	ds_write2_b64 v29, v[22:23], v[24:25] offset1:1
	s_branch .LBB136_21
.LBB136_24:                             ;   in Loop: Header=BB136_17 Depth=2
	s_or_b64 exec, exec, s[30:31]
.LBB136_25:                             ;   in Loop: Header=BB136_17 Depth=2
	s_waitcnt lgkmcnt(0)
	s_barrier
	s_and_saveexec_b64 s[8:9], s[6:7]
	s_cbranch_execz .LBB136_16
.LBB136_26:                             ;   in Loop: Header=BB136_17 Depth=2
	v_add_u32_e32 v99, s37, v67
	v_min_u32_e32 v70, s42, v99
	v_lshl_add_u64 v[0:1], v[70:71], 1, s[14:15]
	v_add_u32_e32 v100, 0x100, v99
	v_lshl_add_u64 v[2:3], v[0:1], 0, v[76:77]
	v_min_u32_e32 v70, s42, v100
	v_lshl_add_u64 v[4:5], v[0:1], 0, v[78:79]
	global_load_dwordx4 v[36:39], v[2:3], off nt
	global_load_dwordx4 v[32:35], v[4:5], off nt
	v_lshl_add_u64 v[2:3], v[70:71], 1, s[14:15]
	v_lshl_add_u64 v[0:1], v[0:1], 0, v[80:81]
	;; [unrolled: 1-line block ×4, first 2 shown]
	global_load_dwordx4 v[28:31], v[0:1], off nt
	global_load_dwordx4 v[8:11], v[4:5], off nt
	v_lshl_add_u64 v[14:15], v[2:3], 0, v[80:81]
	global_load_dwordx4 v[4:7], v[12:13], off nt
	global_load_dwordx4 v[0:3], v[14:15], off nt
	v_cmp_gt_u32_e32 vcc, s20, v99
	v_mov_b32_e32 v60, 0
	v_mov_b32_e32 v61, 0
	;; [unrolled: 1-line block ×16, first 2 shown]
	s_waitcnt vmcnt(19)
	v_mov_b32_e32 v44, 0
	v_mov_b32_e32 v45, 0
	;; [unrolled: 1-line block ×4, first 2 shown]
	s_waitcnt vmcnt(15)
	v_mov_b32_e32 v40, 0
	v_mov_b32_e32 v41, 0
	;; [unrolled: 1-line block ×20, first 2 shown]
	s_and_saveexec_b64 s[30:31], vcc
	s_cbranch_execz .LBB136_15
; %bb.27:                               ;   in Loop: Header=BB136_17 Depth=2
	v_subrev_u32_e32 v12, s36, v99
	v_lshlrev_b32_e32 v103, 1, v12
	v_add_u32_e32 v102, s53, v103
	v_add_u32_e32 v101, s53, v102
	;; [unrolled: 1-line block ×4, first 2 shown]
	ds_read_b128 v[60:63], v103
	ds_read_b128 v[56:59], v102
	;; [unrolled: 1-line block ×5, first 2 shown]
	v_cmp_gt_u32_e32 vcc, s20, v100
	v_mov_b32_e32 v15, 0
	v_mov_b32_e32 v14, 0
	;; [unrolled: 1-line block ×20, first 2 shown]
	s_and_saveexec_b64 s[34:35], vcc
	s_cbranch_execz .LBB136_14
; %bb.28:                               ;   in Loop: Header=BB136_17 Depth=2
	ds_read_b128 v[40:43], v103 offset:512
	ds_read_b128 v[24:27], v102 offset:512
	;; [unrolled: 1-line block ×4, first 2 shown]
	ds_read2_b64 v[12:15], v70 offset0:64 offset1:65
	s_branch .LBB136_14
.LBB136_29:                             ;   in Loop: Header=BB136_12 Depth=1
	v_cmp_le_u32_e32 vcc, s23, v68
	s_and_saveexec_b64 s[6:7], vcc
	s_xor_b64 s[6:7], exec, s[6:7]
; %bb.30:                               ;   in Loop: Header=BB136_12 Depth=1
	v_add_u32_e32 v68, s44, v68
                                        ; implicit-def: $vgpr98
                                        ; implicit-def: $vgpr97
                                        ; implicit-def: $vgpr96
                                        ; implicit-def: $vgpr95
                                        ; implicit-def: $vgpr94
                                        ; implicit-def: $vgpr93
                                        ; implicit-def: $vgpr69
                                        ; implicit-def: $vgpr85
                                        ; implicit-def: $vgpr86
                                        ; implicit-def: $vgpr87
                                        ; implicit-def: $vgpr88
                                        ; implicit-def: $vgpr89
                                        ; implicit-def: $vgpr90
                                        ; implicit-def: $vgpr91
                                        ; implicit-def: $vgpr92
; %bb.31:                               ;   in Loop: Header=BB136_12 Depth=1
	s_andn2_saveexec_b64 s[30:31], s[6:7]
	s_cbranch_execz .LBB136_11
; %bb.32:                               ;   in Loop: Header=BB136_12 Depth=1
	v_cvt_i32_f32_e32 v0, v98
	v_cvt_i32_f32_e32 v1, v97
	;; [unrolled: 1-line block ×4, first 2 shown]
	v_cvt_f32_i32_dpp v0, v0 row_shr:8 row_mask:0xf bank_mask:0xf bound_ctrl:1
	v_cvt_f32_i32_dpp v1, v1 row_shr:8 row_mask:0xf bank_mask:0xf bound_ctrl:1
	;; [unrolled: 1-line block ×4, first 2 shown]
	v_add_f32_e32 v0, v98, v0
	v_cvt_i32_f32_e32 v5, v0
	v_add_f32_e32 v1, v97, v1
	v_cvt_i32_f32_e32 v6, v1
	v_add_f32_e32 v2, v96, v2
	v_cvt_f32_i32_dpp v5, v5 row_shr:4 row_mask:0xf bank_mask:0xf bound_ctrl:1
	v_cvt_i32_f32_e32 v7, v2
	v_cvt_f32_i32_dpp v6, v6 row_shr:4 row_mask:0xf bank_mask:0xf bound_ctrl:1
	v_add_f32_e32 v3, v95, v3
	v_add_f32_e32 v0, v0, v5
	v_cvt_i32_f32_e32 v5, v0
	v_add_f32_e32 v1, v1, v6
	v_cvt_i32_f32_e32 v6, v1
	v_cvt_f32_i32_dpp v7, v7 row_shr:4 row_mask:0xf bank_mask:0xf bound_ctrl:1
	v_cvt_f32_i32_dpp v5, v5 row_shr:2 row_mask:0xf bank_mask:0xf bound_ctrl:1
	v_cvt_i32_f32_e32 v8, v3
	v_cvt_f32_i32_dpp v6, v6 row_shr:2 row_mask:0xf bank_mask:0xf bound_ctrl:1
	v_add_f32_e32 v2, v2, v7
	v_add_f32_e32 v0, v0, v5
	v_cvt_i32_f32_e32 v5, v0
	v_add_f32_e32 v1, v1, v6
	v_cvt_i32_f32_e32 v6, v1
	v_cvt_i32_f32_e32 v7, v2
	v_cvt_f32_i32_dpp v5, v5 row_shr:1 row_mask:0xf bank_mask:0xf bound_ctrl:1
	v_cvt_i32_f32_e32 v4, v94
	v_cvt_f32_i32_dpp v6, v6 row_shr:1 row_mask:0xf bank_mask:0xf bound_ctrl:1
	v_cvt_f32_i32_dpp v7, v7 row_shr:2 row_mask:0xf bank_mask:0xf bound_ctrl:1
	v_add_f32_e32 v0, v0, v5
	v_cvt_i32_f32_e32 v5, v0
	v_add_f32_e32 v1, v1, v6
	v_cvt_i32_f32_e32 v6, v1
	v_add_f32_e32 v9, v2, v7
	v_cvt_f32_i32_dpp v5, v5 row_bcast:15 row_mask:0xf bank_mask:0xf bound_ctrl:1
	v_cvt_f32_i32_dpp v8, v8 row_shr:4 row_mask:0xf bank_mask:0xf bound_ctrl:1
	v_cvt_i32_f32_e32 v2, v9
	v_cvt_f32_i32_dpp v6, v6 row_bcast:15 row_mask:0xf bank_mask:0xf bound_ctrl:1
	v_add_f32_e32 v5, v0, v5
	v_cvt_i32_f32_e32 v0, v5
	v_cvt_f32_i32_dpp v10, v2 row_shr:1 row_mask:0xf bank_mask:0xf bound_ctrl:1
	v_cvt_f32_i32_dpp v4, v4 row_shr:8 row_mask:0xf bank_mask:0xf bound_ctrl:1
	v_add_f32_e32 v3, v3, v8
	v_add_f32_e32 v2, v1, v6
	v_cvt_i32_f32_e32 v6, v3
	v_mov_b32_dpp v7, v0 row_bcast:31 row_mask:0xf bank_mask:0xf bound_ctrl:1
	v_add_f32_e32 v0, v9, v10
	v_add_f32_e32 v9, v94, v4
	v_cvt_i32_f32_e32 v1, v2
	v_cvt_i32_f32_e32 v8, v0
	;; [unrolled: 1-line block ×3, first 2 shown]
	v_cvt_f32_i32_dpp v6, v6 row_shr:2 row_mask:0xf bank_mask:0xf bound_ctrl:1
	v_mov_b32_dpp v4, v1 row_bcast:31 row_mask:0xf bank_mask:0xf bound_ctrl:1
	v_cvt_f32_i32_dpp v1, v8 row_bcast:15 row_mask:0xf bank_mask:0xf bound_ctrl:1
	v_cvt_f32_i32_dpp v8, v10 row_shr:4 row_mask:0xf bank_mask:0xf bound_ctrl:1
	v_add_f32_e32 v3, v3, v6
	v_cvt_i32_f32_e32 v6, v3
	v_add_f32_e32 v1, v0, v1
	v_add_f32_e32 v0, v9, v8
	v_cvt_i32_f32_e32 v8, v0
	v_cvt_f32_i32_dpp v6, v6 row_shr:1 row_mask:0xf bank_mask:0xf bound_ctrl:1
	v_cvt_i32_f32_e32 v9, v93
	v_cvt_i32_f32_e32 v10, v1
	v_cvt_f32_i32_dpp v8, v8 row_shr:2 row_mask:0xf bank_mask:0xf bound_ctrl:1
	v_add_f32_e32 v3, v3, v6
	v_cvt_f32_i32_dpp v6, v9 row_shr:8 row_mask:0xf bank_mask:0xf bound_ctrl:1
	v_cvt_i32_f32_e32 v9, v3
	v_add_f32_e32 v0, v0, v8
	v_cvt_i32_f32_e32 v8, v0
	v_add_f32_e32 v6, v93, v6
	v_cvt_i32_f32_e32 v11, v6
	v_cvt_f32_i32_dpp v9, v9 row_bcast:15 row_mask:0xf bank_mask:0xf bound_ctrl:1
	v_cvt_f32_i32_dpp v12, v8 row_shr:1 row_mask:0xf bank_mask:0xf bound_ctrl:1
	v_mov_b32_dpp v8, v10 row_bcast:31 row_mask:0xf bank_mask:0xf bound_ctrl:1
	v_cvt_f32_i32_dpp v10, v11 row_shr:4 row_mask:0xf bank_mask:0xf bound_ctrl:1
	v_add_f32_e32 v3, v3, v9
	v_cvt_i32_f32_e32 v9, v92
	v_add_f32_e32 v0, v0, v12
	v_add_f32_e32 v6, v6, v10
	v_cvt_i32_f32_e32 v10, v6
	v_cvt_f32_i32_dpp v9, v9 row_shr:8 row_mask:0xf bank_mask:0xf bound_ctrl:1
	v_cvt_i32_f32_e32 v11, v0
	v_cvt_i32_f32_e32 v12, v3
	v_cvt_f32_i32_dpp v10, v10 row_shr:2 row_mask:0xf bank_mask:0xf bound_ctrl:1
	v_add_f32_e32 v9, v92, v9
	v_cvt_i32_f32_e32 v14, v9
	v_cvt_f32_i32_dpp v13, v11 row_bcast:15 row_mask:0xf bank_mask:0xf bound_ctrl:1
	v_add_f32_e32 v10, v6, v10
	v_mov_b32_dpp v11, v12 row_bcast:31 row_mask:0xf bank_mask:0xf bound_ctrl:1
	v_cvt_f32_i32_dpp v12, v14 row_shr:4 row_mask:0xf bank_mask:0xf bound_ctrl:1
	v_cvt_i32_f32_e32 v15, v10
	v_add_f32_e32 v6, v0, v13
	v_cvt_i32_f32_e32 v13, v91
	v_add_f32_e32 v9, v9, v12
	v_cvt_f32_i32_dpp v0, v15 row_shr:1 row_mask:0xf bank_mask:0xf bound_ctrl:1
	v_cvt_i32_f32_e32 v12, v9
	v_cvt_f32_i32_dpp v13, v13 row_shr:8 row_mask:0xf bank_mask:0xf bound_ctrl:1
	v_cvt_i32_f32_e32 v14, v6
	v_add_f32_e32 v0, v10, v0
	v_cvt_f32_i32_dpp v10, v12 row_shr:2 row_mask:0xf bank_mask:0xf bound_ctrl:1
	v_add_f32_e32 v13, v91, v13
	v_cvt_i32_f32_e32 v12, v0
	v_cvt_i32_f32_e32 v15, v13
	v_add_f32_e32 v10, v9, v10
	v_cvt_i32_f32_e32 v9, v10
	v_cvt_f32_i32_dpp v16, v12 row_bcast:15 row_mask:0xf bank_mask:0xf bound_ctrl:1
	v_cvt_f32_i32_dpp v15, v15 row_shr:4 row_mask:0xf bank_mask:0xf bound_ctrl:1
	v_mov_b32_dpp v12, v14 row_bcast:31 row_mask:0xf bank_mask:0xf bound_ctrl:1
	v_cvt_f32_i32_dpp v14, v9 row_shr:1 row_mask:0xf bank_mask:0xf bound_ctrl:1
	v_add_f32_e32 v9, v0, v16
	v_add_f32_e32 v0, v13, v15
	v_cvt_i32_f32_e32 v13, v0
	v_add_f32_e32 v10, v10, v14
	v_cvt_i32_f32_e32 v14, v90
	v_cvt_i32_f32_e32 v15, v10
	v_cvt_f32_i32_dpp v13, v13 row_shr:2 row_mask:0xf bank_mask:0xf bound_ctrl:1
	v_cvt_i32_f32_e32 v16, v9
	v_cvt_f32_i32_dpp v14, v14 row_shr:8 row_mask:0xf bank_mask:0xf bound_ctrl:1
	v_cvt_f32_i32_dpp v15, v15 row_bcast:15 row_mask:0xf bank_mask:0xf bound_ctrl:1
	v_add_f32_e32 v0, v0, v13
	v_cvt_i32_f32_e32 v17, v0
	v_add_f32_e32 v14, v90, v14
	v_cvt_i32_f32_e32 v18, v14
	v_mov_b32_dpp v13, v16 row_bcast:31 row_mask:0xf bank_mask:0xf bound_ctrl:1
	v_cvt_f32_i32_dpp v16, v17 row_shr:1 row_mask:0xf bank_mask:0xf bound_ctrl:1
	v_add_f32_e32 v10, v10, v15
	v_cvt_f32_i32_dpp v15, v18 row_shr:4 row_mask:0xf bank_mask:0xf bound_ctrl:1
	v_cvt_i32_f32_e32 v17, v10
	v_add_f32_e32 v0, v0, v16
	v_cvt_i32_f32_e32 v16, v89
	v_add_f32_e32 v15, v14, v15
	v_cvt_i32_f32_e32 v18, v15
	v_cvt_i32_f32_e32 v19, v0
	v_cvt_f32_i32_dpp v16, v16 row_shr:8 row_mask:0xf bank_mask:0xf bound_ctrl:1
	v_mov_b32_dpp v14, v17 row_bcast:31 row_mask:0xf bank_mask:0xf bound_ctrl:1
	v_cvt_f32_i32_dpp v17, v18 row_shr:2 row_mask:0xf bank_mask:0xf bound_ctrl:1
	v_cvt_f32_i32_dpp v18, v19 row_bcast:15 row_mask:0xf bank_mask:0xf bound_ctrl:1
	v_add_f32_e32 v16, v89, v16
	v_cvt_i32_f32_e32 v19, v16
	v_cvt_i32_f32_e32 v20, v88
	v_add_f32_e32 v17, v15, v17
	v_add_f32_e32 v15, v0, v18
	v_cvt_f32_i32_dpp v19, v19 row_shr:4 row_mask:0xf bank_mask:0xf bound_ctrl:1
	v_cvt_f32_i32_dpp v0, v20 row_shr:8 row_mask:0xf bank_mask:0xf bound_ctrl:1
	v_cvt_i32_f32_e32 v21, v17
	v_add_f32_e32 v16, v16, v19
	v_cvt_i32_f32_e32 v19, v16
	v_add_f32_e32 v0, v88, v0
	v_cvt_f32_i32_dpp v18, v21 row_shr:1 row_mask:0xf bank_mask:0xf bound_ctrl:1
	v_cvt_i32_f32_e32 v20, v0
	v_cvt_f32_i32_dpp v19, v19 row_shr:2 row_mask:0xf bank_mask:0xf bound_ctrl:1
	v_cvt_i32_f32_e32 v21, v15
	v_add_f32_e32 v17, v17, v18
	v_cvt_f32_i32_dpp v18, v20 row_shr:4 row_mask:0xf bank_mask:0xf bound_ctrl:1
	v_add_f32_e32 v19, v16, v19
	v_cvt_i32_f32_e32 v20, v17
	v_cvt_i32_f32_e32 v16, v19
	v_add_f32_e32 v0, v0, v18
	v_cvt_i32_f32_e32 v18, v0
	v_cvt_f32_i32_dpp v20, v20 row_bcast:15 row_mask:0xf bank_mask:0xf bound_ctrl:1
	v_cvt_f32_i32_dpp v22, v16 row_shr:1 row_mask:0xf bank_mask:0xf bound_ctrl:1
	v_mov_b32_dpp v21, v21 row_bcast:31 row_mask:0xf bank_mask:0xf bound_ctrl:1
	v_cvt_f32_i32_dpp v18, v18 row_shr:2 row_mask:0xf bank_mask:0xf bound_ctrl:1
	v_add_f32_e32 v16, v17, v20
	v_add_f32_e32 v17, v19, v22
	v_cvt_i32_f32_e32 v19, v87
	v_add_f32_e32 v0, v0, v18
	v_cvt_i32_f32_e32 v18, v0
	v_cvt_i32_f32_e32 v20, v17
	v_cvt_f32_i32_dpp v19, v19 row_shr:8 row_mask:0xf bank_mask:0xf bound_ctrl:1
	v_cvt_i32_f32_e32 v22, v16
	v_cvt_f32_i32_dpp v18, v18 row_shr:1 row_mask:0xf bank_mask:0xf bound_ctrl:1
	v_cvt_f32_i32_dpp v20, v20 row_bcast:15 row_mask:0xf bank_mask:0xf bound_ctrl:1
	v_add_f32_e32 v19, v87, v19
	v_cvt_i32_f32_e32 v24, v19
	v_add_f32_e32 v0, v0, v18
	v_mov_b32_dpp v23, v22 row_bcast:31 row_mask:0xf bank_mask:0xf bound_ctrl:1
	v_cvt_i32_f32_e32 v18, v0
	v_cvt_f32_i32_dpp v22, v24 row_shr:4 row_mask:0xf bank_mask:0xf bound_ctrl:1
	v_add_f32_e32 v17, v17, v20
	v_cvt_i32_f32_e32 v20, v86
	v_cvt_f32_i32_dpp v18, v18 row_bcast:15 row_mask:0xf bank_mask:0xf bound_ctrl:1
	v_add_f32_e32 v19, v19, v22
	v_cvt_i32_f32_e32 v22, v19
	v_cvt_f32_i32_dpp v20, v20 row_shr:8 row_mask:0xf bank_mask:0xf bound_ctrl:1
	v_add_f32_e32 v18, v0, v18
	v_cvt_i32_f32_e32 v24, v17
	v_cvt_f32_i32_dpp v0, v22 row_shr:2 row_mask:0xf bank_mask:0xf bound_ctrl:1
	v_add_f32_e32 v26, v86, v20
	v_cvt_i32_f32_e32 v20, v26
	v_cvt_i32_f32_e32 v22, v18
	v_add_f32_e32 v0, v19, v0
	v_cvt_i32_f32_e32 v19, v0
	v_mov_b32_dpp v25, v24 row_bcast:31 row_mask:0xf bank_mask:0xf bound_ctrl:1
	v_cvt_f32_i32_dpp v24, v20 row_shr:4 row_mask:0xf bank_mask:0xf bound_ctrl:1
	v_mov_b32_dpp v20, v22 row_bcast:31 row_mask:0xf bank_mask:0xf bound_ctrl:1
	v_cvt_f32_i32_dpp v19, v19 row_shr:1 row_mask:0xf bank_mask:0xf bound_ctrl:1
	v_cvt_i32_f32_e32 v22, v85
	v_add_f32_e32 v24, v26, v24
	v_cvt_i32_f32_e32 v26, v69
	v_add_f32_e32 v0, v0, v19
	v_cvt_f32_i32_dpp v22, v22 row_shr:8 row_mask:0xf bank_mask:0xf bound_ctrl:1
	v_cvt_i32_f32_e32 v27, v24
	v_cvt_f32_i32_dpp v19, v26 row_shr:8 row_mask:0xf bank_mask:0xf bound_ctrl:1
	v_cvt_i32_f32_e32 v29, v0
	v_add_f32_e32 v22, v85, v22
	v_cvt_f32_i32_dpp v26, v27 row_shr:2 row_mask:0xf bank_mask:0xf bound_ctrl:1
	v_add_f32_e32 v19, v69, v19
	v_cvt_i32_f32_e32 v27, v22
	v_cvt_i32_f32_e32 v28, v19
	v_add_f32_e32 v24, v24, v26
	v_cvt_f32_i32_dpp v29, v29 row_bcast:15 row_mask:0xf bank_mask:0xf bound_ctrl:1
	v_cvt_f32_i32_dpp v27, v27 row_shr:4 row_mask:0xf bank_mask:0xf bound_ctrl:1
	v_cvt_f32_i32_dpp v26, v28 row_shr:4 row_mask:0xf bank_mask:0xf bound_ctrl:1
	v_cvt_i32_f32_e32 v28, v24
	v_add_f32_e32 v22, v22, v27
	v_add_f32_e32 v19, v19, v26
	v_cvt_i32_f32_e32 v27, v22
	v_cvt_i32_f32_e32 v26, v19
	v_cvt_f32_i32_dpp v28, v28 row_shr:1 row_mask:0xf bank_mask:0xf bound_ctrl:1
	v_cvt_f32_i32_dpp v27, v27 row_shr:2 row_mask:0xf bank_mask:0xf bound_ctrl:1
	;; [unrolled: 1-line block ×3, first 2 shown]
	v_add_f32_e32 v24, v24, v28
	v_add_f32_e32 v28, v0, v29
	;; [unrolled: 1-line block ×4, first 2 shown]
	v_cvt_i32_f32_e32 v27, v22
	v_cvt_i32_f32_e32 v26, v19
	;; [unrolled: 1-line block ×4, first 2 shown]
	v_cvt_f32_i32_dpp v27, v27 row_shr:1 row_mask:0xf bank_mask:0xf bound_ctrl:1
	v_cvt_f32_i32_dpp v0, v26 row_shr:1 row_mask:0xf bank_mask:0xf bound_ctrl:1
	v_cvt_f32_i32_dpp v26, v30 row_bcast:15 row_mask:0xf bank_mask:0xf bound_ctrl:1
	v_add_f32_e32 v22, v22, v27
	v_add_f32_e32 v0, v19, v0
	v_cvt_i32_f32_e32 v27, v22
	v_cvt_i32_f32_e32 v19, v0
	s_nop 0
	v_cvt_f32_i32_dpp v30, v27 row_bcast:15 row_mask:0xf bank_mask:0xf bound_ctrl:1
	v_cvt_f32_i32_dpp v19, v19 row_bcast:15 row_mask:0xf bank_mask:0xf bound_ctrl:1
	v_add_f32_e32 v27, v24, v26
	v_cvt_i32_f32_e32 v26, v27
	v_add_f32_e32 v24, v22, v30
	v_add_f32_e32 v19, v0, v19
	v_cvt_i32_f32_e32 v22, v24
	v_cvt_i32_f32_e32 v0, v19
	v_mov_b32_dpp v30, v29 row_bcast:31 row_mask:0xf bank_mask:0xf bound_ctrl:1
	v_mov_b32_dpp v29, v26 row_bcast:31 row_mask:0xf bank_mask:0xf bound_ctrl:1
	;; [unrolled: 1-line block ×4, first 2 shown]
	s_and_saveexec_b64 s[34:35], s[0:1]
	s_cbranch_execz .LBB136_51
; %bb.33:                               ;   in Loop: Header=BB136_12 Depth=1
	s_andn2_b64 vcc, exec, s[26:27]
	s_waitcnt vmcnt(14)
	v_mov_b32_e32 v45, 0
	v_add_u32_e32 v0, 2, v68
	s_waitcnt vmcnt(13)
	v_mov_b32_e32 v44, 0
	s_waitcnt vmcnt(12)
	v_mov_b32_e32 v43, 0
	;; [unrolled: 2-line block ×14, first 2 shown]
	s_cbranch_vccnz .LBB136_35
; %bb.34:                               ;   in Loop: Header=BB136_12 Depth=1
	v_mul_hi_u32 v31, v68, v73
	v_mul_lo_u32 v31, v31, s12
	v_sub_u32_e32 v31, v68, v31
	v_subrev_u32_e32 v32, s12, v31
	v_cmp_le_u32_e32 vcc, s12, v31
	v_mov_b32_e32 v35, v71
	v_mov_b32_e32 v37, v71
	v_cndmask_b32_e32 v31, v31, v32, vcc
	v_subrev_u32_e32 v32, s12, v31
	v_cmp_le_u32_e32 vcc, s12, v31
	v_mov_b32_e32 v49, v71
	s_nop 0
	v_cndmask_b32_e32 v70, v31, v32, vcc
	v_add_u32_e32 v31, 1, v68
	v_mul_hi_u32 v34, v31, v73
	v_mul_lo_u32 v34, v34, s12
	v_sub_u32_e32 v31, v31, v34
	v_subrev_u32_e32 v34, s12, v31
	v_cmp_le_u32_e32 vcc, s12, v31
	v_add_u32_e32 v36, s45, v70
	v_lshl_add_u64 v[52:53], v[36:37], 1, s[18:19]
	v_cndmask_b32_e32 v31, v31, v34, vcc
	v_subrev_u32_e32 v34, s12, v31
	v_cmp_le_u32_e32 vcc, s12, v31
	v_lshl_add_u64 v[32:33], v[70:71], 1, s[18:19]
	s_nop 0
	v_cndmask_b32_e32 v34, v31, v34, vcc
	v_mul_hi_u32 v31, v0, v73
	v_mul_lo_u32 v31, v31, s12
	v_sub_u32_e32 v31, v0, v31
	v_lshl_add_u64 v[46:47], v[34:35], 1, s[18:19]
	v_subrev_u32_e32 v35, s12, v31
	v_cmp_le_u32_e32 vcc, s12, v31
	v_add_u32_e32 v36, s45, v34
	v_lshl_add_u64 v[54:55], v[36:37], 1, s[18:19]
	v_cndmask_b32_e32 v31, v31, v35, vcc
	v_subrev_u32_e32 v35, s12, v31
	v_cmp_le_u32_e32 vcc, s12, v31
	s_nop 1
	v_cndmask_b32_e32 v48, v31, v35, vcc
	v_add_u32_e32 v36, s45, v48
	v_lshl_add_u64 v[56:57], v[36:37], 1, s[18:19]
	v_add_u32_e32 v36, s46, v70
	v_lshl_add_u64 v[58:59], v[36:37], 1, s[18:19]
	;; [unrolled: 2-line block ×3, first 2 shown]
	v_lshl_add_u64 v[60:61], v[36:37], 1, s[18:19]
	global_load_ushort v45, v[32:33], off
	global_load_ushort v44, v[46:47], off
	global_load_ushort v43, v[50:51], off
	global_load_ushort v42, v[52:53], off
	global_load_ushort v41, v[54:55], off
	global_load_ushort v40, v[56:57], off
	global_load_ushort v38, v[58:59], off
	global_load_ushort v36, v[60:61], off
	v_add_u32_e32 v32, s46, v48
	v_mov_b32_e32 v33, v71
	v_lshl_add_u64 v[46:47], v[32:33], 1, s[18:19]
	v_add_u32_e32 v32, s47, v70
	v_add_u32_e32 v70, s48, v70
	v_lshl_add_u64 v[50:51], v[32:33], 1, s[18:19]
	v_add_u32_e32 v32, s47, v34
	v_lshl_add_u64 v[56:57], v[70:71], 1, s[18:19]
	;; [unrolled: 2-line block ×5, first 2 shown]
	v_lshl_add_u64 v[48:49], v[70:71], 1, s[18:19]
	global_load_ushort v39, v[46:47], off
	global_load_ushort v37, v[50:51], off
	;; [unrolled: 1-line block ×7, first 2 shown]
.LBB136_35:                             ;   in Loop: Header=BB136_12 Depth=1
	v_cmp_ne_u32_e32 vcc, 0, v64
	s_and_saveexec_b64 s[6:7], vcc
	s_cbranch_execnz .LBB136_56
; %bb.36:                               ;   in Loop: Header=BB136_12 Depth=1
	s_or_b64 exec, exec, s[6:7]
	v_cmp_ne_u32_e64 s[6:7], 0, v65
	s_and_saveexec_b64 s[8:9], s[6:7]
	s_cbranch_execnz .LBB136_57
.LBB136_37:                             ;   in Loop: Header=BB136_12 Depth=1
	s_or_b64 exec, exec, s[8:9]
	v_cmp_ne_u32_e64 s[8:9], 0, v66
	s_and_saveexec_b64 s[36:37], s[8:9]
	s_cbranch_execnz .LBB136_58
.LBB136_38:                             ;   in Loop: Header=BB136_12 Depth=1
	s_or_b64 exec, exec, s[36:37]
	v_add_u32_e32 v70, s23, v68
	s_and_saveexec_b64 s[36:37], vcc
	s_cbranch_execnz .LBB136_59
.LBB136_39:                             ;   in Loop: Header=BB136_12 Depth=1
	s_or_b64 exec, exec, s[36:37]
	s_and_saveexec_b64 s[36:37], s[6:7]
	s_cbranch_execnz .LBB136_60
.LBB136_40:                             ;   in Loop: Header=BB136_12 Depth=1
	s_or_b64 exec, exec, s[36:37]
	s_and_saveexec_b64 s[36:37], s[8:9]
	s_cbranch_execnz .LBB136_61
.LBB136_41:                             ;   in Loop: Header=BB136_12 Depth=1
	s_or_b64 exec, exec, s[36:37]
	v_add_u32_e32 v70, s23, v70
	s_and_saveexec_b64 s[36:37], vcc
	s_cbranch_execnz .LBB136_62
.LBB136_42:                             ;   in Loop: Header=BB136_12 Depth=1
	s_or_b64 exec, exec, s[36:37]
	s_and_saveexec_b64 s[36:37], s[6:7]
	s_cbranch_execnz .LBB136_63
.LBB136_43:                             ;   in Loop: Header=BB136_12 Depth=1
	s_or_b64 exec, exec, s[36:37]
	s_and_saveexec_b64 s[36:37], s[8:9]
	s_cbranch_execnz .LBB136_64
.LBB136_44:                             ;   in Loop: Header=BB136_12 Depth=1
	s_or_b64 exec, exec, s[36:37]
	v_add_u32_e32 v70, s23, v70
	s_and_saveexec_b64 s[36:37], vcc
	s_cbranch_execnz .LBB136_65
.LBB136_45:                             ;   in Loop: Header=BB136_12 Depth=1
	s_or_b64 exec, exec, s[36:37]
	s_and_saveexec_b64 s[36:37], s[6:7]
	s_cbranch_execnz .LBB136_66
.LBB136_46:                             ;   in Loop: Header=BB136_12 Depth=1
	s_or_b64 exec, exec, s[36:37]
	s_and_saveexec_b64 s[36:37], s[8:9]
	s_cbranch_execnz .LBB136_67
.LBB136_47:                             ;   in Loop: Header=BB136_12 Depth=1
	s_or_b64 exec, exec, s[36:37]
	v_add_u32_e32 v70, s23, v70
	s_and_saveexec_b64 s[36:37], vcc
	s_cbranch_execnz .LBB136_68
.LBB136_48:                             ;   in Loop: Header=BB136_12 Depth=1
	s_or_b64 exec, exec, s[36:37]
	s_and_saveexec_b64 s[36:37], s[6:7]
	s_cbranch_execnz .LBB136_69
.LBB136_49:                             ;   in Loop: Header=BB136_12 Depth=1
	s_or_b64 exec, exec, s[36:37]
	s_and_b64 exec, exec, s[8:9]
	s_cbranch_execz .LBB136_51
.LBB136_50:                             ;   in Loop: Header=BB136_12 Depth=1
	v_cvt_f32_i32_e32 v0, v22
	s_waitcnt vmcnt(0)
	v_cvt_f32_f16_e32 v1, v31
	v_add_u32_e32 v70, 2, v70
	v_add_f32_e32 v0, v19, v0
	v_add_f32_e32 v0, v0, v1
	v_cvt_f16_f32_e32 v2, v0
	v_lshl_add_u64 v[0:1], v[70:71], 1, s[10:11]
	global_store_short v[0:1], v2, off
.LBB136_51:                             ;   in Loop: Header=BB136_12 Depth=1
	s_or_b64 exec, exec, s[34:35]
	v_add_u32_e32 v68, s44, v68
	v_add_u32_e32 v0, 3, v68
	v_cmp_gt_u32_e32 vcc, s23, v68
	v_cmp_le_u32_e64 s[6:7], s23, v0
	s_and_b64 s[6:7], vcc, s[6:7]
	s_and_saveexec_b64 s[8:9], s[6:7]
	s_cbranch_execz .LBB136_10
; %bb.52:                               ;   in Loop: Header=BB136_12 Depth=1
	v_cmp_ne_u32_e32 vcc, s13, v68
	s_and_saveexec_b64 s[34:35], vcc
	s_cbranch_execz .LBB136_9
; %bb.53:                               ;   in Loop: Header=BB136_12 Depth=1
	v_subrev_u32_e32 v0, s13, v68
	v_cmp_lt_u32_e32 vcc, 1, v0
	s_mov_b64 s[36:37], 0
	s_mov_b64 s[38:39], 0
	v_cndmask_b32_e32 v0, 1, v0, vcc
.LBB136_54:                             ;   Parent Loop BB136_12 Depth=1
                                        ; =>  This Inner Loop Header: Depth=2
	s_cmp_lg_u32 s38, 2
	s_cselect_b64 vcc, -1, 0
	s_cmp_lg_u32 s38, 1
	v_cndmask_b32_e32 v66, 0, v66, vcc
	s_cselect_b64 vcc, -1, 0
	s_cmp_lg_u32 s38, 0
	v_cndmask_b32_e32 v65, 0, v65, vcc
	s_cselect_b64 vcc, -1, 0
	s_add_u32 s38, s38, 1
	s_addc_u32 s39, s39, 0
	v_cmp_eq_u32_e64 s[6:7], s38, v0
	s_or_b64 s[36:37], s[6:7], s[36:37]
	v_cndmask_b32_e32 v64, 0, v64, vcc
	s_andn2_b64 exec, exec, s[36:37]
	s_cbranch_execnz .LBB136_54
; %bb.55:                               ;   in Loop: Header=BB136_12 Depth=1
	s_or_b64 exec, exec, s[36:37]
	s_branch .LBB136_9
.LBB136_56:                             ;   in Loop: Header=BB136_12 Depth=1
	v_cvt_f32_i32_e32 v7, v7
	s_waitcnt vmcnt(14)
	v_cvt_f32_f16_e32 v45, v45
	v_mov_b32_e32 v69, v71
	v_lshl_add_u64 v[46:47], v[68:69], 1, s[10:11]
	v_add_f32_e32 v5, v5, v7
	v_add_f32_e32 v5, v5, v45
	v_cvt_f16_f32_e32 v5, v5
	global_store_short v[46:47], v5, off
	s_or_b64 exec, exec, s[6:7]
	v_cmp_ne_u32_e64 s[6:7], 0, v65
	s_and_saveexec_b64 s[8:9], s[6:7]
	s_cbranch_execz .LBB136_37
.LBB136_57:                             ;   in Loop: Header=BB136_12 Depth=1
	v_cvt_f32_i32_e32 v4, v4
	s_waitcnt vmcnt(13)
	v_cvt_f32_f16_e32 v5, v44
	v_mov_b32_e32 v69, v71
	v_add_f32_e32 v2, v2, v4
	v_add_f32_e32 v2, v2, v5
	v_cvt_f16_f32_e32 v2, v2
	v_lshl_add_u64 v[4:5], v[68:69], 1, s[28:29]
	global_store_short v[4:5], v2, off
	s_or_b64 exec, exec, s[8:9]
	v_cmp_ne_u32_e64 s[8:9], 0, v66
	s_and_saveexec_b64 s[36:37], s[8:9]
	s_cbranch_execz .LBB136_38
.LBB136_58:                             ;   in Loop: Header=BB136_12 Depth=1
	v_cvt_f32_i32_e32 v2, v8
	s_waitcnt vmcnt(12)
	v_cvt_f32_f16_e32 v4, v43
	v_add_f32_e32 v1, v1, v2
	v_add_f32_e32 v1, v1, v4
	v_cvt_f16_f32_e32 v2, v1
	v_mov_b32_e32 v1, v71
	v_lshl_add_u64 v[0:1], v[0:1], 1, s[10:11]
	global_store_short v[0:1], v2, off
	s_or_b64 exec, exec, s[36:37]
	v_add_u32_e32 v70, s23, v68
	s_and_saveexec_b64 s[36:37], vcc
	s_cbranch_execz .LBB136_39
.LBB136_59:                             ;   in Loop: Header=BB136_12 Depth=1
	v_cvt_f32_i32_e32 v0, v11
	s_waitcnt vmcnt(11)
	v_cvt_f32_f16_e32 v1, v42
	v_add_f32_e32 v0, v3, v0
	v_add_f32_e32 v0, v0, v1
	v_cvt_f16_f32_e32 v2, v0
	v_lshl_add_u64 v[0:1], v[70:71], 1, s[10:11]
	global_store_short v[0:1], v2, off
	s_or_b64 exec, exec, s[36:37]
	s_and_saveexec_b64 s[36:37], s[6:7]
	s_cbranch_execz .LBB136_40
.LBB136_60:                             ;   in Loop: Header=BB136_12 Depth=1
	v_cvt_f32_i32_e32 v0, v12
	s_waitcnt vmcnt(10)
	v_cvt_f32_f16_e32 v1, v41
	v_add_f32_e32 v0, v6, v0
	v_add_f32_e32 v0, v0, v1
	v_cvt_f16_f32_e32 v2, v0
	v_add_u32_e32 v0, 1, v70
	v_mov_b32_e32 v1, v71
	v_lshl_add_u64 v[0:1], v[0:1], 1, s[10:11]
	global_store_short v[0:1], v2, off
	s_or_b64 exec, exec, s[36:37]
	s_and_saveexec_b64 s[36:37], s[8:9]
	s_cbranch_execz .LBB136_41
.LBB136_61:                             ;   in Loop: Header=BB136_12 Depth=1
	v_cvt_f32_i32_e32 v0, v13
	s_waitcnt vmcnt(9)
	v_cvt_f32_f16_e32 v1, v40
	v_add_f32_e32 v0, v9, v0
	v_add_f32_e32 v0, v0, v1
	v_cvt_f16_f32_e32 v2, v0
	v_add_u32_e32 v0, 2, v70
	v_mov_b32_e32 v1, v71
	v_lshl_add_u64 v[0:1], v[0:1], 1, s[10:11]
	global_store_short v[0:1], v2, off
	s_or_b64 exec, exec, s[36:37]
	v_add_u32_e32 v70, s23, v70
	s_and_saveexec_b64 s[36:37], vcc
	s_cbranch_execz .LBB136_42
.LBB136_62:                             ;   in Loop: Header=BB136_12 Depth=1
	v_cvt_f32_i32_e32 v0, v14
	s_waitcnt vmcnt(8)
	v_cvt_f32_f16_e32 v1, v38
	v_add_f32_e32 v0, v10, v0
	v_add_f32_e32 v0, v0, v1
	v_cvt_f16_f32_e32 v2, v0
	v_lshl_add_u64 v[0:1], v[70:71], 1, s[10:11]
	global_store_short v[0:1], v2, off
	s_or_b64 exec, exec, s[36:37]
	s_and_saveexec_b64 s[36:37], s[6:7]
	s_cbranch_execz .LBB136_43
.LBB136_63:                             ;   in Loop: Header=BB136_12 Depth=1
	v_cvt_f32_i32_e32 v0, v21
	s_waitcnt vmcnt(7)
	v_cvt_f32_f16_e32 v1, v36
	v_add_f32_e32 v0, v15, v0
	v_add_f32_e32 v0, v0, v1
	v_cvt_f16_f32_e32 v2, v0
	v_add_u32_e32 v0, 1, v70
	v_mov_b32_e32 v1, v71
	v_lshl_add_u64 v[0:1], v[0:1], 1, s[10:11]
	global_store_short v[0:1], v2, off
	s_or_b64 exec, exec, s[36:37]
	s_and_saveexec_b64 s[36:37], s[8:9]
	s_cbranch_execz .LBB136_44
.LBB136_64:                             ;   in Loop: Header=BB136_12 Depth=1
	v_cvt_f32_i32_e32 v0, v23
	s_waitcnt vmcnt(6)
	v_cvt_f32_f16_e32 v1, v39
	v_add_f32_e32 v0, v16, v0
	v_add_f32_e32 v0, v0, v1
	v_cvt_f16_f32_e32 v2, v0
	v_add_u32_e32 v0, 2, v70
	v_mov_b32_e32 v1, v71
	v_lshl_add_u64 v[0:1], v[0:1], 1, s[10:11]
	global_store_short v[0:1], v2, off
	s_or_b64 exec, exec, s[36:37]
	v_add_u32_e32 v70, s23, v70
	s_and_saveexec_b64 s[36:37], vcc
	s_cbranch_execz .LBB136_45
.LBB136_65:                             ;   in Loop: Header=BB136_12 Depth=1
	v_cvt_f32_i32_e32 v0, v25
	s_waitcnt vmcnt(5)
	v_cvt_f32_f16_e32 v1, v37
	v_add_f32_e32 v0, v17, v0
	v_add_f32_e32 v0, v0, v1
	v_cvt_f16_f32_e32 v2, v0
	v_lshl_add_u64 v[0:1], v[70:71], 1, s[10:11]
	global_store_short v[0:1], v2, off
	s_or_b64 exec, exec, s[36:37]
	s_and_saveexec_b64 s[36:37], s[6:7]
	s_cbranch_execz .LBB136_46
.LBB136_66:                             ;   in Loop: Header=BB136_12 Depth=1
	v_cvt_f32_i32_e32 v0, v20
	s_waitcnt vmcnt(4)
	v_cvt_f32_f16_e32 v1, v35
	v_add_f32_e32 v0, v18, v0
	v_add_f32_e32 v0, v0, v1
	v_cvt_f16_f32_e32 v2, v0
	v_add_u32_e32 v0, 1, v70
	v_mov_b32_e32 v1, v71
	v_lshl_add_u64 v[0:1], v[0:1], 1, s[10:11]
	global_store_short v[0:1], v2, off
	s_or_b64 exec, exec, s[36:37]
	s_and_saveexec_b64 s[36:37], s[8:9]
	s_cbranch_execz .LBB136_47
.LBB136_67:                             ;   in Loop: Header=BB136_12 Depth=1
	v_cvt_f32_i32_e32 v0, v30
	s_waitcnt vmcnt(3)
	v_cvt_f32_f16_e32 v1, v34
	v_add_f32_e32 v0, v28, v0
	v_add_f32_e32 v0, v0, v1
	v_cvt_f16_f32_e32 v2, v0
	v_add_u32_e32 v0, 2, v70
	v_mov_b32_e32 v1, v71
	v_lshl_add_u64 v[0:1], v[0:1], 1, s[10:11]
	global_store_short v[0:1], v2, off
	s_or_b64 exec, exec, s[36:37]
	v_add_u32_e32 v70, s23, v70
	s_and_saveexec_b64 s[36:37], vcc
	s_cbranch_execz .LBB136_48
.LBB136_68:                             ;   in Loop: Header=BB136_12 Depth=1
	v_cvt_f32_i32_e32 v0, v29
	s_waitcnt vmcnt(2)
	v_cvt_f32_f16_e32 v1, v33
	v_add_f32_e32 v0, v27, v0
	v_add_f32_e32 v0, v0, v1
	v_cvt_f16_f32_e32 v2, v0
	v_lshl_add_u64 v[0:1], v[70:71], 1, s[10:11]
	global_store_short v[0:1], v2, off
	s_or_b64 exec, exec, s[36:37]
	s_and_saveexec_b64 s[36:37], s[6:7]
	s_cbranch_execz .LBB136_49
.LBB136_69:                             ;   in Loop: Header=BB136_12 Depth=1
	v_cvt_f32_i32_e32 v0, v26
	s_waitcnt vmcnt(1)
	v_cvt_f32_f16_e32 v1, v32
	v_add_f32_e32 v0, v24, v0
	v_add_f32_e32 v0, v0, v1
	v_cvt_f16_f32_e32 v2, v0
	v_add_u32_e32 v0, 1, v70
	v_mov_b32_e32 v1, v71
	v_lshl_add_u64 v[0:1], v[0:1], 1, s[10:11]
	global_store_short v[0:1], v2, off
	s_or_b64 exec, exec, s[36:37]
	s_and_b64 exec, exec, s[8:9]
	s_cbranch_execnz .LBB136_50
	s_branch .LBB136_51
.LBB136_70:
	s_endpgm
	.section	.rodata,"a",@progbits
	.p2align	6, 0x0
	.amdhsa_kernel _Z16wvSplitK_hf_big_I6__halfLi32ELi3ELi16ELi8ELi2ELi5EEviiiiiiPKT_S3_S3_PS1_ii
		.amdhsa_group_segment_fixed_size 65536
		.amdhsa_private_segment_fixed_size 0
		.amdhsa_kernarg_size 64
		.amdhsa_user_sgpr_count 2
		.amdhsa_user_sgpr_dispatch_ptr 0
		.amdhsa_user_sgpr_queue_ptr 0
		.amdhsa_user_sgpr_kernarg_segment_ptr 1
		.amdhsa_user_sgpr_dispatch_id 0
		.amdhsa_user_sgpr_kernarg_preload_length 0
		.amdhsa_user_sgpr_kernarg_preload_offset 0
		.amdhsa_user_sgpr_private_segment_size 0
		.amdhsa_uses_dynamic_stack 0
		.amdhsa_enable_private_segment 0
		.amdhsa_system_sgpr_workgroup_id_x 1
		.amdhsa_system_sgpr_workgroup_id_y 0
		.amdhsa_system_sgpr_workgroup_id_z 0
		.amdhsa_system_sgpr_workgroup_info 0
		.amdhsa_system_vgpr_workitem_id 1
		.amdhsa_next_free_vgpr 104
		.amdhsa_next_free_sgpr 56
		.amdhsa_accum_offset 104
		.amdhsa_reserve_vcc 1
		.amdhsa_float_round_mode_32 0
		.amdhsa_float_round_mode_16_64 0
		.amdhsa_float_denorm_mode_32 3
		.amdhsa_float_denorm_mode_16_64 3
		.amdhsa_dx10_clamp 1
		.amdhsa_ieee_mode 1
		.amdhsa_fp16_overflow 0
		.amdhsa_tg_split 0
		.amdhsa_exception_fp_ieee_invalid_op 0
		.amdhsa_exception_fp_denorm_src 0
		.amdhsa_exception_fp_ieee_div_zero 0
		.amdhsa_exception_fp_ieee_overflow 0
		.amdhsa_exception_fp_ieee_underflow 0
		.amdhsa_exception_fp_ieee_inexact 0
		.amdhsa_exception_int_div_zero 0
	.end_amdhsa_kernel
	.section	.text._Z16wvSplitK_hf_big_I6__halfLi32ELi3ELi16ELi8ELi2ELi5EEviiiiiiPKT_S3_S3_PS1_ii,"axG",@progbits,_Z16wvSplitK_hf_big_I6__halfLi32ELi3ELi16ELi8ELi2ELi5EEviiiiiiPKT_S3_S3_PS1_ii,comdat
.Lfunc_end136:
	.size	_Z16wvSplitK_hf_big_I6__halfLi32ELi3ELi16ELi8ELi2ELi5EEviiiiiiPKT_S3_S3_PS1_ii, .Lfunc_end136-_Z16wvSplitK_hf_big_I6__halfLi32ELi3ELi16ELi8ELi2ELi5EEviiiiiiPKT_S3_S3_PS1_ii
                                        ; -- End function
	.section	.AMDGPU.csdata,"",@progbits
; Kernel info:
; codeLenInByte = 6280
; NumSgprs: 62
; NumVgprs: 104
; NumAgprs: 0
; TotalNumVgprs: 104
; ScratchSize: 0
; MemoryBound: 0
; FloatMode: 240
; IeeeMode: 1
; LDSByteSize: 65536 bytes/workgroup (compile time only)
; SGPRBlocks: 7
; VGPRBlocks: 12
; NumSGPRsForWavesPerEU: 62
; NumVGPRsForWavesPerEU: 104
; AccumOffset: 104
; Occupancy: 2
; WaveLimiterHint : 0
; COMPUTE_PGM_RSRC2:SCRATCH_EN: 0
; COMPUTE_PGM_RSRC2:USER_SGPR: 2
; COMPUTE_PGM_RSRC2:TRAP_HANDLER: 0
; COMPUTE_PGM_RSRC2:TGID_X_EN: 1
; COMPUTE_PGM_RSRC2:TGID_Y_EN: 0
; COMPUTE_PGM_RSRC2:TGID_Z_EN: 0
; COMPUTE_PGM_RSRC2:TIDIG_COMP_CNT: 1
; COMPUTE_PGM_RSRC3_GFX90A:ACCUM_OFFSET: 25
; COMPUTE_PGM_RSRC3_GFX90A:TG_SPLIT: 0
	.section	.text._Z16wvSplitK_hf_sml_I6__halfLi32ELi4ELi16ELi8ELi1ELi5EEviiiiiiPKT_S3_S3_PS1_ii,"axG",@progbits,_Z16wvSplitK_hf_sml_I6__halfLi32ELi4ELi16ELi8ELi1ELi5EEviiiiiiPKT_S3_S3_PS1_ii,comdat
	.protected	_Z16wvSplitK_hf_sml_I6__halfLi32ELi4ELi16ELi8ELi1ELi5EEviiiiiiPKT_S3_S3_PS1_ii ; -- Begin function _Z16wvSplitK_hf_sml_I6__halfLi32ELi4ELi16ELi8ELi1ELi5EEviiiiiiPKT_S3_S3_PS1_ii
	.globl	_Z16wvSplitK_hf_sml_I6__halfLi32ELi4ELi16ELi8ELi1ELi5EEviiiiiiPKT_S3_S3_PS1_ii
	.p2align	8
	.type	_Z16wvSplitK_hf_sml_I6__halfLi32ELi4ELi16ELi8ELi1ELi5EEviiiiiiPKT_S3_S3_PS1_ii,@function
_Z16wvSplitK_hf_sml_I6__halfLi32ELi4ELi16ELi8ELi1ELi5EEviiiiiiPKT_S3_S3_PS1_ii: ; @_Z16wvSplitK_hf_sml_I6__halfLi32ELi4ELi16ELi8ELi1ELi5EEviiiiiiPKT_S3_S3_PS1_ii
; %bb.0:
	s_load_dwordx4 s[4:7], s[0:1], 0x0
	v_and_b32_e32 v4, 0x3ff, v0
	v_bfe_u32 v5, v0, 10, 10
	v_lshlrev_b32_e32 v48, 3, v4
	v_lshl_add_u32 v6, v5, 8, v48
	s_waitcnt lgkmcnt(0)
	s_mul_i32 s3, s6, 5
	s_min_u32 s3, s3, 0x8000
	v_cmp_gt_u32_e32 vcc, s3, v6
	s_and_saveexec_b64 s[8:9], vcc
	s_cbranch_execz .LBB137_9
; %bb.1:
	s_load_dwordx2 s[10:11], s[0:1], 0x20
	v_lshlrev_b32_e32 v0, 1, v6
	v_add_u32_e32 v1, 0x1000, v6
	v_cmp_gt_u32_e32 vcc, s3, v1
	s_waitcnt lgkmcnt(0)
	global_load_dwordx4 v[8:11], v0, s[10:11]
	s_waitcnt vmcnt(0)
	ds_write_b128 v0, v[8:11]
	s_and_saveexec_b64 s[12:13], vcc
	s_xor_b64 s[12:13], exec, s[12:13]
	s_cbranch_execz .LBB137_9
; %bb.2:
	v_mov_b32_e32 v1, 0
	v_lshl_add_u64 v[2:3], s[10:11], 0, v[0:1]
	v_add_co_u32_e32 v8, vcc, 0x2000, v2
	v_add_u32_e32 v1, 0x2000, v6
	s_nop 0
	v_addc_co_u32_e32 v9, vcc, 0, v3, vcc
	global_load_dwordx4 v[8:11], v[8:9], off
	v_cmp_gt_u32_e32 vcc, s3, v1
	s_waitcnt vmcnt(0)
	ds_write_b128 v0, v[8:11] offset:8192
	s_and_saveexec_b64 s[10:11], vcc
	s_xor_b64 s[10:11], exec, s[10:11]
	s_cbranch_execz .LBB137_9
; %bb.3:
	v_add_co_u32_e32 v8, vcc, 0x4000, v2
	v_add_u32_e32 v1, 0x3000, v6
	s_nop 0
	v_addc_co_u32_e32 v9, vcc, 0, v3, vcc
	global_load_dwordx4 v[8:11], v[8:9], off
	v_cmp_gt_u32_e32 vcc, s3, v1
	s_waitcnt vmcnt(0)
	ds_write_b128 v0, v[8:11] offset:16384
	s_and_saveexec_b64 s[10:11], vcc
	s_xor_b64 s[10:11], exec, s[10:11]
	s_cbranch_execz .LBB137_9
; %bb.4:
	;; [unrolled: 12-line block ×6, first 2 shown]
	v_add_co_u32_e32 v2, vcc, 0xe000, v2
	s_nop 1
	v_addc_co_u32_e32 v3, vcc, 0, v3, vcc
	global_load_dwordx4 v[6:9], v[2:3], off
	s_waitcnt vmcnt(0)
	ds_write_b128 v0, v[6:9] offset:57344
.LBB137_9:
	s_or_b64 exec, exec, s[8:9]
	s_load_dwordx2 s[16:17], s[0:1], 0x38
	s_waitcnt lgkmcnt(0)
	s_barrier
	v_cmp_gt_u32_e32 vcc, s16, v5
	s_and_saveexec_b64 s[8:9], vcc
	s_cbranch_execz .LBB137_24
; %bb.10:
	s_load_dwordx2 s[12:13], s[0:1], 0x10
	s_mul_i32 s2, s2, s16
	v_add_lshl_u32 v32, s2, v5, 2
	v_cmp_gt_u32_e32 vcc, s7, v32
	s_and_b64 exec, exec, vcc
	s_cbranch_execz .LBB137_24
; %bb.11:
	s_load_dwordx4 s[8:11], s[0:1], 0x28
	s_load_dwordx2 s[14:15], s[0:1], 0x18
	s_cmp_lg_u32 s4, 0
	s_cselect_b64 s[2:3], -1, 0
	s_add_i32 s24, s4, -8
	s_add_i32 s25, s7, -1
	s_waitcnt lgkmcnt(0)
	s_cmp_lg_u64 s[8:9], 0
	s_cselect_b64 s[18:19], -1, 0
	s_abs_i32 s21, s13
	v_cvt_f32_u32_e32 v0, s12
	v_cvt_f32_u32_e32 v1, s21
	s_mul_i32 s20, s16, s17
	s_lshl_b32 s13, s20, 2
	v_rcp_iflag_f32_e32 v0, v0
	v_rcp_iflag_f32_e32 v1, v1
	s_sub_i32 s20, 0, s12
	v_cmp_eq_u32_e64 s[0:1], 31, v4
	v_mul_f32_e32 v0, 0x4f7ffffe, v0
	v_mul_f32_e32 v1, 0x4f7ffffe, v1
	v_cvt_u32_f32_e32 v0, v0
	v_cvt_u32_f32_e32 v1, v1
	s_mov_b64 s[16:17], 0
	v_mov_b32_e32 v35, 0
	v_mul_lo_u32 v2, s20, v0
	s_sub_i32 s20, 0, s21
	v_readfirstlane_b32 s22, v1
	s_mul_i32 s20, s20, s22
	s_mul_hi_u32 s20, s22, s20
	s_add_i32 s22, s22, s20
	s_sub_i32 s20, 1, s21
	s_cmp_lt_u32 s21, 2
	s_cselect_b32 s20, s20, 1
	s_sub_i32 s23, s20, s21
	s_cmp_ge_u32 s20, s21
	s_cselect_b32 s26, s23, s20
	s_lshr_b32 s20, s22, 31
	s_mul_i32 s20, s20, s21
	s_sub_i32 s20, 2, s20
	s_sub_i32 s23, s20, s21
	s_cmp_ge_u32 s20, s21
	s_cselect_b32 s20, s23, s20
	s_sub_i32 s23, s20, s21
	s_cmp_ge_u32 s20, s21
	s_cselect_b32 s27, s23, s20
	s_mul_hi_u32 s20, s22, 3
	s_mul_i32 s20, s20, s21
	s_sub_i32 s20, 3, s20
	s_sub_i32 s23, s20, s21
	s_cmp_ge_u32 s20, s21
	s_cselect_b32 s20, s23, s20
	s_sub_i32 s23, s20, s21
	s_cmp_ge_u32 s20, s21
	s_cselect_b32 s28, s23, s20
	s_lshr_b32 s20, s22, 30
	s_mul_i32 s20, s20, s21
	s_sub_i32 s20, 4, s20
	s_sub_i32 s22, s20, s21
	s_cmp_ge_u32 s20, s21
	s_cselect_b32 s20, s22, s20
	s_sub_i32 s22, s20, s21
	v_mul_hi_u32 v2, v0, v2
	s_cmp_ge_u32 s20, s21
	v_add_u32_e32 v49, v0, v2
	s_cselect_b32 s29, s22, s20
	v_cndmask_b32_e64 v0, 0, 1, s[2:3]
	s_mul_i32 s26, s26, s12
	s_mul_i32 s27, s27, s12
	;; [unrolled: 1-line block ×4, first 2 shown]
	s_lshl_b32 s30, s6, 3
	v_lshlrev_b32_e32 v50, 4, v4
	s_mul_i32 s31, s6, 6
	s_lshl_b32 s33, s6, 2
	s_lshl_b32 s6, s6, 1
	v_cmp_ne_u32_e64 s[2:3], 1, v0
	s_branch .LBB137_14
.LBB137_12:                             ;   in Loop: Header=BB137_14 Depth=1
	v_cvt_f32_i32_e32 v2, v2
	v_cvt_f32_i32_e32 v4, v4
	;; [unrolled: 1-line block ×4, first 2 shown]
	v_add_f32_e32 v0, v0, v2
	v_cvt_f32_i32_e32 v2, v10
	v_add_f32_e32 v1, v1, v4
	v_add_f32_e32 v4, v5, v8
	;; [unrolled: 1-line block ×4, first 2 shown]
	v_cvt_f32_i32_e32 v2, v12
	v_cvt_f32_i32_e32 v7, v16
	v_cvt_f32_i32_e32 v6, v14
	v_cvt_f32_i32_e32 v10, v22
	v_add_f32_e32 v9, v9, v2
	v_cvt_f32_i32_e32 v2, v20
	v_add_f32_e32 v7, v13, v7
	s_waitcnt vmcnt(19)
	v_cvt_f32_f16_e32 v20, v66
	v_add_f32_e32 v6, v11, v6
	v_add_f32_e32 v13, v17, v2
	v_cvt_f32_i32_e32 v2, v28
	v_cvt_f32_i32_e32 v11, v23
	v_add_f32_e32 v0, v0, v20
	s_waitcnt vmcnt(17)
	v_cvt_f32_f16_e32 v20, v64
	v_add_f32_e32 v17, v25, v2
	v_cvt_f32_i32_e32 v2, v42
	v_add_f32_e32 v11, v21, v11
	v_cvt_f16_f32_e32 v22, v0
	s_waitcnt vmcnt(16)
	v_cvt_f32_f16_e32 v0, v63
	v_add_f32_e32 v21, v37, v2
	v_cvt_f32_f16_e32 v2, v65
	v_add_u32_e32 v34, s7, v32
	v_add_f32_e32 v0, v4, v0
	v_cvt_f32_i32_e32 v8, v18
	v_add_f32_e32 v1, v1, v2
	v_add_f32_e32 v2, v3, v20
	v_cvt_f16_f32_e32 v2, v2
	v_cvt_f16_f32_e32 v3, v0
	;; [unrolled: 1-line block ×3, first 2 shown]
	s_waitcnt vmcnt(15)
	v_cvt_f32_f16_e32 v20, v60
	v_lshl_add_u64 v[0:1], v[32:33], 1, s[10:11]
	v_pack_b32_f16 v3, v2, v3
	v_pack_b32_f16 v2, v22, v4
	global_store_dwordx2 v[0:1], v[2:3], off
	v_add_f32_e32 v0, v5, v20
	v_cvt_f16_f32_e32 v2, v0
	s_waitcnt vmcnt(15)
	v_cvt_f32_f16_e32 v3, v58
	v_lshl_add_u64 v[0:1], v[34:35], 1, s[10:11]
	s_waitcnt vmcnt(11)
	v_cvt_f32_f16_e32 v4, v61
	global_store_short v[0:1], v2, off
	v_add_f32_e32 v0, v9, v3
	v_cvt_f16_f32_e32 v2, v0
	v_cvt_f32_f16_e32 v3, v56
	v_add_u32_e32 v0, 1, v34
	v_mov_b32_e32 v1, v35
	v_lshl_add_u64 v[0:1], v[0:1], 1, s[10:11]
	global_store_short v[0:1], v2, off
	v_add_f32_e32 v0, v6, v3
	v_cvt_f16_f32_e32 v2, v0
	v_cvt_f32_f16_e32 v3, v54
	v_add_u32_e32 v0, 2, v34
	v_mov_b32_e32 v1, v35
	v_lshl_add_u64 v[0:1], v[0:1], 1, s[10:11]
	global_store_short v[0:1], v2, off
	v_add_f32_e32 v0, v7, v3
	v_cvt_f16_f32_e32 v2, v0
	v_cvt_f32_f16_e32 v3, v62
	v_add_u32_e32 v0, 3, v34
	v_mov_b32_e32 v1, v35
	v_add_f32_e32 v8, v15, v8
	v_lshl_add_u64 v[0:1], v[0:1], 1, s[10:11]
	global_store_short v[0:1], v2, off
	v_add_f32_e32 v0, v8, v3
	v_cvt_f16_f32_e32 v2, v0
	v_add_f32_e32 v0, v13, v4
	v_cvt_f16_f32_e32 v3, v0
	s_waitcnt vmcnt(14)
	v_cvt_f32_f16_e32 v4, v59
	v_add_u32_e32 v34, s7, v34
	v_add_f32_e32 v10, v19, v10
	v_lshl_add_u64 v[0:1], v[34:35], 1, s[10:11]
	v_pack_b32_f16 v2, v2, v3
	global_store_dword v[0:1], v2, off
	v_add_f32_e32 v0, v10, v4
	v_cvt_f16_f32_e32 v2, v0
	s_waitcnt vmcnt(14)
	v_cvt_f32_f16_e32 v3, v57
	v_add_u32_e32 v0, 2, v34
	v_mov_b32_e32 v1, v35
	v_lshl_add_u64 v[0:1], v[0:1], 1, s[10:11]
	v_cvt_f32_i32_e32 v12, v26
	global_store_short v[0:1], v2, off
	v_add_f32_e32 v0, v11, v3
	v_cvt_f16_f32_e32 v2, v0
	s_waitcnt vmcnt(14)
	v_cvt_f32_f16_e32 v3, v55
	v_add_u32_e32 v0, 3, v34
	v_mov_b32_e32 v1, v35
	v_add_f32_e32 v12, v24, v12
	v_lshl_add_u64 v[0:1], v[0:1], 1, s[10:11]
	global_store_short v[0:1], v2, off
	v_add_f32_e32 v0, v12, v3
	v_cvt_f16_f32_e32 v2, v0
	s_waitcnt vmcnt(14)
	v_cvt_f32_f16_e32 v3, v53
	v_add_u32_e32 v34, s7, v34
	v_lshl_add_u64 v[0:1], v[34:35], 1, s[10:11]
	v_cvt_f32_i32_e32 v14, v30
	global_store_short v[0:1], v2, off
	v_add_f32_e32 v0, v17, v3
	v_cvt_f16_f32_e32 v2, v0
	s_waitcnt vmcnt(14)
	v_cvt_f32_f16_e32 v3, v51
	v_add_u32_e32 v0, 1, v34
	v_mov_b32_e32 v1, v35
	v_add_f32_e32 v14, v27, v14
	v_lshl_add_u64 v[0:1], v[0:1], 1, s[10:11]
	v_cvt_f32_i32_e32 v15, v31
	global_store_short v[0:1], v2, off
	v_add_f32_e32 v0, v14, v3
	v_cvt_f16_f32_e32 v2, v0
	s_waitcnt vmcnt(14)
	v_cvt_f32_f16_e32 v3, v44
	v_add_u32_e32 v0, 2, v34
	v_mov_b32_e32 v1, v35
	v_add_f32_e32 v15, v29, v15
	;; [unrolled: 10-line block ×3, first 2 shown]
	v_lshl_add_u64 v[0:1], v[0:1], 1, s[10:11]
	v_cvt_f32_i32_e32 v18, v41
	v_cvt_f32_i32_e32 v19, v40
	global_store_short v[0:1], v2, off
	v_add_f32_e32 v0, v16, v3
	s_waitcnt vmcnt(14)
	v_cvt_f32_f16_e32 v1, v47
	s_waitcnt vmcnt(13)
	v_cvt_f32_f16_e32 v2, v46
	v_cvt_f16_f32_e32 v4, v0
	s_waitcnt vmcnt(12)
	v_cvt_f32_f16_e32 v0, v45
	v_add_f32_e32 v18, v38, v18
	v_add_f32_e32 v19, v39, v19
	v_add_f32_e32 v1, v21, v1
	v_add_f32_e32 v2, v18, v2
	v_add_f32_e32 v0, v19, v0
	v_cvt_f16_f32_e32 v2, v2
	v_cvt_f16_f32_e32 v3, v0
	;; [unrolled: 1-line block ×3, first 2 shown]
	v_add_u32_e32 v34, s7, v34
	v_lshl_add_u64 v[0:1], v[34:35], 1, s[10:11]
	v_pack_b32_f16 v3, v2, v3
	v_pack_b32_f16 v2, v4, v5
	global_store_dwordx2 v[0:1], v[2:3], off
.LBB137_13:                             ;   in Loop: Header=BB137_14 Depth=1
	s_or_b64 exec, exec, s[20:21]
	v_add_u32_e32 v32, s13, v32
	v_cmp_le_u32_e32 vcc, s7, v32
	s_or_b64 s[16:17], vcc, s[16:17]
	s_andn2_b64 exec, exec, s[16:17]
	s_cbranch_execz .LBB137_24
.LBB137_14:                             ; =>This Loop Header: Depth=1
                                        ;     Child Loop BB137_17 Depth 2
	s_mov_b32 s22, 0
	s_and_b64 vcc, exec, s[2:3]
	v_mov_b32_e32 v69, v35
	v_mov_b32_e32 v68, v35
	;; [unrolled: 1-line block ×20, first 2 shown]
	s_cbranch_vccnz .LBB137_19
; %bb.15:                               ;   in Loop: Header=BB137_14 Depth=1
	v_min_u32_e32 v0, s25, v32
	v_mul_lo_u32 v36, v0, s5
	v_or_b32_e32 v0, 1, v32
	v_min_u32_e32 v0, s25, v0
	v_mul_lo_u32 v38, v0, s5
	v_or_b32_e32 v0, 2, v32
	;; [unrolled: 3-line block ×3, first 2 shown]
	v_min_u32_e32 v0, s25, v0
	v_mov_b32_e32 v37, v35
	v_mov_b32_e32 v39, v35
	;; [unrolled: 1-line block ×3, first 2 shown]
	v_mul_lo_u32 v42, v0, s5
	v_mov_b32_e32 v43, v35
	v_mov_b32_e32 v65, 0
	;; [unrolled: 1-line block ×22, first 2 shown]
	s_branch .LBB137_17
.LBB137_16:                             ;   in Loop: Header=BB137_17 Depth=2
	s_or_b64 exec, exec, s[20:21]
	s_waitcnt vmcnt(3) lgkmcnt(1)
	;;#ASMSTART
	v_dot2c_f32_f16 v69, v28, v12
	;;#ASMEND
	s_waitcnt vmcnt(2)
	;;#ASMSTART
	v_dot2c_f32_f16 v68, v28, v8
	;;#ASMEND
	s_waitcnt vmcnt(1)
	;; [unrolled: 4-line block ×3, first 2 shown]
	;;#ASMSTART
	v_dot2c_f32_f16 v66, v28, v0
	;;#ASMEND
	;;#ASMSTART
	v_dot2c_f32_f16 v65, v24, v12
	;;#ASMEND
	;; [unrolled: 3-line block ×13, first 2 shown]
	s_waitcnt lgkmcnt(0)
	;;#ASMSTART
	v_dot2c_f32_f16 v53, v16, v12
	;;#ASMEND
	;;#ASMSTART
	v_dot2c_f32_f16 v52, v16, v8
	;;#ASMEND
	;; [unrolled: 3-line block ×20, first 2 shown]
	s_nop 0
	;;#ASMSTART
	v_dot2c_f32_f16 v53, v17, v13
	;;#ASMEND
	;;#ASMSTART
	v_dot2c_f32_f16 v52, v17, v9
	;;#ASMEND
	;; [unrolled: 3-line block ×4, first 2 shown]
	s_addk_i32 s22, 0x100
	;;#ASMSTART
	v_dot2c_f32_f16 v69, v30, v14
	;;#ASMEND
	;;#ASMSTART
	v_dot2c_f32_f16 v68, v30, v10
	;;#ASMEND
	;; [unrolled: 3-line block ×20, first 2 shown]
	s_cmp_ge_u32 s22, s4
	v_add_u32_e32 v70, 0x200, v70
	;;#ASMSTART
	v_dot2c_f32_f16 v69, v31, v15
	;;#ASMEND
	;;#ASMSTART
	v_dot2c_f32_f16 v68, v31, v11
	;;#ASMEND
	;; [unrolled: 3-line block ×20, first 2 shown]
	s_cbranch_scc1 .LBB137_19
.LBB137_17:                             ;   Parent Loop BB137_14 Depth=1
                                        ; =>  This Inner Loop Header: Depth=2
	v_add_u32_e32 v20, s22, v48
	v_min_u32_e32 v34, s24, v20
	v_lshl_add_u64 v[0:1], v[34:35], 1, s[14:15]
	v_lshl_add_u64 v[2:3], v[36:37], 1, v[0:1]
	;; [unrolled: 1-line block ×4, first 2 shown]
	global_load_dwordx4 v[12:15], v[2:3], off nt
	global_load_dwordx4 v[8:11], v[4:5], off nt
	v_lshl_add_u64 v[18:19], v[42:43], 1, v[0:1]
	global_load_dwordx4 v[4:7], v[16:17], off nt
	global_load_dwordx4 v[0:3], v[18:19], off nt
	v_cmp_gt_u32_e32 vcc, s4, v20
	v_mov_b32_e32 v28, 0
	v_mov_b32_e32 v29, 0
	;; [unrolled: 1-line block ×20, first 2 shown]
	s_and_saveexec_b64 s[20:21], vcc
	s_cbranch_execz .LBB137_16
; %bb.18:                               ;   in Loop: Header=BB137_17 Depth=2
	v_add_u32_e32 v16, s6, v70
	v_add_u32_e32 v17, s33, v70
	ds_read_b128 v[24:27], v16
	ds_read2_b32 v[44:45], v17 offset1:1
	v_add_u32_e32 v16, s31, v70
	ds_read2_b32 v[46:47], v17 offset0:2 offset1:3
	ds_read_b128 v[20:23], v16
	v_add_u32_e32 v16, s30, v70
	ds_read_b128 v[28:31], v70
	ds_read2_b64 v[16:19], v16 offset1:1
	s_branch .LBB137_16
.LBB137_19:                             ;   in Loop: Header=BB137_14 Depth=1
	; sched_barrier mask(0x00000000)
	v_cvt_i32_f32_e32 v0, v69
	v_cvt_i32_f32_e32 v1, v68
	;; [unrolled: 1-line block ×4, first 2 shown]
	v_cvt_f32_i32_dpp v0, v0 row_shr:8 row_mask:0xf bank_mask:0xf bound_ctrl:1
	v_cvt_f32_i32_dpp v1, v1 row_shr:8 row_mask:0xf bank_mask:0xf bound_ctrl:1
	;; [unrolled: 1-line block ×4, first 2 shown]
	v_add_f32_e32 v0, v69, v0
	v_cvt_i32_f32_e32 v4, v0
	v_add_f32_e32 v1, v68, v1
	v_cvt_i32_f32_e32 v5, v1
	v_add_f32_e32 v2, v67, v2
	v_cvt_f32_i32_dpp v4, v4 row_shr:4 row_mask:0xf bank_mask:0xf bound_ctrl:1
	v_cvt_i32_f32_e32 v6, v2
	v_cvt_f32_i32_dpp v5, v5 row_shr:4 row_mask:0xf bank_mask:0xf bound_ctrl:1
	v_add_f32_e32 v3, v66, v3
	v_add_f32_e32 v0, v0, v4
	v_cvt_i32_f32_e32 v4, v0
	v_add_f32_e32 v1, v1, v5
	v_cvt_i32_f32_e32 v5, v1
	v_cvt_f32_i32_dpp v6, v6 row_shr:4 row_mask:0xf bank_mask:0xf bound_ctrl:1
	v_cvt_f32_i32_dpp v4, v4 row_shr:2 row_mask:0xf bank_mask:0xf bound_ctrl:1
	v_cvt_i32_f32_e32 v7, v3
	v_cvt_f32_i32_dpp v5, v5 row_shr:2 row_mask:0xf bank_mask:0xf bound_ctrl:1
	v_add_f32_e32 v2, v2, v6
	v_add_f32_e32 v0, v0, v4
	v_cvt_i32_f32_e32 v4, v0
	v_add_f32_e32 v1, v1, v5
	v_cvt_i32_f32_e32 v5, v1
	v_cvt_i32_f32_e32 v6, v2
	v_cvt_f32_i32_dpp v4, v4 row_shr:1 row_mask:0xf bank_mask:0xf bound_ctrl:1
	v_cvt_f32_i32_dpp v7, v7 row_shr:4 row_mask:0xf bank_mask:0xf bound_ctrl:1
	v_cvt_f32_i32_dpp v5, v5 row_shr:1 row_mask:0xf bank_mask:0xf bound_ctrl:1
	v_cvt_f32_i32_dpp v6, v6 row_shr:2 row_mask:0xf bank_mask:0xf bound_ctrl:1
	v_add_f32_e32 v0, v0, v4
	v_cvt_i32_f32_e32 v4, v0
	v_add_f32_e32 v1, v1, v5
	v_cvt_i32_f32_e32 v5, v1
	v_add_f32_e32 v6, v2, v6
	v_cvt_f32_i32_dpp v4, v4 row_bcast:15 row_mask:0xf bank_mask:0xf bound_ctrl:1
	v_cvt_i32_f32_e32 v2, v6
	v_cvt_f32_i32_dpp v5, v5 row_bcast:15 row_mask:0xf bank_mask:0xf bound_ctrl:1
	v_add_f32_e32 v3, v3, v7
	v_add_f32_e32 v0, v0, v4
	v_cvt_i32_f32_e32 v4, v0
	v_cvt_f32_i32_dpp v7, v2 row_shr:1 row_mask:0xf bank_mask:0xf bound_ctrl:1
	v_add_f32_e32 v1, v1, v5
	v_cvt_i32_f32_e32 v5, v1
	v_mov_b32_dpp v2, v4 row_bcast:31 row_mask:0xf bank_mask:0xf bound_ctrl:1
	v_cvt_i32_f32_e32 v4, v3
	v_add_f32_e32 v6, v6, v7
	v_cvt_i32_f32_e32 v7, v65
	v_cvt_i32_f32_e32 v8, v6
	v_cvt_f32_i32_dpp v9, v4 row_shr:2 row_mask:0xf bank_mask:0xf bound_ctrl:1
	v_mov_b32_dpp v4, v5 row_bcast:31 row_mask:0xf bank_mask:0xf bound_ctrl:1
	v_cvt_f32_i32_dpp v5, v7 row_shr:8 row_mask:0xf bank_mask:0xf bound_ctrl:1
	v_cvt_f32_i32_dpp v7, v8 row_bcast:15 row_mask:0xf bank_mask:0xf bound_ctrl:1
	v_add_f32_e32 v8, v3, v9
	v_cvt_i32_f32_e32 v9, v8
	v_add_f32_e32 v5, v65, v5
	v_cvt_i32_f32_e32 v10, v5
	v_add_f32_e32 v3, v6, v7
	v_cvt_f32_i32_dpp v6, v9 row_shr:1 row_mask:0xf bank_mask:0xf bound_ctrl:1
	v_cvt_i32_f32_e32 v7, v64
	v_cvt_f32_i32_dpp v9, v10 row_shr:4 row_mask:0xf bank_mask:0xf bound_ctrl:1
	v_cvt_i32_f32_e32 v10, v3
	v_add_f32_e32 v8, v8, v6
	v_cvt_f32_i32_dpp v6, v7 row_shr:8 row_mask:0xf bank_mask:0xf bound_ctrl:1
	v_add_f32_e32 v5, v5, v9
	v_cvt_i32_f32_e32 v7, v5
	v_cvt_i32_f32_e32 v9, v8
	v_add_f32_e32 v11, v64, v6
	v_cvt_i32_f32_e32 v12, v11
	v_cvt_f32_i32_dpp v7, v7 row_shr:2 row_mask:0xf bank_mask:0xf bound_ctrl:1
	v_mov_b32_dpp v6, v10 row_bcast:31 row_mask:0xf bank_mask:0xf bound_ctrl:1
	v_cvt_f32_i32_dpp v9, v9 row_bcast:15 row_mask:0xf bank_mask:0xf bound_ctrl:1
	v_cvt_f32_i32_dpp v10, v12 row_shr:4 row_mask:0xf bank_mask:0xf bound_ctrl:1
	v_add_f32_e32 v7, v5, v7
	v_cvt_i32_f32_e32 v12, v7
	v_add_f32_e32 v5, v8, v9
	v_add_f32_e32 v8, v11, v10
	v_cvt_i32_f32_e32 v9, v8
	v_cvt_f32_i32_dpp v10, v12 row_shr:1 row_mask:0xf bank_mask:0xf bound_ctrl:1
	v_cvt_i32_f32_e32 v11, v63
	v_cvt_i32_f32_e32 v12, v5
	v_cvt_f32_i32_dpp v9, v9 row_shr:2 row_mask:0xf bank_mask:0xf bound_ctrl:1
	v_add_f32_e32 v7, v7, v10
	v_cvt_f32_i32_dpp v10, v11 row_shr:8 row_mask:0xf bank_mask:0xf bound_ctrl:1
	v_cvt_i32_f32_e32 v11, v7
	v_add_f32_e32 v9, v8, v9
	v_cvt_i32_f32_e32 v8, v9
	v_add_f32_e32 v10, v63, v10
	v_cvt_i32_f32_e32 v13, v10
	v_cvt_f32_i32_dpp v11, v11 row_bcast:15 row_mask:0xf bank_mask:0xf bound_ctrl:1
	v_cvt_f32_i32_dpp v14, v8 row_shr:1 row_mask:0xf bank_mask:0xf bound_ctrl:1
	v_mov_b32_dpp v8, v12 row_bcast:31 row_mask:0xf bank_mask:0xf bound_ctrl:1
	v_cvt_f32_i32_dpp v12, v13 row_shr:4 row_mask:0xf bank_mask:0xf bound_ctrl:1
	v_add_f32_e32 v7, v7, v11
	v_cvt_i32_f32_e32 v11, v62
	v_add_f32_e32 v9, v9, v14
	v_add_f32_e32 v10, v10, v12
	v_cvt_i32_f32_e32 v12, v10
	v_cvt_f32_i32_dpp v11, v11 row_shr:8 row_mask:0xf bank_mask:0xf bound_ctrl:1
	v_cvt_i32_f32_e32 v14, v7
	v_cvt_i32_f32_e32 v13, v9
	v_cvt_f32_i32_dpp v12, v12 row_shr:2 row_mask:0xf bank_mask:0xf bound_ctrl:1
	v_add_f32_e32 v11, v62, v11
	v_cvt_i32_f32_e32 v15, v11
	v_cvt_f32_i32_dpp v13, v13 row_bcast:15 row_mask:0xf bank_mask:0xf bound_ctrl:1
	v_add_f32_e32 v12, v10, v12
	v_mov_b32_dpp v10, v14 row_bcast:31 row_mask:0xf bank_mask:0xf bound_ctrl:1
	v_cvt_f32_i32_dpp v14, v15 row_shr:4 row_mask:0xf bank_mask:0xf bound_ctrl:1
	v_cvt_i32_f32_e32 v16, v12
	v_add_f32_e32 v9, v9, v13
	v_cvt_i32_f32_e32 v15, v9
	v_add_f32_e32 v11, v11, v14
	v_cvt_f32_i32_dpp v13, v16 row_shr:1 row_mask:0xf bank_mask:0xf bound_ctrl:1
	v_cvt_i32_f32_e32 v14, v11
	v_cvt_i32_f32_e32 v16, v61
	;; [unrolled: 1-line block ×3, first 2 shown]
	v_add_f32_e32 v13, v12, v13
	v_cvt_f32_i32_dpp v14, v14 row_shr:2 row_mask:0xf bank_mask:0xf bound_ctrl:1
	v_cvt_i32_f32_e32 v17, v13
	v_mov_b32_dpp v12, v15 row_bcast:31 row_mask:0xf bank_mask:0xf bound_ctrl:1
	v_cvt_f32_i32_dpp v15, v16 row_shr:8 row_mask:0xf bank_mask:0xf bound_ctrl:1
	v_add_f32_e32 v14, v11, v14
	v_cvt_f32_i32_dpp v16, v17 row_bcast:15 row_mask:0xf bank_mask:0xf bound_ctrl:1
	v_cvt_i32_f32_e32 v17, v14
	v_add_f32_e32 v15, v61, v15
	v_cvt_i32_f32_e32 v18, v15
	v_add_f32_e32 v11, v13, v16
	v_cvt_f32_i32_dpp v13, v17 row_shr:1 row_mask:0xf bank_mask:0xf bound_ctrl:1
	v_cvt_i32_f32_e32 v16, v60
	v_cvt_f32_i32_dpp v17, v18 row_shr:4 row_mask:0xf bank_mask:0xf bound_ctrl:1
	v_cvt_i32_f32_e32 v18, v11
	v_add_f32_e32 v13, v14, v13
	v_cvt_f32_i32_dpp v14, v16 row_shr:8 row_mask:0xf bank_mask:0xf bound_ctrl:1
	v_add_f32_e32 v15, v15, v17
	v_cvt_i32_f32_e32 v16, v15
	v_cvt_i32_f32_e32 v17, v13
	v_add_f32_e32 v19, v60, v14
	v_cvt_i32_f32_e32 v20, v19
	v_cvt_f32_i32_dpp v16, v16 row_shr:2 row_mask:0xf bank_mask:0xf bound_ctrl:1
	v_mov_b32_dpp v14, v18 row_bcast:31 row_mask:0xf bank_mask:0xf bound_ctrl:1
	v_cvt_f32_i32_dpp v17, v17 row_bcast:15 row_mask:0xf bank_mask:0xf bound_ctrl:1
	v_cvt_f32_i32_dpp v18, v20 row_shr:4 row_mask:0xf bank_mask:0xf bound_ctrl:1
	v_add_f32_e32 v15, v15, v16
	v_cvt_i32_f32_e32 v16, v15
	v_add_f32_e32 v13, v13, v17
	v_add_f32_e32 v17, v19, v18
	v_cvt_i32_f32_e32 v18, v17
	v_cvt_f32_i32_dpp v16, v16 row_shr:1 row_mask:0xf bank_mask:0xf bound_ctrl:1
	v_cvt_i32_f32_e32 v19, v59
	v_cvt_i32_f32_e32 v20, v13
	v_cvt_f32_i32_dpp v18, v18 row_shr:2 row_mask:0xf bank_mask:0xf bound_ctrl:1
	v_add_f32_e32 v15, v15, v16
	v_cvt_f32_i32_dpp v16, v19 row_shr:8 row_mask:0xf bank_mask:0xf bound_ctrl:1
	v_cvt_i32_f32_e32 v19, v15
	v_add_f32_e32 v17, v17, v18
	v_cvt_i32_f32_e32 v18, v17
	v_add_f32_e32 v21, v59, v16
	v_cvt_i32_f32_e32 v22, v21
	v_cvt_f32_i32_dpp v19, v19 row_bcast:15 row_mask:0xf bank_mask:0xf bound_ctrl:1
	v_cvt_f32_i32_dpp v18, v18 row_shr:1 row_mask:0xf bank_mask:0xf bound_ctrl:1
	v_mov_b32_dpp v16, v20 row_bcast:31 row_mask:0xf bank_mask:0xf bound_ctrl:1
	v_cvt_f32_i32_dpp v20, v22 row_shr:4 row_mask:0xf bank_mask:0xf bound_ctrl:1
	v_add_f32_e32 v15, v15, v19
	v_add_f32_e32 v17, v17, v18
	v_cvt_i32_f32_e32 v18, v58
	v_add_f32_e32 v19, v21, v20
	v_cvt_i32_f32_e32 v20, v19
	v_cvt_i32_f32_e32 v21, v17
	v_cvt_f32_i32_dpp v18, v18 row_shr:8 row_mask:0xf bank_mask:0xf bound_ctrl:1
	v_cvt_i32_f32_e32 v22, v15
	v_cvt_f32_i32_dpp v20, v20 row_shr:2 row_mask:0xf bank_mask:0xf bound_ctrl:1
	v_cvt_f32_i32_dpp v21, v21 row_bcast:15 row_mask:0xf bank_mask:0xf bound_ctrl:1
	v_add_f32_e32 v23, v58, v18
	v_cvt_i32_f32_e32 v24, v23
	v_add_f32_e32 v19, v19, v20
	v_mov_b32_dpp v18, v22 row_bcast:31 row_mask:0xf bank_mask:0xf bound_ctrl:1
	v_cvt_i32_f32_e32 v20, v19
	v_cvt_f32_i32_dpp v22, v24 row_shr:4 row_mask:0xf bank_mask:0xf bound_ctrl:1
	v_add_f32_e32 v17, v17, v21
	v_cvt_i32_f32_e32 v21, v57
	v_cvt_f32_i32_dpp v20, v20 row_shr:1 row_mask:0xf bank_mask:0xf bound_ctrl:1
	v_add_f32_e32 v22, v23, v22
	;; [unrolled: 3-line block ×4, first 2 shown]
	v_cvt_i32_f32_e32 v25, v21
	v_cvt_i32_f32_e32 v23, v19
	v_add_f32_e32 v22, v22, v20
	v_cvt_i32_f32_e32 v26, v22
	v_cvt_f32_i32_dpp v25, v25 row_shr:4 row_mask:0xf bank_mask:0xf bound_ctrl:1
	v_cvt_f32_i32_dpp v23, v23 row_bcast:15 row_mask:0xf bank_mask:0xf bound_ctrl:1
	v_mov_b32_dpp v20, v24 row_bcast:31 row_mask:0xf bank_mask:0xf bound_ctrl:1
	v_cvt_f32_i32_dpp v24, v26 row_shr:1 row_mask:0xf bank_mask:0xf bound_ctrl:1
	v_add_f32_e32 v21, v21, v25
	v_add_f32_e32 v19, v19, v23
	v_cvt_i32_f32_e32 v23, v21
	v_add_f32_e32 v24, v22, v24
	v_cvt_i32_f32_e32 v22, v56
	v_cvt_i32_f32_e32 v25, v24
	v_cvt_f32_i32_dpp v23, v23 row_shr:2 row_mask:0xf bank_mask:0xf bound_ctrl:1
	v_cvt_i32_f32_e32 v26, v19
	v_cvt_f32_i32_dpp v22, v22 row_shr:8 row_mask:0xf bank_mask:0xf bound_ctrl:1
	v_cvt_f32_i32_dpp v25, v25 row_bcast:15 row_mask:0xf bank_mask:0xf bound_ctrl:1
	v_add_f32_e32 v23, v21, v23
	v_cvt_i32_f32_e32 v21, v23
	v_add_f32_e32 v27, v56, v22
	v_cvt_i32_f32_e32 v28, v27
	v_mov_b32_dpp v22, v26 row_bcast:31 row_mask:0xf bank_mask:0xf bound_ctrl:1
	v_cvt_f32_i32_dpp v26, v21 row_shr:1 row_mask:0xf bank_mask:0xf bound_ctrl:1
	v_add_f32_e32 v21, v24, v25
	v_cvt_f32_i32_dpp v24, v28 row_shr:4 row_mask:0xf bank_mask:0xf bound_ctrl:1
	v_cvt_i32_f32_e32 v25, v21
	v_add_f32_e32 v26, v23, v26
	v_cvt_i32_f32_e32 v23, v55
	v_add_f32_e32 v24, v27, v24
	v_cvt_i32_f32_e32 v27, v24
	v_cvt_i32_f32_e32 v28, v26
	v_cvt_f32_i32_dpp v29, v23 row_shr:8 row_mask:0xf bank_mask:0xf bound_ctrl:1
	v_mov_b32_dpp v23, v25 row_bcast:31 row_mask:0xf bank_mask:0xf bound_ctrl:1
	v_cvt_f32_i32_dpp v25, v27 row_shr:2 row_mask:0xf bank_mask:0xf bound_ctrl:1
	v_cvt_f32_i32_dpp v27, v28 row_bcast:15 row_mask:0xf bank_mask:0xf bound_ctrl:1
	v_add_f32_e32 v28, v55, v29
	v_cvt_i32_f32_e32 v29, v28
	v_add_f32_e32 v25, v24, v25
	v_add_f32_e32 v24, v26, v27
	v_cvt_f32_i32_dpp v26, v30 row_shr:8 row_mask:0xf bank_mask:0xf bound_ctrl:1
	v_cvt_f32_i32_dpp v29, v29 row_shr:4 row_mask:0xf bank_mask:0xf bound_ctrl:1
	v_cvt_i32_f32_e32 v31, v25
	v_add_f32_e32 v26, v54, v26
	v_add_f32_e32 v28, v28, v29
	v_cvt_i32_f32_e32 v29, v28
	v_cvt_f32_i32_dpp v27, v31 row_shr:1 row_mask:0xf bank_mask:0xf bound_ctrl:1
	v_cvt_i32_f32_e32 v30, v26
	v_cvt_i32_f32_e32 v31, v24
	v_cvt_f32_i32_dpp v29, v29 row_shr:2 row_mask:0xf bank_mask:0xf bound_ctrl:1
	v_add_f32_e32 v25, v25, v27
	v_cvt_f32_i32_dpp v27, v30 row_shr:4 row_mask:0xf bank_mask:0xf bound_ctrl:1
	v_cvt_i32_f32_e32 v30, v25
	v_add_f32_e32 v28, v28, v29
	v_cvt_i32_f32_e32 v29, v28
	v_add_f32_e32 v27, v26, v27
	v_cvt_i32_f32_e32 v34, v27
	v_mov_b32_dpp v26, v31 row_bcast:31 row_mask:0xf bank_mask:0xf bound_ctrl:1
	v_cvt_f32_i32_dpp v29, v29 row_shr:1 row_mask:0xf bank_mask:0xf bound_ctrl:1
	v_cvt_f32_i32_dpp v30, v30 row_bcast:15 row_mask:0xf bank_mask:0xf bound_ctrl:1
	v_cvt_f32_i32_dpp v31, v34 row_shr:2 row_mask:0xf bank_mask:0xf bound_ctrl:1
	v_add_f32_e32 v29, v28, v29
	v_cvt_i32_f32_e32 v28, v53
	v_add_f32_e32 v27, v27, v31
	v_add_f32_e32 v25, v25, v30
	v_cvt_i32_f32_e32 v30, v27
	v_cvt_f32_i32_dpp v28, v28 row_shr:8 row_mask:0xf bank_mask:0xf bound_ctrl:1
	v_cvt_i32_f32_e32 v31, v29
	v_cvt_i32_f32_e32 v34, v25
	v_cvt_f32_i32_dpp v30, v30 row_shr:1 row_mask:0xf bank_mask:0xf bound_ctrl:1
	v_add_f32_e32 v36, v53, v28
	v_cvt_i32_f32_e32 v37, v36
	v_cvt_f32_i32_dpp v31, v31 row_bcast:15 row_mask:0xf bank_mask:0xf bound_ctrl:1
	v_add_f32_e32 v30, v27, v30
	v_mov_b32_dpp v28, v34 row_bcast:31 row_mask:0xf bank_mask:0xf bound_ctrl:1
	v_cvt_f32_i32_dpp v34, v37 row_shr:4 row_mask:0xf bank_mask:0xf bound_ctrl:1
	v_cvt_i32_f32_e32 v38, v30
	v_add_f32_e32 v27, v29, v31
	v_cvt_i32_f32_e32 v31, v52
	v_add_f32_e32 v34, v36, v34
	v_cvt_f32_i32_dpp v29, v38 row_bcast:15 row_mask:0xf bank_mask:0xf bound_ctrl:1
	v_cvt_i32_f32_e32 v36, v34
	v_cvt_f32_i32_dpp v31, v31 row_shr:8 row_mask:0xf bank_mask:0xf bound_ctrl:1
	v_cvt_i32_f32_e32 v37, v27
	v_add_f32_e32 v29, v30, v29
	v_cvt_f32_i32_dpp v30, v36 row_shr:2 row_mask:0xf bank_mask:0xf bound_ctrl:1
	v_add_f32_e32 v38, v52, v31
	v_cvt_i32_f32_e32 v31, v38
	v_cvt_i32_f32_e32 v36, v29
	v_add_f32_e32 v34, v34, v30
	v_cvt_i32_f32_e32 v39, v34
	v_mov_b32_dpp v30, v37 row_bcast:31 row_mask:0xf bank_mask:0xf bound_ctrl:1
	v_cvt_f32_i32_dpp v37, v31 row_shr:4 row_mask:0xf bank_mask:0xf bound_ctrl:1
	v_mov_b32_dpp v31, v36 row_bcast:31 row_mask:0xf bank_mask:0xf bound_ctrl:1
	v_cvt_f32_i32_dpp v36, v39 row_shr:1 row_mask:0xf bank_mask:0xf bound_ctrl:1
	v_cvt_i32_f32_e32 v39, v51
	v_add_f32_e32 v37, v38, v37
	v_cvt_i32_f32_e32 v38, v33
	v_add_f32_e32 v34, v34, v36
	v_cvt_f32_i32_dpp v39, v39 row_shr:8 row_mask:0xf bank_mask:0xf bound_ctrl:1
	v_cvt_i32_f32_e32 v40, v37
	v_cvt_f32_i32_dpp v36, v38 row_shr:8 row_mask:0xf bank_mask:0xf bound_ctrl:1
	v_cvt_i32_f32_e32 v41, v34
	v_add_f32_e32 v39, v51, v39
	v_cvt_f32_i32_dpp v38, v40 row_shr:2 row_mask:0xf bank_mask:0xf bound_ctrl:1
	v_add_f32_e32 v33, v33, v36
	v_cvt_i32_f32_e32 v40, v39
	v_cvt_i32_f32_e32 v36, v33
	v_add_f32_e32 v37, v37, v38
	v_cvt_i32_f32_e32 v38, v37
	v_cvt_f32_i32_dpp v40, v40 row_shr:4 row_mask:0xf bank_mask:0xf bound_ctrl:1
	v_cvt_f32_i32_dpp v36, v36 row_shr:4 row_mask:0xf bank_mask:0xf bound_ctrl:1
	v_cvt_f32_i32_dpp v41, v41 row_bcast:15 row_mask:0xf bank_mask:0xf bound_ctrl:1
	v_cvt_f32_i32_dpp v38, v38 row_shr:1 row_mask:0xf bank_mask:0xf bound_ctrl:1
	v_add_f32_e32 v39, v39, v40
	v_add_f32_e32 v33, v33, v36
	v_cvt_i32_f32_e32 v40, v39
	v_cvt_i32_f32_e32 v36, v33
	v_add_f32_e32 v37, v37, v38
	v_cvt_i32_f32_e32 v42, v37
	v_cvt_f32_i32_dpp v40, v40 row_shr:2 row_mask:0xf bank_mask:0xf bound_ctrl:1
	v_cvt_f32_i32_dpp v36, v36 row_shr:2 row_mask:0xf bank_mask:0xf bound_ctrl:1
	v_add_f32_e32 v38, v39, v40
	v_add_f32_e32 v33, v33, v36
	v_cvt_i32_f32_e32 v39, v38
	v_cvt_i32_f32_e32 v40, v33
	v_add_f32_e32 v36, v34, v41
	v_cvt_i32_f32_e32 v41, v36
	v_cvt_f32_i32_dpp v39, v39 row_shr:1 row_mask:0xf bank_mask:0xf bound_ctrl:1
	v_cvt_f32_i32_dpp v34, v40 row_shr:1 row_mask:0xf bank_mask:0xf bound_ctrl:1
	v_cvt_f32_i32_dpp v40, v42 row_bcast:15 row_mask:0xf bank_mask:0xf bound_ctrl:1
	v_mov_b32_dpp v43, v41 row_bcast:31 row_mask:0xf bank_mask:0xf bound_ctrl:1
	v_add_f32_e32 v38, v38, v39
	v_add_f32_e32 v33, v33, v34
	v_cvt_i32_f32_e32 v39, v38
	v_cvt_i32_f32_e32 v34, v33
	v_add_f32_e32 v37, v37, v40
	v_cvt_i32_f32_e32 v40, v37
	v_cvt_f32_i32_dpp v39, v39 row_bcast:15 row_mask:0xf bank_mask:0xf bound_ctrl:1
	v_cvt_f32_i32_dpp v34, v34 row_bcast:15 row_mask:0xf bank_mask:0xf bound_ctrl:1
	v_mov_b32_dpp v42, v40 row_bcast:31 row_mask:0xf bank_mask:0xf bound_ctrl:1
	v_add_f32_e32 v38, v38, v39
	v_add_f32_e32 v39, v33, v34
	v_cvt_i32_f32_e32 v44, v38
	v_cvt_i32_f32_e32 v33, v39
	s_nop 0
	v_mov_b32_dpp v41, v44 row_bcast:31 row_mask:0xf bank_mask:0xf bound_ctrl:1
	v_mov_b32_dpp v40, v33 row_bcast:31 row_mask:0xf bank_mask:0xf bound_ctrl:1
	s_and_saveexec_b64 s[20:21], s[0:1]
	s_cbranch_execz .LBB137_13
; %bb.20:                               ;   in Loop: Header=BB137_14 Depth=1
	s_and_b64 vcc, exec, s[18:19]
	s_cbranch_vccz .LBB137_22
; %bb.21:                               ;   in Loop: Header=BB137_14 Depth=1
	v_mul_hi_u32 v33, v32, v49
	v_mul_lo_u32 v33, v33, s12
	v_sub_u32_e32 v33, v32, v33
	v_subrev_u32_e32 v34, s12, v33
	v_cmp_le_u32_e32 vcc, s12, v33
	v_mov_b32_e32 v47, v35
	v_mov_b32_e32 v55, v35
	v_cndmask_b32_e32 v33, v33, v34, vcc
	v_subrev_u32_e32 v34, s12, v33
	v_cmp_le_u32_e32 vcc, s12, v33
	v_mov_b32_e32 v69, v35
	v_mov_b32_e32 v73, v35
	v_cndmask_b32_e32 v34, v33, v34, vcc
	v_or_b32_e32 v33, 1, v32
	v_mul_hi_u32 v46, v33, v49
	v_mul_lo_u32 v46, v46, s12
	v_sub_u32_e32 v33, v33, v46
	v_subrev_u32_e32 v46, s12, v33
	v_cmp_le_u32_e32 vcc, s12, v33
	v_add_u32_e32 v54, s26, v34
	v_lshl_add_u64 v[76:77], v[54:55], 1, s[8:9]
	v_cndmask_b32_e32 v33, v33, v46, vcc
	v_subrev_u32_e32 v46, s12, v33
	v_cmp_le_u32_e32 vcc, s12, v33
	v_lshl_add_u64 v[44:45], v[34:35], 1, s[8:9]
	s_nop 0
	v_cndmask_b32_e32 v46, v33, v46, vcc
	v_or_b32_e32 v33, 2, v32
	v_lshl_add_u64 v[52:53], v[46:47], 1, s[8:9]
	v_mul_hi_u32 v47, v33, v49
	v_mul_lo_u32 v47, v47, s12
	v_sub_u32_e32 v33, v33, v47
	v_subrev_u32_e32 v47, s12, v33
	v_cmp_le_u32_e32 vcc, s12, v33
	v_add_u32_e32 v54, s26, v46
	v_lshl_add_u64 v[78:79], v[54:55], 1, s[8:9]
	v_cndmask_b32_e32 v33, v33, v47, vcc
	v_subrev_u32_e32 v47, s12, v33
	v_cmp_le_u32_e32 vcc, s12, v33
	s_nop 1
	v_cndmask_b32_e32 v68, v33, v47, vcc
	v_or_b32_e32 v33, 3, v32
	v_mul_hi_u32 v47, v33, v49
	v_mul_lo_u32 v47, v47, s12
	v_sub_u32_e32 v33, v33, v47
	v_subrev_u32_e32 v47, s12, v33
	v_cmp_le_u32_e32 vcc, s12, v33
	v_add_u32_e32 v54, s26, v68
	v_lshl_add_u64 v[80:81], v[54:55], 1, s[8:9]
	v_cndmask_b32_e32 v33, v33, v47, vcc
	v_subrev_u32_e32 v47, s12, v33
	v_cmp_le_u32_e32 vcc, s12, v33
	v_lshl_add_u64 v[70:71], v[68:69], 1, s[8:9]
	s_nop 0
	v_cndmask_b32_e32 v72, v33, v47, vcc
	v_add_u32_e32 v54, s26, v72
	v_lshl_add_u64 v[74:75], v[72:73], 1, s[8:9]
	v_lshl_add_u64 v[82:83], v[54:55], 1, s[8:9]
	global_load_ushort v66, v[44:45], off
	global_load_ushort v65, v[52:53], off
	;; [unrolled: 1-line block ×8, first 2 shown]
	v_add_u32_e32 v44, s27, v34
	v_mov_b32_e32 v45, v35
	v_lshl_add_u64 v[70:71], v[44:45], 1, s[8:9]
	v_add_u32_e32 v44, s27, v46
	v_lshl_add_u64 v[74:75], v[44:45], 1, s[8:9]
	v_add_u32_e32 v44, s27, v68
	;; [unrolled: 2-line block ×7, first 2 shown]
	v_lshl_add_u64 v[86:87], v[44:45], 1, s[8:9]
	global_load_ushort v62, v[70:71], off
	global_load_ushort v61, v[74:75], off
	;; [unrolled: 1-line block ×8, first 2 shown]
	v_add_u32_e32 v34, s29, v34
	v_lshl_add_u64 v[70:71], v[34:35], 1, s[8:9]
	v_add_u32_e32 v34, s29, v46
	v_lshl_add_u64 v[74:75], v[34:35], 1, s[8:9]
	;; [unrolled: 2-line block ×4, first 2 shown]
	global_load_ushort v52, v[70:71], off
	global_load_ushort v47, v[74:75], off
	;; [unrolled: 1-line block ×4, first 2 shown]
	v_mov_b32_e32 v33, v35
	s_cbranch_execnz .LBB137_12
	s_branch .LBB137_23
.LBB137_22:                             ;   in Loop: Header=BB137_14 Depth=1
                                        ; implicit-def: $vgpr45
                                        ; implicit-def: $vgpr46
                                        ; implicit-def: $vgpr47
                                        ; implicit-def: $vgpr52
                                        ; implicit-def: $vgpr44
                                        ; implicit-def: $vgpr51
                                        ; implicit-def: $vgpr53
                                        ; implicit-def: $vgpr55
                                        ; implicit-def: $vgpr57
                                        ; implicit-def: $vgpr59
                                        ; implicit-def: $vgpr61
                                        ; implicit-def: $vgpr62
                                        ; implicit-def: $vgpr54
                                        ; implicit-def: $vgpr56
                                        ; implicit-def: $vgpr58
                                        ; implicit-def: $vgpr60
                                        ; implicit-def: $vgpr63
                                        ; implicit-def: $vgpr64
                                        ; implicit-def: $vgpr65
                                        ; implicit-def: $vgpr66
.LBB137_23:                             ;   in Loop: Header=BB137_14 Depth=1
	v_mov_b32_e32 v33, v35
	s_waitcnt vmcnt(19)
	v_mov_b32_e32 v66, 0
	s_waitcnt vmcnt(18)
	;; [unrolled: 2-line block ×20, first 2 shown]
	v_mov_b32_e32 v45, 0
	s_branch .LBB137_12
.LBB137_24:
	s_endpgm
	.section	.rodata,"a",@progbits
	.p2align	6, 0x0
	.amdhsa_kernel _Z16wvSplitK_hf_sml_I6__halfLi32ELi4ELi16ELi8ELi1ELi5EEviiiiiiPKT_S3_S3_PS1_ii
		.amdhsa_group_segment_fixed_size 65536
		.amdhsa_private_segment_fixed_size 0
		.amdhsa_kernarg_size 64
		.amdhsa_user_sgpr_count 2
		.amdhsa_user_sgpr_dispatch_ptr 0
		.amdhsa_user_sgpr_queue_ptr 0
		.amdhsa_user_sgpr_kernarg_segment_ptr 1
		.amdhsa_user_sgpr_dispatch_id 0
		.amdhsa_user_sgpr_kernarg_preload_length 0
		.amdhsa_user_sgpr_kernarg_preload_offset 0
		.amdhsa_user_sgpr_private_segment_size 0
		.amdhsa_uses_dynamic_stack 0
		.amdhsa_enable_private_segment 0
		.amdhsa_system_sgpr_workgroup_id_x 1
		.amdhsa_system_sgpr_workgroup_id_y 0
		.amdhsa_system_sgpr_workgroup_id_z 0
		.amdhsa_system_sgpr_workgroup_info 0
		.amdhsa_system_vgpr_workitem_id 1
		.amdhsa_next_free_vgpr 88
		.amdhsa_next_free_sgpr 34
		.amdhsa_accum_offset 88
		.amdhsa_reserve_vcc 1
		.amdhsa_float_round_mode_32 0
		.amdhsa_float_round_mode_16_64 0
		.amdhsa_float_denorm_mode_32 3
		.amdhsa_float_denorm_mode_16_64 3
		.amdhsa_dx10_clamp 1
		.amdhsa_ieee_mode 1
		.amdhsa_fp16_overflow 0
		.amdhsa_tg_split 0
		.amdhsa_exception_fp_ieee_invalid_op 0
		.amdhsa_exception_fp_denorm_src 0
		.amdhsa_exception_fp_ieee_div_zero 0
		.amdhsa_exception_fp_ieee_overflow 0
		.amdhsa_exception_fp_ieee_underflow 0
		.amdhsa_exception_fp_ieee_inexact 0
		.amdhsa_exception_int_div_zero 0
	.end_amdhsa_kernel
	.section	.text._Z16wvSplitK_hf_sml_I6__halfLi32ELi4ELi16ELi8ELi1ELi5EEviiiiiiPKT_S3_S3_PS1_ii,"axG",@progbits,_Z16wvSplitK_hf_sml_I6__halfLi32ELi4ELi16ELi8ELi1ELi5EEviiiiiiPKT_S3_S3_PS1_ii,comdat
.Lfunc_end137:
	.size	_Z16wvSplitK_hf_sml_I6__halfLi32ELi4ELi16ELi8ELi1ELi5EEviiiiiiPKT_S3_S3_PS1_ii, .Lfunc_end137-_Z16wvSplitK_hf_sml_I6__halfLi32ELi4ELi16ELi8ELi1ELi5EEviiiiiiPKT_S3_S3_PS1_ii
                                        ; -- End function
	.section	.AMDGPU.csdata,"",@progbits
; Kernel info:
; codeLenInByte = 5588
; NumSgprs: 40
; NumVgprs: 88
; NumAgprs: 0
; TotalNumVgprs: 88
; ScratchSize: 0
; MemoryBound: 0
; FloatMode: 240
; IeeeMode: 1
; LDSByteSize: 65536 bytes/workgroup (compile time only)
; SGPRBlocks: 4
; VGPRBlocks: 10
; NumSGPRsForWavesPerEU: 40
; NumVGPRsForWavesPerEU: 88
; AccumOffset: 88
; Occupancy: 2
; WaveLimiterHint : 0
; COMPUTE_PGM_RSRC2:SCRATCH_EN: 0
; COMPUTE_PGM_RSRC2:USER_SGPR: 2
; COMPUTE_PGM_RSRC2:TRAP_HANDLER: 0
; COMPUTE_PGM_RSRC2:TGID_X_EN: 1
; COMPUTE_PGM_RSRC2:TGID_Y_EN: 0
; COMPUTE_PGM_RSRC2:TGID_Z_EN: 0
; COMPUTE_PGM_RSRC2:TIDIG_COMP_CNT: 1
; COMPUTE_PGM_RSRC3_GFX90A:ACCUM_OFFSET: 21
; COMPUTE_PGM_RSRC3_GFX90A:TG_SPLIT: 0
	.section	.text._Z12wvSplitK_hf_I6__halfLi32ELi4ELi16ELi8ELi1ELi5EEviiiiiiPKT_S3_S3_PS1_ii,"axG",@progbits,_Z12wvSplitK_hf_I6__halfLi32ELi4ELi16ELi8ELi1ELi5EEviiiiiiPKT_S3_S3_PS1_ii,comdat
	.protected	_Z12wvSplitK_hf_I6__halfLi32ELi4ELi16ELi8ELi1ELi5EEviiiiiiPKT_S3_S3_PS1_ii ; -- Begin function _Z12wvSplitK_hf_I6__halfLi32ELi4ELi16ELi8ELi1ELi5EEviiiiiiPKT_S3_S3_PS1_ii
	.globl	_Z12wvSplitK_hf_I6__halfLi32ELi4ELi16ELi8ELi1ELi5EEviiiiiiPKT_S3_S3_PS1_ii
	.p2align	8
	.type	_Z12wvSplitK_hf_I6__halfLi32ELi4ELi16ELi8ELi1ELi5EEviiiiiiPKT_S3_S3_PS1_ii,@function
_Z12wvSplitK_hf_I6__halfLi32ELi4ELi16ELi8ELi1ELi5EEviiiiiiPKT_S3_S3_PS1_ii: ; @_Z12wvSplitK_hf_I6__halfLi32ELi4ELi16ELi8ELi1ELi5EEviiiiiiPKT_S3_S3_PS1_ii
; %bb.0:
	s_load_dwordx2 s[8:9], s[0:1], 0x38
	s_load_dwordx2 s[10:11], s[0:1], 0x20
	s_load_dwordx4 s[12:15], s[0:1], 0x0
	s_load_dwordx2 s[20:21], s[0:1], 0x10
	v_bfe_u32 v1, v0, 10, 10
	s_waitcnt lgkmcnt(0)
	s_mul_i32 s2, s2, s8
	v_add_lshl_u32 v42, s2, v1, 2
	s_mov_b32 s4, 1
	v_add_u32_e32 v2, 4, v42
	s_mov_b32 s5, s4
	v_cmp_gt_u32_e32 vcc, s15, v42
	v_cmp_le_u32_e64 s[2:3], s15, v2
	s_mov_b32 s6, s4
	s_mov_b32 s7, s4
	v_mov_b64_e32 v[2:3], s[4:5]
	s_and_b64 s[16:17], vcc, s[2:3]
	v_mov_b64_e32 v[4:5], s[6:7]
	s_and_saveexec_b64 s[2:3], s[16:17]
	s_cbranch_execz .LBB138_6
; %bb.1:
	s_add_i32 s24, s15, -4
	v_mov_b64_e32 v[2:3], s[4:5]
	v_cmp_ne_u32_e32 vcc, s24, v42
	v_mov_b64_e32 v[4:5], s[6:7]
	s_and_saveexec_b64 s[16:17], vcc
	s_cbranch_execz .LBB138_5
; %bb.2:
	v_subrev_u32_e32 v2, s24, v42
	v_cmp_lt_u32_e32 vcc, 1, v2
	s_mov_b64 s[18:19], 0
	s_mov_b64 s[22:23], 0
	v_cndmask_b32_e32 v6, 1, v2, vcc
	s_mov_b32 s5, s4
	s_mov_b32 s6, s4
	;; [unrolled: 1-line block ×3, first 2 shown]
.LBB138_3:                              ; =>This Inner Loop Header: Depth=1
	s_cmp_lg_u32 s22, 3
	s_cselect_b32 s7, s7, 0
	s_cmp_lg_u32 s22, 2
	s_cselect_b32 s6, s6, 0
	;; [unrolled: 2-line block ×4, first 2 shown]
	s_add_u32 s22, s22, 1
	s_addc_u32 s23, s23, 0
	v_cmp_eq_u32_e32 vcc, s22, v6
	v_mov_b64_e32 v[2:3], s[4:5]
	s_or_b64 s[18:19], vcc, s[18:19]
	v_mov_b64_e32 v[4:5], s[6:7]
	s_andn2_b64 exec, exec, s[18:19]
	s_cbranch_execnz .LBB138_3
; %bb.4:
	s_or_b64 exec, exec, s[18:19]
	v_mov_b32_e32 v42, s24
.LBB138_5:
	s_or_b64 exec, exec, s[16:17]
.LBB138_6:
	s_or_b64 exec, exec, s[2:3]
	v_and_b32_e32 v10, 0x3ff, v0
	v_lshlrev_b32_e32 v0, 3, v10
	s_mul_i32 s2, s14, 5
	v_lshl_add_u32 v11, v1, 8, v0
	s_min_u32 s4, s2, 0x8000
	v_cmp_gt_u32_e32 vcc, s4, v11
	s_and_saveexec_b64 s[2:3], vcc
	s_cbranch_execz .LBB138_15
; %bb.7:
	v_lshlrev_b32_e32 v6, 1, v11
	global_load_dwordx4 v[12:15], v6, s[10:11]
	v_add_u32_e32 v7, 0x1000, v11
	v_cmp_gt_u32_e32 vcc, s4, v7
	s_waitcnt vmcnt(0)
	ds_write_b128 v6, v[12:15]
	s_and_saveexec_b64 s[6:7], vcc
	s_xor_b64 s[6:7], exec, s[6:7]
	s_cbranch_execz .LBB138_15
; %bb.8:
	v_mov_b32_e32 v7, 0
	v_lshl_add_u64 v[8:9], s[10:11], 0, v[6:7]
	v_add_co_u32_e32 v12, vcc, 0x2000, v8
	v_add_u32_e32 v7, 0x2000, v11
	s_nop 0
	v_addc_co_u32_e32 v13, vcc, 0, v9, vcc
	global_load_dwordx4 v[12:15], v[12:13], off
	v_cmp_gt_u32_e32 vcc, s4, v7
	s_waitcnt vmcnt(0)
	ds_write_b128 v6, v[12:15] offset:8192
	s_and_saveexec_b64 s[6:7], vcc
	s_xor_b64 s[6:7], exec, s[6:7]
	s_cbranch_execz .LBB138_15
; %bb.9:
	v_add_co_u32_e32 v12, vcc, 0x4000, v8
	v_add_u32_e32 v7, 0x3000, v11
	s_nop 0
	v_addc_co_u32_e32 v13, vcc, 0, v9, vcc
	global_load_dwordx4 v[12:15], v[12:13], off
	v_cmp_gt_u32_e32 vcc, s4, v7
	s_waitcnt vmcnt(0)
	ds_write_b128 v6, v[12:15] offset:16384
	s_and_saveexec_b64 s[6:7], vcc
	s_xor_b64 s[6:7], exec, s[6:7]
	s_cbranch_execz .LBB138_15
; %bb.10:
	;; [unrolled: 12-line block ×6, first 2 shown]
	v_add_co_u32_e32 v8, vcc, 0xe000, v8
	s_nop 1
	v_addc_co_u32_e32 v9, vcc, 0, v9, vcc
	global_load_dwordx4 v[12:15], v[8:9], off
	s_waitcnt vmcnt(0)
	ds_write_b128 v6, v[12:15] offset:57344
.LBB138_15:
	s_or_b64 exec, exec, s[2:3]
	v_cmp_gt_u32_e32 vcc, s8, v1
	v_cmp_gt_u32_e64 s[2:3], s15, v42
	s_and_b64 s[2:3], vcc, s[2:3]
	s_waitcnt lgkmcnt(0)
	s_barrier
	s_and_saveexec_b64 s[4:5], s[2:3]
	s_cbranch_execz .LBB138_92
; %bb.16:
	s_load_dwordx4 s[16:19], s[0:1], 0x28
	s_load_dwordx2 s[22:23], s[0:1], 0x18
	s_cmp_lg_u32 s12, 0
	s_cselect_b64 s[2:3], -1, 0
	s_add_i32 s33, s12, -8
	s_add_i32 s36, s15, -1
	s_mul_i32 s4, s8, s9
	s_waitcnt lgkmcnt(0)
	s_cmp_lg_u64 s[16:17], 0
	s_cselect_b64 s[26:27], -1, 0
	s_lshl_b32 s37, s4, 2
	s_abs_i32 s4, s21
	v_cvt_f32_u32_e32 v1, s20
	v_cvt_f32_u32_e32 v6, s4
	s_sub_i32 s5, 0, s20
	s_add_i32 s21, s15, -4
	v_rcp_iflag_f32_e32 v1, v1
	v_rcp_iflag_f32_e32 v6, v6
	v_cmp_eq_u32_e64 s[0:1], 31, v10
	s_mov_b64 s[24:25], 0
	v_mul_f32_e32 v1, 0x4f7ffffe, v1
	v_mul_f32_e32 v6, 0x4f7ffffe, v6
	v_cvt_u32_f32_e32 v1, v1
	v_cvt_u32_f32_e32 v6, v6
	v_mov_b32_e32 v45, 0
	v_lshlrev_b32_e32 v64, 4, v10
	v_mul_lo_u32 v7, s5, v1
	s_sub_i32 s5, 0, s4
	v_readfirstlane_b32 s6, v6
	s_mul_i32 s5, s5, s6
	s_mul_hi_u32 s5, s6, s5
	s_add_i32 s6, s6, s5
	s_sub_i32 s5, 1, s4
	s_cmp_lt_u32 s4, 2
	s_cselect_b32 s5, s5, 1
	s_sub_i32 s7, s5, s4
	s_cmp_ge_u32 s5, s4
	s_cselect_b32 s38, s7, s5
	s_lshr_b32 s5, s6, 31
	s_mul_i32 s5, s5, s4
	s_sub_i32 s5, 2, s5
	s_sub_i32 s7, s5, s4
	s_cmp_ge_u32 s5, s4
	s_cselect_b32 s5, s7, s5
	s_sub_i32 s7, s5, s4
	s_cmp_ge_u32 s5, s4
	s_cselect_b32 s39, s7, s5
	s_mul_hi_u32 s5, s6, 3
	s_mul_i32 s5, s5, s4
	s_sub_i32 s5, 3, s5
	s_sub_i32 s7, s5, s4
	s_cmp_ge_u32 s5, s4
	s_cselect_b32 s5, s7, s5
	s_sub_i32 s7, s5, s4
	s_cmp_ge_u32 s5, s4
	s_cselect_b32 s40, s7, s5
	s_lshr_b32 s5, s6, 30
	s_mul_i32 s5, s5, s4
	s_sub_i32 s5, 4, s5
	s_sub_i32 s6, s5, s4
	s_cmp_ge_u32 s5, s4
	s_cselect_b32 s5, s6, s5
	v_mul_hi_u32 v7, v1, v7
	s_sub_i32 s6, s5, s4
	v_add_u32_e32 v1, v1, v7
	s_cmp_ge_u32 s5, s4
	s_cselect_b32 s41, s6, s5
	s_lshl_b32 s42, s14, 1
	s_lshl_b32 s43, s14, 2
	v_mad_u64_u32 v[46:47], s[4:5], s14, 3, v[0:1]
	v_cndmask_b32_e64 v6, 0, 1, s[2:3]
	s_mul_i32 s38, s38, s20
	s_mul_i32 s39, s39, s20
	;; [unrolled: 1-line block ×4, first 2 shown]
	v_add_u32_e32 v65, s42, v0
	s_mul_i32 s44, s14, 6
	v_add_u32_e32 v47, s43, v0
	s_lshl_b32 s45, s14, 3
	v_add_u32_e32 v66, s14, v0
	v_cmp_ne_u32_e64 s[2:3], 1, v6
	s_movk_i32 s14, 0x7fff
	s_mov_b32 s28, 0
	s_branch .LBB138_19
.LBB138_17:                             ;   in Loop: Header=BB138_19 Depth=1
	s_or_b64 exec, exec, s[8:9]
	v_mov_b32_e32 v42, s21
.LBB138_18:                             ;   in Loop: Header=BB138_19 Depth=1
	s_or_b64 exec, exec, s[6:7]
	v_cmp_le_u32_e32 vcc, s15, v42
	s_or_b64 s[24:25], vcc, s[24:25]
	s_andn2_b64 exec, exec, s[24:25]
	s_cbranch_execz .LBB138_92
.LBB138_19:                             ; =>This Loop Header: Depth=1
                                        ;     Child Loop BB138_23 Depth 2
                                        ;     Child Loop BB138_71 Depth 2
	s_and_b64 vcc, exec, s[2:3]
	v_add_u32_e32 v52, 1, v42
	v_add_u32_e32 v50, 2, v42
	;; [unrolled: 1-line block ×3, first 2 shown]
	v_mov_b32_e32 v82, v45
	v_mov_b32_e32 v81, v45
	v_mov_b32_e32 v80, v45
	v_mov_b32_e32 v79, v45
	s_waitcnt vmcnt(19)
	v_mov_b32_e32 v43, v45
	s_waitcnt vmcnt(16)
	v_mov_b32_e32 v49, v45
	v_mov_b32_e32 v51, v45
	;; [unrolled: 1-line block ×3, first 2 shown]
	s_waitcnt vmcnt(6)
	v_mov_b32_e32 v67, v45
	v_mov_b32_e32 v68, v45
	;; [unrolled: 1-line block ×12, first 2 shown]
	s_cbranch_vccnz .LBB138_44
; %bb.20:                               ;   in Loop: Header=BB138_19 Depth=1
	v_min_u32_e32 v6, s36, v42
	v_mul_lo_u32 v54, v6, s13
	v_min_u32_e32 v6, s36, v52
	v_mul_lo_u32 v56, v6, s13
	v_min_u32_e32 v6, s36, v50
	s_waitcnt vmcnt(0)
	v_mul_lo_u32 v58, v6, s13
	v_min_u32_e32 v6, s36, v48
	v_mov_b32_e32 v55, v45
	v_mov_b32_e32 v57, v45
	;; [unrolled: 1-line block ×3, first 2 shown]
	v_mul_lo_u32 v60, v6, s13
	v_mov_b32_e32 v61, v45
	v_mov_b32_e32 v78, 0
	;; [unrolled: 1-line block ×22, first 2 shown]
	s_mov_b32 s8, s28
	s_branch .LBB138_23
.LBB138_21:                             ;   in Loop: Header=BB138_23 Depth=2
	s_or_b64 exec, exec, s[6:7]
.LBB138_22:                             ;   in Loop: Header=BB138_23 Depth=2
	s_or_b64 exec, exec, s[4:5]
	s_waitcnt vmcnt(0) lgkmcnt(0)
	;;#ASMSTART
	v_dot2c_f32_f16 v82, v26, v18
	;;#ASMEND
	;;#ASMSTART
	v_dot2c_f32_f16 v81, v26, v14
	;;#ASMEND
	;; [unrolled: 3-line block ×20, first 2 shown]
	s_nop 0
	;;#ASMSTART
	v_dot2c_f32_f16 v82, v27, v19
	;;#ASMEND
	;;#ASMSTART
	v_dot2c_f32_f16 v81, v27, v15
	;;#ASMEND
	;; [unrolled: 3-line block ×20, first 2 shown]
	s_addk_i32 s8, 0x100
	;;#ASMSTART
	v_dot2c_f32_f16 v82, v28, v20
	;;#ASMEND
	;;#ASMSTART
	v_dot2c_f32_f16 v81, v28, v16
	;;#ASMEND
	;; [unrolled: 3-line block ×20, first 2 shown]
	s_cmp_ge_u32 s8, s12
	v_add_u32_e32 v83, 0x200, v83
	;;#ASMSTART
	v_dot2c_f32_f16 v82, v29, v21
	;;#ASMEND
	;;#ASMSTART
	v_dot2c_f32_f16 v81, v29, v17
	;;#ASMEND
	;; [unrolled: 3-line block ×20, first 2 shown]
	s_cbranch_scc1 .LBB138_44
.LBB138_23:                             ;   Parent Loop BB138_19 Depth=1
                                        ; =>  This Inner Loop Header: Depth=2
	v_add_u32_e32 v62, s8, v0
	v_min_u32_e32 v44, s33, v62
	v_lshl_add_u64 v[6:7], v[44:45], 1, s[22:23]
	v_lshl_add_u64 v[8:9], v[54:55], 1, v[6:7]
	;; [unrolled: 1-line block ×4, first 2 shown]
	global_load_dwordx4 v[18:21], v[8:9], off nt
	global_load_dwordx4 v[14:17], v[10:11], off nt
	v_lshl_add_u64 v[24:25], v[60:61], 1, v[6:7]
	global_load_dwordx4 v[10:13], v[22:23], off nt
	global_load_dwordx4 v[6:9], v[24:25], off nt
	s_mov_b32 s29, s28
	v_cmp_gt_u32_e32 vcc, s12, v62
	v_mov_b64_e32 v[32:33], s[28:29]
	v_mov_b32_e32 v41, 0
	v_mov_b32_e32 v40, 0
	;; [unrolled: 1-line block ×4, first 2 shown]
	v_mov_b64_e32 v[30:31], s[28:29]
	v_mov_b64_e32 v[36:37], s[28:29]
	;; [unrolled: 1-line block ×7, first 2 shown]
	s_and_saveexec_b64 s[4:5], vcc
	s_cbranch_execz .LBB138_22
; %bb.24:                               ;   in Loop: Header=BB138_23 Depth=2
	v_cmp_lt_u32_e32 vcc, s14, v62
                                        ; implicit-def: $vgpr28_vgpr29
	s_and_saveexec_b64 s[6:7], vcc
	s_xor_b64 s[6:7], exec, s[6:7]
	s_cbranch_execz .LBB138_26
; %bb.25:                               ;   in Loop: Header=BB138_23 Depth=2
	v_mov_b32_e32 v63, v45
	v_lshl_add_u64 v[22:23], v[62:63], 1, s[10:11]
	global_load_dwordx4 v[26:29], v[22:23], off
.LBB138_26:                             ;   in Loop: Header=BB138_23 Depth=2
	s_andn2_saveexec_b64 s[6:7], s[6:7]
	s_cbranch_execz .LBB138_28
; %bb.27:                               ;   in Loop: Header=BB138_23 Depth=2
	s_waitcnt vmcnt(0)
	ds_read_b128 v[26:29], v83
.LBB138_28:                             ;   in Loop: Header=BB138_23 Depth=2
	s_or_b64 exec, exec, s[6:7]
	v_add_u32_e32 v44, s8, v66
	v_cmp_lt_u32_e32 vcc, s14, v44
                                        ; implicit-def: $vgpr24_vgpr25
	s_and_saveexec_b64 s[6:7], vcc
	s_xor_b64 s[6:7], exec, s[6:7]
	s_cbranch_execz .LBB138_30
; %bb.29:                               ;   in Loop: Header=BB138_23 Depth=2
	v_lshl_add_u64 v[22:23], v[44:45], 1, s[10:11]
	global_load_dwordx4 v[22:25], v[22:23], off
.LBB138_30:                             ;   in Loop: Header=BB138_23 Depth=2
	s_andn2_saveexec_b64 s[6:7], s[6:7]
	s_cbranch_execz .LBB138_32
; %bb.31:                               ;   in Loop: Header=BB138_23 Depth=2
	s_waitcnt vmcnt(0)
	v_add_u32_e32 v22, s42, v83
	ds_read_b128 v[22:25], v22
.LBB138_32:                             ;   in Loop: Header=BB138_23 Depth=2
	s_or_b64 exec, exec, s[6:7]
	v_add_u32_e32 v44, s8, v65
	v_cmp_lt_u32_e32 vcc, s14, v44
                                        ; implicit-def: $vgpr36_vgpr37
	s_and_saveexec_b64 s[6:7], vcc
	s_xor_b64 s[6:7], exec, s[6:7]
	s_cbranch_execz .LBB138_34
; %bb.33:                               ;   in Loop: Header=BB138_23 Depth=2
	v_lshl_add_u64 v[30:31], v[44:45], 1, s[10:11]
	global_load_dwordx4 v[34:37], v[30:31], off
.LBB138_34:                             ;   in Loop: Header=BB138_23 Depth=2
	s_andn2_saveexec_b64 s[6:7], s[6:7]
	s_cbranch_execz .LBB138_36
; %bb.35:                               ;   in Loop: Header=BB138_23 Depth=2
	v_add_u32_e32 v30, s43, v83
	s_waitcnt vmcnt(0)
	ds_read2_b32 v[34:35], v30 offset1:1
	ds_read2_b32 v[36:37], v30 offset0:2 offset1:3
.LBB138_36:                             ;   in Loop: Header=BB138_23 Depth=2
	s_or_b64 exec, exec, s[6:7]
	v_add_u32_e32 v44, s8, v46
	v_cmp_lt_u32_e32 vcc, s14, v44
                                        ; implicit-def: $vgpr32_vgpr33
	s_and_saveexec_b64 s[6:7], vcc
	s_xor_b64 s[6:7], exec, s[6:7]
	s_cbranch_execz .LBB138_38
; %bb.37:                               ;   in Loop: Header=BB138_23 Depth=2
	v_lshl_add_u64 v[30:31], v[44:45], 1, s[10:11]
	global_load_dwordx4 v[30:33], v[30:31], off
.LBB138_38:                             ;   in Loop: Header=BB138_23 Depth=2
	s_andn2_saveexec_b64 s[6:7], s[6:7]
	s_cbranch_execz .LBB138_40
; %bb.39:                               ;   in Loop: Header=BB138_23 Depth=2
	s_waitcnt vmcnt(0)
	v_add_u32_e32 v30, s44, v83
	ds_read_b128 v[30:33], v30
.LBB138_40:                             ;   in Loop: Header=BB138_23 Depth=2
	s_or_b64 exec, exec, s[6:7]
	v_add_u32_e32 v44, s8, v47
	v_cmp_lt_u32_e32 vcc, s14, v44
                                        ; implicit-def: $vgpr41
	s_and_saveexec_b64 s[6:7], vcc
	s_xor_b64 s[6:7], exec, s[6:7]
	s_cbranch_execz .LBB138_42
; %bb.41:                               ;   in Loop: Header=BB138_23 Depth=2
	v_lshl_add_u64 v[38:39], v[44:45], 1, s[10:11]
	global_load_dwordx4 v[38:41], v[38:39], off
.LBB138_42:                             ;   in Loop: Header=BB138_23 Depth=2
	s_andn2_saveexec_b64 s[6:7], s[6:7]
	s_cbranch_execz .LBB138_21
; %bb.43:                               ;   in Loop: Header=BB138_23 Depth=2
	s_waitcnt vmcnt(0)
	v_add_u32_e32 v38, s45, v83
	ds_read2_b64 v[38:41], v38 offset1:1
	s_branch .LBB138_21
.LBB138_44:                             ;   in Loop: Header=BB138_19 Depth=1
	v_cvt_i32_f32_e32 v6, v82
	v_cvt_i32_f32_e32 v7, v81
	;; [unrolled: 1-line block ×4, first 2 shown]
	v_cvt_f32_i32_dpp v6, v6 row_shr:8 row_mask:0xf bank_mask:0xf bound_ctrl:1
	v_cvt_f32_i32_dpp v7, v7 row_shr:8 row_mask:0xf bank_mask:0xf bound_ctrl:1
	v_cvt_f32_i32_dpp v8, v8 row_shr:8 row_mask:0xf bank_mask:0xf bound_ctrl:1
	v_cvt_f32_i32_dpp v9, v9 row_shr:8 row_mask:0xf bank_mask:0xf bound_ctrl:1
	v_add_f32_e32 v6, v82, v6
	v_cvt_i32_f32_e32 v10, v6
	v_add_f32_e32 v7, v81, v7
	v_cvt_i32_f32_e32 v11, v7
	v_add_f32_e32 v8, v80, v8
	v_cvt_f32_i32_dpp v10, v10 row_shr:4 row_mask:0xf bank_mask:0xf bound_ctrl:1
	v_cvt_i32_f32_e32 v12, v8
	v_cvt_f32_i32_dpp v11, v11 row_shr:4 row_mask:0xf bank_mask:0xf bound_ctrl:1
	v_add_f32_e32 v9, v79, v9
	v_add_f32_e32 v6, v6, v10
	v_cvt_i32_f32_e32 v10, v6
	v_add_f32_e32 v7, v7, v11
	v_cvt_i32_f32_e32 v11, v7
	v_cvt_f32_i32_dpp v12, v12 row_shr:4 row_mask:0xf bank_mask:0xf bound_ctrl:1
	v_cvt_f32_i32_dpp v10, v10 row_shr:2 row_mask:0xf bank_mask:0xf bound_ctrl:1
	v_cvt_i32_f32_e32 v13, v9
	v_cvt_f32_i32_dpp v11, v11 row_shr:2 row_mask:0xf bank_mask:0xf bound_ctrl:1
	v_add_f32_e32 v8, v8, v12
	v_add_f32_e32 v6, v6, v10
	v_cvt_i32_f32_e32 v10, v6
	v_add_f32_e32 v7, v7, v11
	v_cvt_i32_f32_e32 v11, v7
	v_cvt_i32_f32_e32 v12, v8
	v_cvt_f32_i32_dpp v10, v10 row_shr:1 row_mask:0xf bank_mask:0xf bound_ctrl:1
	v_cvt_f32_i32_dpp v13, v13 row_shr:4 row_mask:0xf bank_mask:0xf bound_ctrl:1
	;; [unrolled: 1-line block ×4, first 2 shown]
	v_add_f32_e32 v6, v6, v10
	v_cvt_i32_f32_e32 v10, v6
	v_add_f32_e32 v7, v7, v11
	v_cvt_i32_f32_e32 v11, v7
	v_add_f32_e32 v12, v8, v12
	v_cvt_f32_i32_dpp v10, v10 row_bcast:15 row_mask:0xf bank_mask:0xf bound_ctrl:1
	v_add_f32_e32 v9, v9, v13
	v_cvt_i32_f32_e32 v13, v12
	v_cvt_f32_i32_dpp v11, v11 row_bcast:15 row_mask:0xf bank_mask:0xf bound_ctrl:1
	v_add_f32_e32 v8, v6, v10
	v_cvt_i32_f32_e32 v10, v8
	v_cvt_f32_i32_dpp v13, v13 row_shr:1 row_mask:0xf bank_mask:0xf bound_ctrl:1
	v_add_f32_e32 v6, v7, v11
	v_cvt_i32_f32_e32 v7, v6
	v_mov_b32_dpp v11, v10 row_bcast:31 row_mask:0xf bank_mask:0xf bound_ctrl:1
	v_cvt_i32_f32_e32 v10, v9
	v_add_f32_e32 v12, v12, v13
	v_cvt_i32_f32_e32 v13, v78
	v_cvt_i32_f32_e32 v14, v12
	v_cvt_f32_i32_dpp v15, v10 row_shr:2 row_mask:0xf bank_mask:0xf bound_ctrl:1
	v_mov_b32_dpp v10, v7 row_bcast:31 row_mask:0xf bank_mask:0xf bound_ctrl:1
	v_cvt_f32_i32_dpp v7, v13 row_shr:8 row_mask:0xf bank_mask:0xf bound_ctrl:1
	v_cvt_f32_i32_dpp v13, v14 row_bcast:15 row_mask:0xf bank_mask:0xf bound_ctrl:1
	v_add_f32_e32 v9, v9, v15
	v_cvt_i32_f32_e32 v14, v9
	v_add_f32_e32 v15, v78, v7
	v_cvt_i32_f32_e32 v16, v15
	v_add_f32_e32 v7, v12, v13
	v_cvt_f32_i32_dpp v12, v14 row_shr:1 row_mask:0xf bank_mask:0xf bound_ctrl:1
	v_cvt_i32_f32_e32 v13, v77
	v_cvt_f32_i32_dpp v14, v16 row_shr:4 row_mask:0xf bank_mask:0xf bound_ctrl:1
	v_cvt_i32_f32_e32 v16, v7
	v_add_f32_e32 v9, v9, v12
	v_cvt_f32_i32_dpp v12, v13 row_shr:8 row_mask:0xf bank_mask:0xf bound_ctrl:1
	v_add_f32_e32 v14, v15, v14
	v_cvt_i32_f32_e32 v13, v14
	v_cvt_i32_f32_e32 v15, v9
	v_add_f32_e32 v12, v77, v12
	v_cvt_i32_f32_e32 v17, v12
	v_cvt_f32_i32_dpp v18, v13 row_shr:2 row_mask:0xf bank_mask:0xf bound_ctrl:1
	v_mov_b32_dpp v13, v16 row_bcast:31 row_mask:0xf bank_mask:0xf bound_ctrl:1
	v_cvt_f32_i32_dpp v15, v15 row_bcast:15 row_mask:0xf bank_mask:0xf bound_ctrl:1
	v_cvt_f32_i32_dpp v16, v17 row_shr:4 row_mask:0xf bank_mask:0xf bound_ctrl:1
	v_add_f32_e32 v14, v14, v18
	v_cvt_i32_f32_e32 v17, v14
	v_add_f32_e32 v9, v9, v15
	v_add_f32_e32 v12, v12, v16
	v_cvt_i32_f32_e32 v15, v12
	v_cvt_f32_i32_dpp v16, v17 row_shr:1 row_mask:0xf bank_mask:0xf bound_ctrl:1
	v_cvt_i32_f32_e32 v17, v76
	v_cvt_i32_f32_e32 v18, v9
	v_cvt_f32_i32_dpp v15, v15 row_shr:2 row_mask:0xf bank_mask:0xf bound_ctrl:1
	v_add_f32_e32 v14, v14, v16
	v_cvt_f32_i32_dpp v16, v17 row_shr:8 row_mask:0xf bank_mask:0xf bound_ctrl:1
	v_cvt_i32_f32_e32 v17, v14
	v_add_f32_e32 v15, v12, v15
	v_cvt_i32_f32_e32 v12, v15
	v_add_f32_e32 v19, v76, v16
	v_cvt_i32_f32_e32 v20, v19
	v_cvt_f32_i32_dpp v17, v17 row_bcast:15 row_mask:0xf bank_mask:0xf bound_ctrl:1
	v_cvt_f32_i32_dpp v21, v12 row_shr:1 row_mask:0xf bank_mask:0xf bound_ctrl:1
	v_mov_b32_dpp v16, v18 row_bcast:31 row_mask:0xf bank_mask:0xf bound_ctrl:1
	v_cvt_f32_i32_dpp v18, v20 row_shr:4 row_mask:0xf bank_mask:0xf bound_ctrl:1
	v_add_f32_e32 v12, v14, v17
	v_add_f32_e32 v14, v15, v21
	v_cvt_i32_f32_e32 v15, v75
	v_add_f32_e32 v17, v19, v18
	v_cvt_i32_f32_e32 v18, v17
	v_cvt_i32_f32_e32 v19, v14
	v_cvt_f32_i32_dpp v15, v15 row_shr:8 row_mask:0xf bank_mask:0xf bound_ctrl:1
	v_cvt_i32_f32_e32 v20, v12
	v_cvt_f32_i32_dpp v18, v18 row_shr:2 row_mask:0xf bank_mask:0xf bound_ctrl:1
	v_cvt_f32_i32_dpp v19, v19 row_bcast:15 row_mask:0xf bank_mask:0xf bound_ctrl:1
	v_add_f32_e32 v15, v75, v15
	v_cvt_i32_f32_e32 v21, v15
	v_add_f32_e32 v18, v17, v18
	v_mov_b32_dpp v17, v20 row_bcast:31 row_mask:0xf bank_mask:0xf bound_ctrl:1
	v_cvt_i32_f32_e32 v22, v18
	v_cvt_f32_i32_dpp v20, v21 row_shr:4 row_mask:0xf bank_mask:0xf bound_ctrl:1
	v_add_f32_e32 v14, v14, v19
	v_cvt_i32_f32_e32 v21, v14
	v_cvt_f32_i32_dpp v19, v22 row_shr:1 row_mask:0xf bank_mask:0xf bound_ctrl:1
	v_add_f32_e32 v15, v15, v20
	v_cvt_i32_f32_e32 v20, v15
	v_cvt_i32_f32_e32 v22, v74
	v_add_f32_e32 v18, v18, v19
	v_mov_b32_dpp v19, v21 row_bcast:31 row_mask:0xf bank_mask:0xf bound_ctrl:1
	v_cvt_f32_i32_dpp v20, v20 row_shr:2 row_mask:0xf bank_mask:0xf bound_ctrl:1
	v_cvt_f32_i32_dpp v21, v22 row_shr:8 row_mask:0xf bank_mask:0xf bound_ctrl:1
	v_cvt_i32_f32_e32 v23, v18
	v_add_f32_e32 v20, v15, v20
	v_add_f32_e32 v21, v74, v21
	v_cvt_f32_i32_dpp v22, v23 row_bcast:15 row_mask:0xf bank_mask:0xf bound_ctrl:1
	v_cvt_i32_f32_e32 v23, v20
	v_cvt_i32_f32_e32 v24, v21
	v_add_f32_e32 v15, v18, v22
	v_cvt_f32_i32_dpp v18, v23 row_shr:1 row_mask:0xf bank_mask:0xf bound_ctrl:1
	v_cvt_i32_f32_e32 v22, v73
	v_cvt_f32_i32_dpp v23, v24 row_shr:4 row_mask:0xf bank_mask:0xf bound_ctrl:1
	v_cvt_i32_f32_e32 v24, v15
	v_add_f32_e32 v18, v20, v18
	v_cvt_f32_i32_dpp v20, v22 row_shr:8 row_mask:0xf bank_mask:0xf bound_ctrl:1
	v_add_f32_e32 v22, v21, v23
	v_cvt_i32_f32_e32 v21, v22
	v_cvt_i32_f32_e32 v23, v18
	v_add_f32_e32 v20, v73, v20
	v_cvt_i32_f32_e32 v25, v20
	v_cvt_f32_i32_dpp v26, v21 row_shr:2 row_mask:0xf bank_mask:0xf bound_ctrl:1
	v_mov_b32_dpp v21, v24 row_bcast:31 row_mask:0xf bank_mask:0xf bound_ctrl:1
	v_cvt_f32_i32_dpp v23, v23 row_bcast:15 row_mask:0xf bank_mask:0xf bound_ctrl:1
	v_cvt_f32_i32_dpp v24, v25 row_shr:4 row_mask:0xf bank_mask:0xf bound_ctrl:1
	v_add_f32_e32 v22, v22, v26
	v_cvt_i32_f32_e32 v25, v22
	v_add_f32_e32 v18, v18, v23
	v_add_f32_e32 v20, v20, v24
	v_cvt_i32_f32_e32 v23, v20
	v_cvt_f32_i32_dpp v24, v25 row_shr:1 row_mask:0xf bank_mask:0xf bound_ctrl:1
	v_cvt_i32_f32_e32 v25, v72
	v_cvt_i32_f32_e32 v26, v18
	v_cvt_f32_i32_dpp v23, v23 row_shr:2 row_mask:0xf bank_mask:0xf bound_ctrl:1
	v_add_f32_e32 v22, v22, v24
	v_cvt_f32_i32_dpp v24, v25 row_shr:8 row_mask:0xf bank_mask:0xf bound_ctrl:1
	v_cvt_i32_f32_e32 v25, v22
	v_add_f32_e32 v27, v20, v23
	v_cvt_i32_f32_e32 v20, v27
	v_add_f32_e32 v24, v72, v24
	v_cvt_i32_f32_e32 v28, v24
	v_cvt_f32_i32_dpp v25, v25 row_bcast:15 row_mask:0xf bank_mask:0xf bound_ctrl:1
	v_mov_b32_dpp v23, v26 row_bcast:31 row_mask:0xf bank_mask:0xf bound_ctrl:1
	v_cvt_f32_i32_dpp v29, v20 row_shr:1 row_mask:0xf bank_mask:0xf bound_ctrl:1
	v_cvt_f32_i32_dpp v26, v28 row_shr:4 row_mask:0xf bank_mask:0xf bound_ctrl:1
	v_add_f32_e32 v20, v22, v25
	v_cvt_i32_f32_e32 v25, v71
	v_add_f32_e32 v22, v27, v29
	v_add_f32_e32 v24, v24, v26
	v_cvt_i32_f32_e32 v26, v24
	v_cvt_f32_i32_dpp v25, v25 row_shr:8 row_mask:0xf bank_mask:0xf bound_ctrl:1
	v_cvt_i32_f32_e32 v27, v22
	v_cvt_i32_f32_e32 v28, v20
	v_cvt_f32_i32_dpp v26, v26 row_shr:2 row_mask:0xf bank_mask:0xf bound_ctrl:1
	v_add_f32_e32 v25, v71, v25
	v_cvt_i32_f32_e32 v29, v25
	v_cvt_f32_i32_dpp v27, v27 row_bcast:15 row_mask:0xf bank_mask:0xf bound_ctrl:1
	v_add_f32_e32 v24, v24, v26
	v_cvt_i32_f32_e32 v30, v24
	v_mov_b32_dpp v26, v28 row_bcast:31 row_mask:0xf bank_mask:0xf bound_ctrl:1
	v_cvt_f32_i32_dpp v28, v29 row_shr:4 row_mask:0xf bank_mask:0xf bound_ctrl:1
	v_cvt_i32_f32_e32 v29, v70
	v_add_f32_e32 v22, v22, v27
	v_cvt_f32_i32_dpp v27, v30 row_shr:1 row_mask:0xf bank_mask:0xf bound_ctrl:1
	v_add_f32_e32 v25, v25, v28
	v_cvt_f32_i32_dpp v29, v29 row_shr:8 row_mask:0xf bank_mask:0xf bound_ctrl:1
	v_cvt_i32_f32_e32 v28, v25
	v_add_f32_e32 v24, v24, v27
	v_cvt_i32_f32_e32 v30, v22
	v_add_f32_e32 v29, v70, v29
	v_cvt_f32_i32_dpp v27, v28 row_shr:2 row_mask:0xf bank_mask:0xf bound_ctrl:1
	v_cvt_i32_f32_e32 v28, v24
	v_cvt_i32_f32_e32 v31, v29
	v_add_f32_e32 v25, v25, v27
	v_cvt_f32_i32_dpp v28, v28 row_bcast:15 row_mask:0xf bank_mask:0xf bound_ctrl:1
	v_cvt_f32_i32_dpp v31, v31 row_shr:4 row_mask:0xf bank_mask:0xf bound_ctrl:1
	v_cvt_i32_f32_e32 v32, v25
	v_mov_b32_dpp v27, v30 row_bcast:31 row_mask:0xf bank_mask:0xf bound_ctrl:1
	v_add_f32_e32 v24, v24, v28
	v_add_f32_e32 v28, v29, v31
	v_cvt_f32_i32_dpp v30, v32 row_shr:1 row_mask:0xf bank_mask:0xf bound_ctrl:1
	v_cvt_i32_f32_e32 v29, v28
	v_cvt_i32_f32_e32 v32, v24
	v_add_f32_e32 v25, v25, v30
	v_cvt_i32_f32_e32 v30, v69
	v_cvt_f32_i32_dpp v29, v29 row_shr:2 row_mask:0xf bank_mask:0xf bound_ctrl:1
	v_cvt_i32_f32_e32 v31, v25
	v_cvt_f32_i32_dpp v30, v30 row_shr:8 row_mask:0xf bank_mask:0xf bound_ctrl:1
	v_add_f32_e32 v29, v28, v29
	v_cvt_i32_f32_e32 v33, v29
	v_cvt_f32_i32_dpp v31, v31 row_bcast:15 row_mask:0xf bank_mask:0xf bound_ctrl:1
	v_add_f32_e32 v30, v69, v30
	v_cvt_i32_f32_e32 v34, v30
	v_mov_b32_dpp v28, v32 row_bcast:31 row_mask:0xf bank_mask:0xf bound_ctrl:1
	v_cvt_f32_i32_dpp v32, v33 row_shr:1 row_mask:0xf bank_mask:0xf bound_ctrl:1
	v_add_f32_e32 v25, v25, v31
	v_cvt_f32_i32_dpp v31, v34 row_shr:4 row_mask:0xf bank_mask:0xf bound_ctrl:1
	v_cvt_i32_f32_e32 v33, v25
	v_add_f32_e32 v29, v29, v32
	v_cvt_i32_f32_e32 v32, v68
	v_add_f32_e32 v31, v30, v31
	v_cvt_i32_f32_e32 v34, v31
	v_cvt_i32_f32_e32 v35, v29
	v_cvt_f32_i32_dpp v32, v32 row_shr:8 row_mask:0xf bank_mask:0xf bound_ctrl:1
	v_mov_b32_dpp v30, v33 row_bcast:31 row_mask:0xf bank_mask:0xf bound_ctrl:1
	v_cvt_f32_i32_dpp v33, v34 row_shr:2 row_mask:0xf bank_mask:0xf bound_ctrl:1
	v_cvt_f32_i32_dpp v34, v35 row_bcast:15 row_mask:0xf bank_mask:0xf bound_ctrl:1
	v_add_f32_e32 v32, v68, v32
	v_cvt_i32_f32_e32 v35, v32
	v_add_f32_e32 v31, v31, v33
	v_cvt_i32_f32_e32 v33, v67
	v_cvt_i32_f32_e32 v36, v31
	v_cvt_f32_i32_dpp v35, v35 row_shr:4 row_mask:0xf bank_mask:0xf bound_ctrl:1
	v_add_f32_e32 v29, v29, v34
	v_cvt_f32_i32_dpp v33, v33 row_shr:8 row_mask:0xf bank_mask:0xf bound_ctrl:1
	v_cvt_f32_i32_dpp v34, v36 row_shr:1 row_mask:0xf bank_mask:0xf bound_ctrl:1
	v_add_f32_e32 v32, v32, v35
	v_cvt_i32_f32_e32 v35, v32
	v_add_f32_e32 v33, v67, v33
	v_cvt_i32_f32_e32 v36, v33
	v_add_f32_e32 v31, v31, v34
	v_cvt_f32_i32_dpp v35, v35 row_shr:2 row_mask:0xf bank_mask:0xf bound_ctrl:1
	v_cvt_i32_f32_e32 v37, v29
	v_cvt_f32_i32_dpp v34, v36 row_shr:4 row_mask:0xf bank_mask:0xf bound_ctrl:1
	v_cvt_i32_f32_e32 v36, v31
	v_add_f32_e32 v32, v32, v35
	v_cvt_i32_f32_e32 v35, v32
	v_add_f32_e32 v33, v33, v34
	v_cvt_i32_f32_e32 v34, v33
	v_cvt_f32_i32_dpp v38, v36 row_bcast:15 row_mask:0xf bank_mask:0xf bound_ctrl:1
	v_cvt_f32_i32_dpp v35, v35 row_shr:1 row_mask:0xf bank_mask:0xf bound_ctrl:1
	v_mov_b32_dpp v36, v37 row_bcast:31 row_mask:0xf bank_mask:0xf bound_ctrl:1
	v_cvt_f32_i32_dpp v34, v34 row_shr:2 row_mask:0xf bank_mask:0xf bound_ctrl:1
	v_add_f32_e32 v31, v31, v38
	v_add_f32_e32 v32, v32, v35
	v_cvt_i32_f32_e32 v35, v53
	v_add_f32_e32 v33, v33, v34
	v_cvt_i32_f32_e32 v34, v33
	v_cvt_i32_f32_e32 v37, v32
	v_cvt_f32_i32_dpp v35, v35 row_shr:8 row_mask:0xf bank_mask:0xf bound_ctrl:1
	v_cvt_i32_f32_e32 v38, v31
	v_cvt_f32_i32_dpp v34, v34 row_shr:1 row_mask:0xf bank_mask:0xf bound_ctrl:1
	v_cvt_f32_i32_dpp v37, v37 row_bcast:15 row_mask:0xf bank_mask:0xf bound_ctrl:1
	v_add_f32_e32 v35, v53, v35
	v_cvt_i32_f32_e32 v39, v35
	v_add_f32_e32 v33, v33, v34
	v_cvt_i32_f32_e32 v34, v33
	v_add_f32_e32 v32, v32, v37
	v_cvt_f32_i32_dpp v39, v39 row_shr:4 row_mask:0xf bank_mask:0xf bound_ctrl:1
	v_cvt_i32_f32_e32 v37, v51
	v_cvt_f32_i32_dpp v34, v34 row_bcast:15 row_mask:0xf bank_mask:0xf bound_ctrl:1
	v_cvt_i32_f32_e32 v40, v32
	v_add_f32_e32 v35, v35, v39
	v_cvt_i32_f32_e32 v39, v35
	v_cvt_f32_i32_dpp v37, v37 row_shr:8 row_mask:0xf bank_mask:0xf bound_ctrl:1
	v_add_f32_e32 v33, v33, v34
	v_mov_b32_dpp v38, v38 row_bcast:31 row_mask:0xf bank_mask:0xf bound_ctrl:1
	v_cvt_f32_i32_dpp v34, v39 row_shr:2 row_mask:0xf bank_mask:0xf bound_ctrl:1
	v_add_f32_e32 v37, v51, v37
	v_cvt_i32_f32_e32 v41, v37
	v_cvt_i32_f32_e32 v39, v33
	v_add_f32_e32 v34, v35, v34
	v_cvt_i32_f32_e32 v44, v34
	v_cvt_f32_i32_dpp v41, v41 row_shr:4 row_mask:0xf bank_mask:0xf bound_ctrl:1
	v_mov_b32_dpp v35, v39 row_bcast:31 row_mask:0xf bank_mask:0xf bound_ctrl:1
	v_mov_b32_dpp v40, v40 row_bcast:31 row_mask:0xf bank_mask:0xf bound_ctrl:1
	v_cvt_f32_i32_dpp v39, v44 row_shr:1 row_mask:0xf bank_mask:0xf bound_ctrl:1
	v_cvt_i32_f32_e32 v44, v49
	v_add_f32_e32 v37, v37, v41
	v_cvt_i32_f32_e32 v41, v43
	v_add_f32_e32 v34, v34, v39
	v_cvt_f32_i32_dpp v44, v44 row_shr:8 row_mask:0xf bank_mask:0xf bound_ctrl:1
	v_cvt_i32_f32_e32 v51, v37
	v_cvt_f32_i32_dpp v39, v41 row_shr:8 row_mask:0xf bank_mask:0xf bound_ctrl:1
	v_add_f32_e32 v44, v49, v44
	v_cvt_f32_i32_dpp v41, v51 row_shr:2 row_mask:0xf bank_mask:0xf bound_ctrl:1
	v_add_f32_e32 v39, v43, v39
	v_cvt_i32_f32_e32 v49, v44
	v_cvt_i32_f32_e32 v43, v39
	v_add_f32_e32 v37, v37, v41
	v_cvt_i32_f32_e32 v51, v34
	v_cvt_f32_i32_dpp v49, v49 row_shr:4 row_mask:0xf bank_mask:0xf bound_ctrl:1
	v_cvt_f32_i32_dpp v41, v43 row_shr:4 row_mask:0xf bank_mask:0xf bound_ctrl:1
	v_cvt_i32_f32_e32 v43, v37
	v_cvt_f32_i32_dpp v51, v51 row_bcast:15 row_mask:0xf bank_mask:0xf bound_ctrl:1
	v_add_f32_e32 v44, v44, v49
	v_add_f32_e32 v39, v39, v41
	v_cvt_i32_f32_e32 v49, v44
	v_cvt_i32_f32_e32 v41, v39
	v_cvt_f32_i32_dpp v43, v43 row_shr:1 row_mask:0xf bank_mask:0xf bound_ctrl:1
	v_add_f32_e32 v55, v34, v51
	v_cvt_f32_i32_dpp v49, v49 row_shr:2 row_mask:0xf bank_mask:0xf bound_ctrl:1
	v_cvt_f32_i32_dpp v41, v41 row_shr:2 row_mask:0xf bank_mask:0xf bound_ctrl:1
	v_add_f32_e32 v37, v37, v43
	v_add_f32_e32 v43, v44, v49
	;; [unrolled: 1-line block ×3, first 2 shown]
	v_cvt_i32_f32_e32 v44, v43
	v_cvt_i32_f32_e32 v41, v39
	;; [unrolled: 1-line block ×3, first 2 shown]
	v_cvt_f32_i32_dpp v44, v44 row_shr:1 row_mask:0xf bank_mask:0xf bound_ctrl:1
	v_cvt_f32_i32_dpp v34, v41 row_shr:1 row_mask:0xf bank_mask:0xf bound_ctrl:1
	v_cvt_f32_i32_dpp v41, v49 row_bcast:15 row_mask:0xf bank_mask:0xf bound_ctrl:1
	v_cvt_i32_f32_e32 v49, v55
	v_add_f32_e32 v43, v43, v44
	v_add_f32_e32 v34, v39, v34
	v_cvt_i32_f32_e32 v44, v43
	v_cvt_i32_f32_e32 v39, v34
	v_add_f32_e32 v54, v37, v41
	v_cvt_i32_f32_e32 v41, v54
	v_cvt_f32_i32_dpp v44, v44 row_bcast:15 row_mask:0xf bank_mask:0xf bound_ctrl:1
	v_cvt_f32_i32_dpp v37, v39 row_bcast:15 row_mask:0xf bank_mask:0xf bound_ctrl:1
	v_mov_b32_dpp v57, v49 row_bcast:31 row_mask:0xf bank_mask:0xf bound_ctrl:1
	v_mov_b32_dpp v56, v41 row_bcast:31 row_mask:0xf bank_mask:0xf bound_ctrl:1
	v_add_f32_e32 v39, v43, v44
	v_add_f32_e32 v34, v34, v37
	v_cvt_i32_f32_e32 v43, v39
	v_cvt_i32_f32_e32 v37, v34
	s_nop 0
	v_mov_b32_dpp v41, v43 row_bcast:31 row_mask:0xf bank_mask:0xf bound_ctrl:1
	v_mov_b32_dpp v37, v37 row_bcast:31 row_mask:0xf bank_mask:0xf bound_ctrl:1
	s_and_saveexec_b64 s[30:31], s[0:1]
	s_cbranch_execz .LBB138_68
; %bb.45:                               ;   in Loop: Header=BB138_19 Depth=1
	s_andn2_b64 vcc, exec, s[26:27]
	v_mov_b32_e32 v43, 0
	v_mov_b32_e32 v53, 0
	;; [unrolled: 1-line block ×14, first 2 shown]
	s_waitcnt vmcnt(5)
	v_mov_b32_e32 v63, 0
	s_waitcnt vmcnt(4)
	v_mov_b32_e32 v61, 0
	;; [unrolled: 2-line block ×6, first 2 shown]
	s_cbranch_vccnz .LBB138_47
; %bb.46:                               ;   in Loop: Header=BB138_19 Depth=1
	v_mul_hi_u32 v43, v42, v1
	v_mul_lo_u32 v43, v43, s20
	v_sub_u32_e32 v43, v42, v43
	v_subrev_u32_e32 v44, s20, v43
	v_cmp_le_u32_e32 vcc, s20, v43
	v_mov_b32_e32 v71, v45
	v_mov_b32_e32 v61, v45
	v_cndmask_b32_e32 v43, v43, v44, vcc
	v_subrev_u32_e32 v44, s20, v43
	v_cmp_le_u32_e32 vcc, s20, v43
	v_mov_b32_e32 v79, v45
	v_mov_b32_e32 v81, v45
	v_cndmask_b32_e32 v44, v43, v44, vcc
	v_mul_hi_u32 v43, v52, v1
	v_mul_lo_u32 v43, v43, s20
	v_sub_u32_e32 v43, v52, v43
	v_subrev_u32_e32 v49, s20, v43
	v_cmp_le_u32_e32 vcc, s20, v43
	v_add_u32_e32 v70, s38, v44
	v_lshl_add_u64 v[84:85], v[70:71], 1, s[16:17]
	v_cndmask_b32_e32 v43, v43, v49, vcc
	v_subrev_u32_e32 v49, s20, v43
	v_cmp_le_u32_e32 vcc, s20, v43
	v_lshl_add_u64 v[58:59], v[44:45], 1, s[16:17]
	s_nop 0
	v_cndmask_b32_e32 v60, v43, v49, vcc
	v_mul_hi_u32 v43, v50, v1
	v_mul_lo_u32 v43, v43, s20
	v_sub_u32_e32 v43, v50, v43
	v_subrev_u32_e32 v49, s20, v43
	v_cmp_le_u32_e32 vcc, s20, v43
	v_add_u32_e32 v70, s38, v60
	v_lshl_add_u64 v[86:87], v[70:71], 1, s[16:17]
	v_cndmask_b32_e32 v43, v43, v49, vcc
	v_subrev_u32_e32 v49, s20, v43
	v_cmp_le_u32_e32 vcc, s20, v43
	v_lshl_add_u64 v[62:63], v[60:61], 1, s[16:17]
	s_nop 0
	;; [unrolled: 13-line block ×3, first 2 shown]
	v_cndmask_b32_e32 v80, v43, v49, vcc
	v_add_u32_e32 v70, s38, v80
	v_lshl_add_u64 v[82:83], v[80:81], 1, s[16:17]
	v_lshl_add_u64 v[90:91], v[70:71], 1, s[16:17]
	global_load_ushort v43, v[58:59], off
	global_load_ushort v53, v[62:63], off
	;; [unrolled: 1-line block ×8, first 2 shown]
	v_add_u32_e32 v62, s39, v60
	v_mov_b32_e32 v63, v45
	v_lshl_add_u64 v[82:83], v[62:63], 1, s[16:17]
	v_add_u32_e32 v62, s39, v78
	v_lshl_add_u64 v[84:85], v[62:63], 1, s[16:17]
	v_add_u32_e32 v62, s39, v80
	;; [unrolled: 2-line block ×4, first 2 shown]
	v_add_u32_e32 v58, s39, v44
	v_mov_b32_e32 v59, v45
	v_lshl_add_u64 v[90:91], v[62:63], 1, s[16:17]
	v_add_u32_e32 v62, s40, v78
	v_lshl_add_u64 v[58:59], v[58:59], 1, s[16:17]
	v_lshl_add_u64 v[92:93], v[62:63], 1, s[16:17]
	v_add_u32_e32 v62, s40, v80
	v_lshl_add_u64 v[94:95], v[62:63], 1, s[16:17]
	global_load_ushort v74, v[58:59], off
	global_load_ushort v72, v[82:83], off
	;; [unrolled: 1-line block ×8, first 2 shown]
	v_add_u32_e32 v44, s41, v44
	v_lshl_add_u64 v[82:83], v[44:45], 1, s[16:17]
	v_add_u32_e32 v44, s41, v60
	v_lshl_add_u64 v[84:85], v[44:45], 1, s[16:17]
	v_add_u32_e32 v44, s41, v78
	v_lshl_add_u64 v[78:79], v[44:45], 1, s[16:17]
	v_add_u32_e32 v44, s41, v80
	v_lshl_add_u64 v[80:81], v[44:45], 1, s[16:17]
	global_load_ushort v62, v[82:83], off
	global_load_ushort v60, v[84:85], off
	;; [unrolled: 1-line block ×4, first 2 shown]
.LBB138_47:                             ;   in Loop: Header=BB138_19 Depth=1
	v_cmp_ne_u32_e32 vcc, 0, v2
	s_and_saveexec_b64 s[4:5], vcc
	s_cbranch_execnz .LBB138_73
; %bb.48:                               ;   in Loop: Header=BB138_19 Depth=1
	s_or_b64 exec, exec, s[4:5]
	v_cmp_ne_u32_e64 s[4:5], 0, v3
	s_and_saveexec_b64 s[6:7], s[4:5]
	s_cbranch_execnz .LBB138_74
.LBB138_49:                             ;   in Loop: Header=BB138_19 Depth=1
	s_or_b64 exec, exec, s[6:7]
	v_cmp_ne_u32_e64 s[6:7], 0, v4
	s_and_saveexec_b64 s[8:9], s[6:7]
	s_cbranch_execnz .LBB138_75
.LBB138_50:                             ;   in Loop: Header=BB138_19 Depth=1
	s_or_b64 exec, exec, s[8:9]
	v_cmp_ne_u32_e64 s[8:9], 0, v5
	s_and_saveexec_b64 s[34:35], s[8:9]
	s_cbranch_execnz .LBB138_76
.LBB138_51:                             ;   in Loop: Header=BB138_19 Depth=1
	s_or_b64 exec, exec, s[34:35]
	v_add_u32_e32 v44, s15, v42
	s_and_saveexec_b64 s[34:35], vcc
	s_cbranch_execnz .LBB138_77
.LBB138_52:                             ;   in Loop: Header=BB138_19 Depth=1
	s_or_b64 exec, exec, s[34:35]
	s_and_saveexec_b64 s[34:35], s[4:5]
	s_cbranch_execnz .LBB138_78
.LBB138_53:                             ;   in Loop: Header=BB138_19 Depth=1
	s_or_b64 exec, exec, s[34:35]
	s_and_saveexec_b64 s[34:35], s[6:7]
	s_cbranch_execnz .LBB138_79
.LBB138_54:                             ;   in Loop: Header=BB138_19 Depth=1
	s_or_b64 exec, exec, s[34:35]
	s_and_saveexec_b64 s[34:35], s[8:9]
	s_cbranch_execnz .LBB138_80
.LBB138_55:                             ;   in Loop: Header=BB138_19 Depth=1
	s_or_b64 exec, exec, s[34:35]
	v_add_u32_e32 v44, s15, v44
	s_and_saveexec_b64 s[34:35], vcc
	s_cbranch_execnz .LBB138_81
.LBB138_56:                             ;   in Loop: Header=BB138_19 Depth=1
	s_or_b64 exec, exec, s[34:35]
	s_and_saveexec_b64 s[34:35], s[4:5]
	s_cbranch_execnz .LBB138_82
.LBB138_57:                             ;   in Loop: Header=BB138_19 Depth=1
	s_or_b64 exec, exec, s[34:35]
	s_and_saveexec_b64 s[34:35], s[6:7]
	s_cbranch_execnz .LBB138_83
.LBB138_58:                             ;   in Loop: Header=BB138_19 Depth=1
	s_or_b64 exec, exec, s[34:35]
	s_and_saveexec_b64 s[34:35], s[8:9]
	s_cbranch_execnz .LBB138_84
.LBB138_59:                             ;   in Loop: Header=BB138_19 Depth=1
	s_or_b64 exec, exec, s[34:35]
	v_add_u32_e32 v44, s15, v44
	s_and_saveexec_b64 s[34:35], vcc
	s_cbranch_execnz .LBB138_85
.LBB138_60:                             ;   in Loop: Header=BB138_19 Depth=1
	s_or_b64 exec, exec, s[34:35]
	s_and_saveexec_b64 s[34:35], s[4:5]
	s_cbranch_execnz .LBB138_86
.LBB138_61:                             ;   in Loop: Header=BB138_19 Depth=1
	s_or_b64 exec, exec, s[34:35]
	s_and_saveexec_b64 s[34:35], s[6:7]
	s_cbranch_execnz .LBB138_87
.LBB138_62:                             ;   in Loop: Header=BB138_19 Depth=1
	s_or_b64 exec, exec, s[34:35]
	s_and_saveexec_b64 s[34:35], s[8:9]
	s_cbranch_execnz .LBB138_88
.LBB138_63:                             ;   in Loop: Header=BB138_19 Depth=1
	s_or_b64 exec, exec, s[34:35]
	v_add_u32_e32 v44, s15, v44
	s_and_saveexec_b64 s[34:35], vcc
	s_cbranch_execnz .LBB138_89
.LBB138_64:                             ;   in Loop: Header=BB138_19 Depth=1
	s_or_b64 exec, exec, s[34:35]
	s_and_saveexec_b64 s[34:35], s[4:5]
	s_cbranch_execnz .LBB138_90
.LBB138_65:                             ;   in Loop: Header=BB138_19 Depth=1
	s_or_b64 exec, exec, s[34:35]
	s_and_saveexec_b64 s[4:5], s[6:7]
	s_cbranch_execnz .LBB138_91
.LBB138_66:                             ;   in Loop: Header=BB138_19 Depth=1
	s_or_b64 exec, exec, s[4:5]
	s_and_b64 exec, exec, s[8:9]
	s_cbranch_execz .LBB138_68
.LBB138_67:                             ;   in Loop: Header=BB138_19 Depth=1
	v_cvt_f32_i32_e32 v6, v37
	s_waitcnt vmcnt(0)
	v_cvt_f32_f16_e32 v7, v58
	v_add_u32_e32 v44, 3, v44
	v_add_f32_e32 v6, v34, v6
	v_add_f32_e32 v6, v6, v7
	v_cvt_f16_f32_e32 v8, v6
	v_lshl_add_u64 v[6:7], v[44:45], 1, s[18:19]
	global_store_short v[6:7], v8, off
.LBB138_68:                             ;   in Loop: Header=BB138_19 Depth=1
	s_or_b64 exec, exec, s[30:31]
	v_add_u32_e32 v42, s37, v42
	v_add_u32_e32 v6, 4, v42
	v_cmp_gt_u32_e32 vcc, s15, v42
	v_cmp_le_u32_e64 s[4:5], s15, v6
	s_and_b64 s[4:5], vcc, s[4:5]
	s_and_saveexec_b64 s[6:7], s[4:5]
	s_cbranch_execz .LBB138_18
; %bb.69:                               ;   in Loop: Header=BB138_19 Depth=1
	v_cmp_ne_u32_e32 vcc, s21, v42
	s_and_saveexec_b64 s[8:9], vcc
	s_cbranch_execz .LBB138_17
; %bb.70:                               ;   in Loop: Header=BB138_19 Depth=1
	v_subrev_u32_e32 v6, s21, v42
	v_cmp_lt_u32_e32 vcc, 1, v6
	s_mov_b64 s[30:31], 0
	s_mov_b64 s[34:35], 0
	v_cndmask_b32_e32 v6, 1, v6, vcc
.LBB138_71:                             ;   Parent Loop BB138_19 Depth=1
                                        ; =>  This Inner Loop Header: Depth=2
	s_cmp_lg_u32 s34, 3
	s_cselect_b64 vcc, -1, 0
	s_cmp_lg_u32 s34, 2
	v_cndmask_b32_e32 v5, 0, v5, vcc
	s_cselect_b64 vcc, -1, 0
	s_cmp_lg_u32 s34, 1
	v_cndmask_b32_e32 v4, 0, v4, vcc
	;; [unrolled: 3-line block ×3, first 2 shown]
	s_cselect_b64 vcc, -1, 0
	s_add_u32 s34, s34, 1
	s_addc_u32 s35, s35, 0
	v_cmp_eq_u32_e64 s[4:5], s34, v6
	s_or_b64 s[30:31], s[4:5], s[30:31]
	v_cndmask_b32_e32 v2, 0, v2, vcc
	s_andn2_b64 exec, exec, s[30:31]
	s_cbranch_execnz .LBB138_71
; %bb.72:                               ;   in Loop: Header=BB138_19 Depth=1
	s_or_b64 exec, exec, s[30:31]
	s_branch .LBB138_17
.LBB138_73:                             ;   in Loop: Header=BB138_19 Depth=1
	v_cvt_f32_i32_e32 v11, v11
	s_waitcnt vmcnt(19)
	v_cvt_f32_f16_e32 v43, v43
	v_add_f32_e32 v8, v8, v11
	v_add_f32_e32 v8, v8, v43
	v_cvt_f16_f32_e32 v8, v8
	v_mov_b32_e32 v43, v45
	v_lshl_add_u64 v[78:79], v[42:43], 1, s[18:19]
	global_store_short v[78:79], v8, off
	s_or_b64 exec, exec, s[4:5]
	v_cmp_ne_u32_e64 s[4:5], 0, v3
	s_and_saveexec_b64 s[6:7], s[4:5]
	s_cbranch_execz .LBB138_49
.LBB138_74:                             ;   in Loop: Header=BB138_19 Depth=1
	v_cvt_f32_i32_e32 v8, v10
	s_waitcnt vmcnt(18)
	v_cvt_f32_f16_e32 v10, v53
	v_mov_b32_e32 v53, v45
	v_add_f32_e32 v6, v6, v8
	v_add_f32_e32 v6, v6, v10
	v_cvt_f16_f32_e32 v6, v6
	v_lshl_add_u64 v[10:11], v[52:53], 1, s[18:19]
	global_store_short v[10:11], v6, off
	s_or_b64 exec, exec, s[6:7]
	v_cmp_ne_u32_e64 s[6:7], 0, v4
	s_and_saveexec_b64 s[8:9], s[6:7]
	s_cbranch_execz .LBB138_50
.LBB138_75:                             ;   in Loop: Header=BB138_19 Depth=1
	v_cvt_f32_i32_e32 v6, v13
	s_waitcnt vmcnt(17)
	v_cvt_f32_f16_e32 v8, v51
	v_mov_b32_e32 v51, v45
	v_add_f32_e32 v6, v7, v6
	v_add_f32_e32 v6, v6, v8
	v_cvt_f16_f32_e32 v8, v6
	v_lshl_add_u64 v[6:7], v[50:51], 1, s[18:19]
	global_store_short v[6:7], v8, off
	s_or_b64 exec, exec, s[8:9]
	v_cmp_ne_u32_e64 s[8:9], 0, v5
	s_and_saveexec_b64 s[34:35], s[8:9]
	s_cbranch_execz .LBB138_51
.LBB138_76:                             ;   in Loop: Header=BB138_19 Depth=1
	v_cvt_f32_i32_e32 v6, v16
	s_waitcnt vmcnt(16)
	v_cvt_f32_f16_e32 v7, v49
	v_mov_b32_e32 v49, v45
	v_add_f32_e32 v6, v9, v6
	v_add_f32_e32 v6, v6, v7
	v_cvt_f16_f32_e32 v8, v6
	v_lshl_add_u64 v[6:7], v[48:49], 1, s[18:19]
	global_store_short v[6:7], v8, off
	s_or_b64 exec, exec, s[34:35]
	v_add_u32_e32 v44, s15, v42
	s_and_saveexec_b64 s[34:35], vcc
	s_cbranch_execz .LBB138_52
.LBB138_77:                             ;   in Loop: Header=BB138_19 Depth=1
	v_cvt_f32_i32_e32 v6, v17
	s_waitcnt vmcnt(15)
	v_cvt_f32_f16_e32 v7, v76
	v_add_f32_e32 v6, v12, v6
	v_add_f32_e32 v6, v6, v7
	v_cvt_f16_f32_e32 v8, v6
	v_lshl_add_u64 v[6:7], v[44:45], 1, s[18:19]
	global_store_short v[6:7], v8, off
	s_or_b64 exec, exec, s[34:35]
	s_and_saveexec_b64 s[34:35], s[4:5]
	s_cbranch_execz .LBB138_53
.LBB138_78:                             ;   in Loop: Header=BB138_19 Depth=1
	v_cvt_f32_i32_e32 v6, v19
	s_waitcnt vmcnt(14)
	v_cvt_f32_f16_e32 v7, v75
	v_add_f32_e32 v6, v14, v6
	v_add_f32_e32 v6, v6, v7
	v_cvt_f16_f32_e32 v8, v6
	v_add_u32_e32 v6, 1, v44
	v_mov_b32_e32 v7, v45
	v_lshl_add_u64 v[6:7], v[6:7], 1, s[18:19]
	global_store_short v[6:7], v8, off
	s_or_b64 exec, exec, s[34:35]
	s_and_saveexec_b64 s[34:35], s[6:7]
	s_cbranch_execz .LBB138_54
.LBB138_79:                             ;   in Loop: Header=BB138_19 Depth=1
	v_cvt_f32_i32_e32 v6, v21
	s_waitcnt vmcnt(13)
	v_cvt_f32_f16_e32 v7, v73
	v_add_f32_e32 v6, v15, v6
	v_add_f32_e32 v6, v6, v7
	v_cvt_f16_f32_e32 v8, v6
	v_add_u32_e32 v6, 2, v44
	v_mov_b32_e32 v7, v45
	v_lshl_add_u64 v[6:7], v[6:7], 1, s[18:19]
	global_store_short v[6:7], v8, off
	s_or_b64 exec, exec, s[34:35]
	s_and_saveexec_b64 s[34:35], s[8:9]
	s_cbranch_execz .LBB138_55
.LBB138_80:                             ;   in Loop: Header=BB138_19 Depth=1
	v_cvt_f32_i32_e32 v6, v23
	s_waitcnt vmcnt(12)
	v_cvt_f32_f16_e32 v7, v71
	v_add_f32_e32 v6, v18, v6
	v_add_f32_e32 v6, v6, v7
	v_cvt_f16_f32_e32 v8, v6
	v_add_u32_e32 v6, 3, v44
	v_mov_b32_e32 v7, v45
	v_lshl_add_u64 v[6:7], v[6:7], 1, s[18:19]
	global_store_short v[6:7], v8, off
	s_or_b64 exec, exec, s[34:35]
	v_add_u32_e32 v44, s15, v44
	s_and_saveexec_b64 s[34:35], vcc
	s_cbranch_execz .LBB138_56
.LBB138_81:                             ;   in Loop: Header=BB138_19 Depth=1
	v_cvt_f32_i32_e32 v6, v26
	s_waitcnt vmcnt(11)
	v_cvt_f32_f16_e32 v7, v74
	v_add_f32_e32 v6, v20, v6
	v_add_f32_e32 v6, v6, v7
	v_cvt_f16_f32_e32 v8, v6
	v_lshl_add_u64 v[6:7], v[44:45], 1, s[18:19]
	global_store_short v[6:7], v8, off
	s_or_b64 exec, exec, s[34:35]
	s_and_saveexec_b64 s[34:35], s[4:5]
	s_cbranch_execz .LBB138_57
.LBB138_82:                             ;   in Loop: Header=BB138_19 Depth=1
	v_cvt_f32_i32_e32 v6, v27
	s_waitcnt vmcnt(10)
	v_cvt_f32_f16_e32 v7, v72
	v_add_f32_e32 v6, v22, v6
	v_add_f32_e32 v6, v6, v7
	v_cvt_f16_f32_e32 v8, v6
	v_add_u32_e32 v6, 1, v44
	v_mov_b32_e32 v7, v45
	v_lshl_add_u64 v[6:7], v[6:7], 1, s[18:19]
	global_store_short v[6:7], v8, off
	s_or_b64 exec, exec, s[34:35]
	s_and_saveexec_b64 s[34:35], s[6:7]
	s_cbranch_execz .LBB138_58
.LBB138_83:                             ;   in Loop: Header=BB138_19 Depth=1
	v_cvt_f32_i32_e32 v6, v28
	s_waitcnt vmcnt(9)
	v_cvt_f32_f16_e32 v7, v70
	v_add_f32_e32 v6, v24, v6
	v_add_f32_e32 v6, v6, v7
	v_cvt_f16_f32_e32 v8, v6
	v_add_u32_e32 v6, 2, v44
	v_mov_b32_e32 v7, v45
	v_lshl_add_u64 v[6:7], v[6:7], 1, s[18:19]
	global_store_short v[6:7], v8, off
	s_or_b64 exec, exec, s[34:35]
	s_and_saveexec_b64 s[34:35], s[8:9]
	s_cbranch_execz .LBB138_59
.LBB138_84:                             ;   in Loop: Header=BB138_19 Depth=1
	v_cvt_f32_i32_e32 v6, v30
	s_waitcnt vmcnt(8)
	v_cvt_f32_f16_e32 v7, v69
	v_add_f32_e32 v6, v25, v6
	v_add_f32_e32 v6, v6, v7
	v_cvt_f16_f32_e32 v8, v6
	v_add_u32_e32 v6, 3, v44
	v_mov_b32_e32 v7, v45
	v_lshl_add_u64 v[6:7], v[6:7], 1, s[18:19]
	global_store_short v[6:7], v8, off
	s_or_b64 exec, exec, s[34:35]
	v_add_u32_e32 v44, s15, v44
	s_and_saveexec_b64 s[34:35], vcc
	s_cbranch_execz .LBB138_60
.LBB138_85:                             ;   in Loop: Header=BB138_19 Depth=1
	v_cvt_f32_i32_e32 v6, v36
	s_waitcnt vmcnt(7)
	v_cvt_f32_f16_e32 v7, v68
	v_add_f32_e32 v6, v29, v6
	v_add_f32_e32 v6, v6, v7
	v_cvt_f16_f32_e32 v8, v6
	v_lshl_add_u64 v[6:7], v[44:45], 1, s[18:19]
	global_store_short v[6:7], v8, off
	s_or_b64 exec, exec, s[34:35]
	s_and_saveexec_b64 s[34:35], s[4:5]
	s_cbranch_execz .LBB138_61
.LBB138_86:                             ;   in Loop: Header=BB138_19 Depth=1
	v_cvt_f32_i32_e32 v6, v38
	s_waitcnt vmcnt(6)
	v_cvt_f32_f16_e32 v7, v67
	v_add_f32_e32 v6, v31, v6
	v_add_f32_e32 v6, v6, v7
	v_cvt_f16_f32_e32 v8, v6
	v_add_u32_e32 v6, 1, v44
	v_mov_b32_e32 v7, v45
	v_lshl_add_u64 v[6:7], v[6:7], 1, s[18:19]
	global_store_short v[6:7], v8, off
	s_or_b64 exec, exec, s[34:35]
	s_and_saveexec_b64 s[34:35], s[6:7]
	s_cbranch_execz .LBB138_62
.LBB138_87:                             ;   in Loop: Header=BB138_19 Depth=1
	v_cvt_f32_i32_e32 v6, v40
	s_waitcnt vmcnt(5)
	v_cvt_f32_f16_e32 v7, v63
	v_add_f32_e32 v6, v32, v6
	v_add_f32_e32 v6, v6, v7
	v_cvt_f16_f32_e32 v8, v6
	v_add_u32_e32 v6, 2, v44
	v_mov_b32_e32 v7, v45
	v_lshl_add_u64 v[6:7], v[6:7], 1, s[18:19]
	global_store_short v[6:7], v8, off
	s_or_b64 exec, exec, s[34:35]
	s_and_saveexec_b64 s[34:35], s[8:9]
	s_cbranch_execz .LBB138_63
.LBB138_88:                             ;   in Loop: Header=BB138_19 Depth=1
	v_cvt_f32_i32_e32 v6, v35
	s_waitcnt vmcnt(4)
	v_cvt_f32_f16_e32 v7, v61
	v_add_f32_e32 v6, v33, v6
	v_add_f32_e32 v6, v6, v7
	v_cvt_f16_f32_e32 v8, v6
	v_add_u32_e32 v6, 3, v44
	v_mov_b32_e32 v7, v45
	v_lshl_add_u64 v[6:7], v[6:7], 1, s[18:19]
	global_store_short v[6:7], v8, off
	s_or_b64 exec, exec, s[34:35]
	v_add_u32_e32 v44, s15, v44
	s_and_saveexec_b64 s[34:35], vcc
	s_cbranch_execz .LBB138_64
.LBB138_89:                             ;   in Loop: Header=BB138_19 Depth=1
	v_cvt_f32_i32_e32 v6, v57
	s_waitcnt vmcnt(3)
	v_cvt_f32_f16_e32 v7, v62
	v_add_f32_e32 v6, v55, v6
	v_add_f32_e32 v6, v6, v7
	v_cvt_f16_f32_e32 v8, v6
	v_lshl_add_u64 v[6:7], v[44:45], 1, s[18:19]
	global_store_short v[6:7], v8, off
	s_or_b64 exec, exec, s[34:35]
	s_and_saveexec_b64 s[34:35], s[4:5]
	s_cbranch_execz .LBB138_65
.LBB138_90:                             ;   in Loop: Header=BB138_19 Depth=1
	v_cvt_f32_i32_e32 v6, v56
	s_waitcnt vmcnt(2)
	v_cvt_f32_f16_e32 v7, v60
	v_add_f32_e32 v6, v54, v6
	v_add_f32_e32 v6, v6, v7
	v_cvt_f16_f32_e32 v8, v6
	v_add_u32_e32 v6, 1, v44
	v_mov_b32_e32 v7, v45
	v_lshl_add_u64 v[6:7], v[6:7], 1, s[18:19]
	global_store_short v[6:7], v8, off
	s_or_b64 exec, exec, s[34:35]
	s_and_saveexec_b64 s[4:5], s[6:7]
	s_cbranch_execz .LBB138_66
.LBB138_91:                             ;   in Loop: Header=BB138_19 Depth=1
	v_cvt_f32_i32_e32 v6, v41
	s_waitcnt vmcnt(1)
	v_cvt_f32_f16_e32 v7, v59
	v_add_f32_e32 v6, v39, v6
	v_add_f32_e32 v6, v6, v7
	v_cvt_f16_f32_e32 v8, v6
	v_add_u32_e32 v6, 2, v44
	v_mov_b32_e32 v7, v45
	v_lshl_add_u64 v[6:7], v[6:7], 1, s[18:19]
	global_store_short v[6:7], v8, off
	s_or_b64 exec, exec, s[4:5]
	s_and_b64 exec, exec, s[8:9]
	s_cbranch_execnz .LBB138_67
	s_branch .LBB138_68
.LBB138_92:
	s_endpgm
	.section	.rodata,"a",@progbits
	.p2align	6, 0x0
	.amdhsa_kernel _Z12wvSplitK_hf_I6__halfLi32ELi4ELi16ELi8ELi1ELi5EEviiiiiiPKT_S3_S3_PS1_ii
		.amdhsa_group_segment_fixed_size 65536
		.amdhsa_private_segment_fixed_size 0
		.amdhsa_kernarg_size 64
		.amdhsa_user_sgpr_count 2
		.amdhsa_user_sgpr_dispatch_ptr 0
		.amdhsa_user_sgpr_queue_ptr 0
		.amdhsa_user_sgpr_kernarg_segment_ptr 1
		.amdhsa_user_sgpr_dispatch_id 0
		.amdhsa_user_sgpr_kernarg_preload_length 0
		.amdhsa_user_sgpr_kernarg_preload_offset 0
		.amdhsa_user_sgpr_private_segment_size 0
		.amdhsa_uses_dynamic_stack 0
		.amdhsa_enable_private_segment 0
		.amdhsa_system_sgpr_workgroup_id_x 1
		.amdhsa_system_sgpr_workgroup_id_y 0
		.amdhsa_system_sgpr_workgroup_id_z 0
		.amdhsa_system_sgpr_workgroup_info 0
		.amdhsa_system_vgpr_workitem_id 1
		.amdhsa_next_free_vgpr 96
		.amdhsa_next_free_sgpr 46
		.amdhsa_accum_offset 96
		.amdhsa_reserve_vcc 1
		.amdhsa_float_round_mode_32 0
		.amdhsa_float_round_mode_16_64 0
		.amdhsa_float_denorm_mode_32 3
		.amdhsa_float_denorm_mode_16_64 3
		.amdhsa_dx10_clamp 1
		.amdhsa_ieee_mode 1
		.amdhsa_fp16_overflow 0
		.amdhsa_tg_split 0
		.amdhsa_exception_fp_ieee_invalid_op 0
		.amdhsa_exception_fp_denorm_src 0
		.amdhsa_exception_fp_ieee_div_zero 0
		.amdhsa_exception_fp_ieee_overflow 0
		.amdhsa_exception_fp_ieee_underflow 0
		.amdhsa_exception_fp_ieee_inexact 0
		.amdhsa_exception_int_div_zero 0
	.end_amdhsa_kernel
	.section	.text._Z12wvSplitK_hf_I6__halfLi32ELi4ELi16ELi8ELi1ELi5EEviiiiiiPKT_S3_S3_PS1_ii,"axG",@progbits,_Z12wvSplitK_hf_I6__halfLi32ELi4ELi16ELi8ELi1ELi5EEviiiiiiPKT_S3_S3_PS1_ii,comdat
.Lfunc_end138:
	.size	_Z12wvSplitK_hf_I6__halfLi32ELi4ELi16ELi8ELi1ELi5EEviiiiiiPKT_S3_S3_PS1_ii, .Lfunc_end138-_Z12wvSplitK_hf_I6__halfLi32ELi4ELi16ELi8ELi1ELi5EEviiiiiiPKT_S3_S3_PS1_ii
                                        ; -- End function
	.section	.AMDGPU.csdata,"",@progbits
; Kernel info:
; codeLenInByte = 6776
; NumSgprs: 52
; NumVgprs: 96
; NumAgprs: 0
; TotalNumVgprs: 96
; ScratchSize: 0
; MemoryBound: 1
; FloatMode: 240
; IeeeMode: 1
; LDSByteSize: 65536 bytes/workgroup (compile time only)
; SGPRBlocks: 6
; VGPRBlocks: 11
; NumSGPRsForWavesPerEU: 52
; NumVGPRsForWavesPerEU: 96
; AccumOffset: 96
; Occupancy: 2
; WaveLimiterHint : 0
; COMPUTE_PGM_RSRC2:SCRATCH_EN: 0
; COMPUTE_PGM_RSRC2:USER_SGPR: 2
; COMPUTE_PGM_RSRC2:TRAP_HANDLER: 0
; COMPUTE_PGM_RSRC2:TGID_X_EN: 1
; COMPUTE_PGM_RSRC2:TGID_Y_EN: 0
; COMPUTE_PGM_RSRC2:TGID_Z_EN: 0
; COMPUTE_PGM_RSRC2:TIDIG_COMP_CNT: 1
; COMPUTE_PGM_RSRC3_GFX90A:ACCUM_OFFSET: 23
; COMPUTE_PGM_RSRC3_GFX90A:TG_SPLIT: 0
	.section	.text._Z16wvSplitK_hf_big_I6__halfLi32ELi4ELi16ELi8ELi1ELi5EEviiiiiiPKT_S3_S3_PS1_ii,"axG",@progbits,_Z16wvSplitK_hf_big_I6__halfLi32ELi4ELi16ELi8ELi1ELi5EEviiiiiiPKT_S3_S3_PS1_ii,comdat
	.protected	_Z16wvSplitK_hf_big_I6__halfLi32ELi4ELi16ELi8ELi1ELi5EEviiiiiiPKT_S3_S3_PS1_ii ; -- Begin function _Z16wvSplitK_hf_big_I6__halfLi32ELi4ELi16ELi8ELi1ELi5EEviiiiiiPKT_S3_S3_PS1_ii
	.globl	_Z16wvSplitK_hf_big_I6__halfLi32ELi4ELi16ELi8ELi1ELi5EEviiiiiiPKT_S3_S3_PS1_ii
	.p2align	8
	.type	_Z16wvSplitK_hf_big_I6__halfLi32ELi4ELi16ELi8ELi1ELi5EEviiiiiiPKT_S3_S3_PS1_ii,@function
_Z16wvSplitK_hf_big_I6__halfLi32ELi4ELi16ELi8ELi1ELi5EEviiiiiiPKT_S3_S3_PS1_ii: ; @_Z16wvSplitK_hf_big_I6__halfLi32ELi4ELi16ELi8ELi1ELi5EEviiiiiiPKT_S3_S3_PS1_ii
; %bb.0:
	s_load_dwordx2 s[8:9], s[0:1], 0x38
	v_bfe_u32 v7, v0, 10, 10
	s_waitcnt lgkmcnt(0)
	v_cmp_gt_u32_e32 vcc, s8, v7
	s_and_saveexec_b64 s[4:5], vcc
	s_cbranch_execz .LBB139_78
; %bb.1:
	s_load_dwordx4 s[20:23], s[0:1], 0x0
	s_mul_i32 s2, s2, s8
	v_add_lshl_u32 v42, s2, v7, 2
	s_mov_b32 s4, 1
	v_add_u32_e32 v1, 4, v42
	s_mov_b32 s5, s4
	s_waitcnt lgkmcnt(0)
	v_cmp_gt_u32_e32 vcc, s23, v42
	v_cmp_le_u32_e64 s[2:3], s23, v1
	s_mov_b32 s6, s4
	s_mov_b32 s7, s4
	v_mov_b64_e32 v[2:3], s[4:5]
	s_and_b64 s[10:11], vcc, s[2:3]
	v_mov_b64_e32 v[4:5], s[6:7]
	s_and_saveexec_b64 s[2:3], s[10:11]
	s_cbranch_execz .LBB139_7
; %bb.2:
	s_add_i32 s16, s23, -4
	v_mov_b64_e32 v[2:3], s[4:5]
	v_cmp_ne_u32_e32 vcc, s16, v42
	v_mov_b64_e32 v[4:5], s[6:7]
	s_and_saveexec_b64 s[10:11], vcc
	s_cbranch_execz .LBB139_6
; %bb.3:
	v_subrev_u32_e32 v1, s16, v42
	v_cmp_lt_u32_e32 vcc, 1, v1
	s_mov_b64 s[12:13], 0
	s_mov_b64 s[14:15], 0
	v_cndmask_b32_e32 v6, 1, v1, vcc
	s_mov_b32 s5, s4
	s_mov_b32 s6, s4
	;; [unrolled: 1-line block ×3, first 2 shown]
.LBB139_4:                              ; =>This Inner Loop Header: Depth=1
	s_cmp_lg_u32 s14, 3
	s_cselect_b32 s7, s7, 0
	s_cmp_lg_u32 s14, 2
	s_cselect_b32 s6, s6, 0
	;; [unrolled: 2-line block ×4, first 2 shown]
	s_add_u32 s14, s14, 1
	s_addc_u32 s15, s15, 0
	v_cmp_eq_u32_e32 vcc, s14, v6
	v_mov_b64_e32 v[2:3], s[4:5]
	s_or_b64 s[12:13], vcc, s[12:13]
	v_mov_b64_e32 v[4:5], s[6:7]
	s_andn2_b64 exec, exec, s[12:13]
	s_cbranch_execnz .LBB139_4
; %bb.5:
	s_or_b64 exec, exec, s[12:13]
	v_mov_b32_e32 v42, s16
.LBB139_6:
	s_or_b64 exec, exec, s[10:11]
.LBB139_7:
	s_or_b64 exec, exec, s[2:3]
	s_lshl_b32 s2, s8, 2
	s_abs_i32 s3, s2
	v_cvt_f32_u32_e32 v1, s3
	s_sub_i32 s6, 0, s3
	s_abs_i32 s5, s23
	s_ashr_i32 s4, s23, 31
	v_rcp_iflag_f32_e32 v1, v1
	s_nop 0
	v_mul_f32_e32 v1, 0x4f7ffffe, v1
	v_cvt_u32_f32_e32 v1, v1
	s_nop 0
	v_readfirstlane_b32 s7, v1
	s_mul_i32 s6, s6, s7
	s_mul_hi_u32 s6, s7, s6
	s_add_i32 s7, s7, s6
	s_mul_hi_u32 s6, s5, s7
	s_mul_i32 s6, s6, s3
	s_sub_i32 s5, s5, s6
	s_sub_i32 s6, s5, s3
	s_cmp_ge_u32 s5, s3
	s_cselect_b32 s5, s6, s5
	s_sub_i32 s6, s5, s3
	s_cmp_ge_u32 s5, s3
	s_cselect_b32 s3, s6, s5
	s_xor_b32 s3, s3, s4
	s_sub_i32 s3, s3, s4
	s_add_i32 s2, s2, s23
	s_sub_i32 s2, s2, s3
	s_cmp_eq_u32 s3, 0
	s_cselect_b32 s33, s23, s2
	v_cmp_gt_u32_e32 vcc, s33, v42
	s_and_b64 exec, exec, vcc
	s_cbranch_execz .LBB139_78
; %bb.8:
	s_load_dwordx8 s[12:19], s[0:1], 0x10
	s_min_u32 s40, s22, 0x1900
	s_cmp_lg_u32 s20, 0
	s_load_dwordx2 s[24:25], s[0:1], 0x30
	s_cselect_b64 s[2:3], -1, 0
	s_cmp_lg_u32 s22, 0
	s_mul_i32 s0, s9, s8
	s_cselect_b64 s[4:5], -1, 0
	s_lshl_b32 s41, s8, 8
	s_add_i32 s42, s20, -8
	s_add_i32 s43, s23, -1
	s_lshl_b32 s44, s0, 2
	s_waitcnt lgkmcnt(0)
	s_cmp_lg_u64 s[18:19], 0
	s_cselect_b64 s[28:29], -1, 0
	s_abs_i32 s6, s13
	v_cvt_f32_u32_e32 v1, s12
	v_cvt_f32_u32_e32 v6, s6
	s_sub_i32 s7, 0, s12
	s_add_i32 s13, s23, -4
	v_rcp_iflag_f32_e32 v1, v1
	v_rcp_iflag_f32_e32 v6, v6
	v_and_b32_e32 v0, 0x3ff, v0
	v_lshlrev_b32_e32 v45, 3, v0
	v_mul_f32_e32 v1, 0x4f7ffffe, v1
	v_mul_f32_e32 v6, 0x4f7ffffe, v6
	v_cvt_u32_f32_e32 v1, v1
	v_cvt_u32_f32_e32 v6, v6
	v_cmp_eq_u32_e64 s[0:1], 31, v0
	v_lshlrev_b32_e32 v0, 4, v0
	v_mul_lo_u32 v8, s7, v1
	s_sub_i32 s7, 0, s6
	v_readfirstlane_b32 s9, v6
	s_mul_i32 s7, s7, s9
	s_mul_hi_u32 s7, s9, s7
	s_add_i32 s9, s9, s7
	s_sub_i32 s7, 1, s6
	s_cmp_lt_u32 s6, 2
	s_cselect_b32 s7, s7, 1
	s_sub_i32 s10, s7, s6
	s_cmp_ge_u32 s7, s6
	s_cselect_b32 s45, s10, s7
	s_lshr_b32 s7, s9, 31
	s_mul_i32 s7, s7, s6
	s_sub_i32 s7, 2, s7
	s_sub_i32 s10, s7, s6
	s_cmp_ge_u32 s7, s6
	s_cselect_b32 s7, s10, s7
	s_sub_i32 s10, s7, s6
	s_cmp_ge_u32 s7, s6
	s_cselect_b32 s46, s10, s7
	s_mul_hi_u32 s7, s9, 3
	s_mul_i32 s7, s7, s6
	s_sub_i32 s7, 3, s7
	s_sub_i32 s10, s7, s6
	s_cmp_ge_u32 s7, s6
	s_cselect_b32 s7, s10, s7
	s_sub_i32 s10, s7, s6
	s_cmp_ge_u32 s7, s6
	s_cselect_b32 s47, s10, s7
	s_lshr_b32 s7, s9, 30
	s_mul_i32 s7, s7, s6
	s_sub_i32 s7, 4, s7
	s_sub_i32 s9, s7, s6
	s_cmp_ge_u32 s7, s6
	s_cselect_b32 s7, s9, s7
	s_sub_i32 s9, s7, s6
	s_cmp_ge_u32 s7, s6
	v_lshl_add_u32 v57, v7, 9, v0
	v_lshl_add_u32 v44, v7, 8, v45
	v_cndmask_b32_e64 v0, 0, 1, s[2:3]
	v_mul_hi_u32 v8, v1, v8
	s_cselect_b32 s48, s9, s7
	s_add_u32 s30, s24, 2
	v_mad_u64_u32 v[46:47], s[6:7], s22, 3, v[44:45]
	v_cmp_ne_u32_e64 s[2:3], 1, v0
	v_cndmask_b32_e64 v0, 0, 1, s[4:5]
	s_mov_b64 s[26:27], 0
	v_add_u32_e32 v56, v1, v8
	v_mov_b32_e32 v1, 0
	s_mul_i32 s45, s45, s12
	s_mul_i32 s46, s46, s12
	;; [unrolled: 1-line block ×4, first 2 shown]
	s_addc_u32 s31, s25, 0
	s_lshl_b32 s49, s40, 3
	s_lshl_b32 s50, s8, 9
	s_mul_i32 s51, s40, 6
	s_lshl_b32 s52, s40, 2
	s_lshl_b32 s53, s40, 1
	v_lshl_add_u32 v58, s22, 1, v44
	v_lshl_add_u32 v47, s22, 2, v44
	v_add_u32_e32 v59, s22, v44
	v_cmp_ne_u32_e64 s[4:5], 1, v0
	s_branch .LBB139_12
.LBB139_9:                              ;   in Loop: Header=BB139_12 Depth=1
	s_or_b64 exec, exec, s[10:11]
	v_mov_b32_e32 v42, s13
.LBB139_10:                             ;   in Loop: Header=BB139_12 Depth=1
	s_or_b64 exec, exec, s[8:9]
.LBB139_11:                             ;   in Loop: Header=BB139_12 Depth=1
	s_or_b64 exec, exec, s[34:35]
	v_cmp_le_u32_e32 vcc, s33, v42
	s_or_b64 s[26:27], vcc, s[26:27]
	s_andn2_b64 exec, exec, s[26:27]
	s_cbranch_execz .LBB139_78
.LBB139_12:                             ; =>This Loop Header: Depth=1
                                        ;     Child Loop BB139_16 Depth 2
                                        ;       Child Loop BB139_21 Depth 3
                                        ;     Child Loop BB139_57 Depth 2
	s_mov_b32 s36, 0
	s_and_b64 vcc, exec, s[2:3]
	v_mov_b32_e32 v78, v1
	v_mov_b32_e32 v77, v1
	s_waitcnt vmcnt(18)
	v_mov_b32_e32 v76, v1
	s_waitcnt vmcnt(17)
	v_mov_b32_e32 v75, v1
	v_mov_b32_e32 v43, v1
	s_waitcnt vmcnt(2)
	v_mov_b32_e32 v60, v1
	v_mov_b32_e32 v61, v1
	;; [unrolled: 1-line block ×15, first 2 shown]
	s_cbranch_vccnz .LBB139_27
; %bb.13:                               ;   in Loop: Header=BB139_12 Depth=1
	v_min_u32_e32 v0, s43, v42
	v_mul_lo_u32 v48, v0, s21
	v_add_u32_e32 v0, 1, v42
	v_min_u32_e32 v0, s43, v0
	v_mul_lo_u32 v50, v0, s21
	v_add_u32_e32 v0, 2, v42
	;; [unrolled: 3-line block ×3, first 2 shown]
	v_min_u32_e32 v0, s43, v0
	v_cmp_gt_u32_e64 s[6:7], s23, v42
	v_mov_b32_e32 v49, v1
	v_mov_b32_e32 v51, v1
	;; [unrolled: 1-line block ×3, first 2 shown]
	s_waitcnt vmcnt(0)
	v_mul_lo_u32 v54, v0, s21
	v_mov_b32_e32 v55, v1
	v_mov_b32_e32 v74, 0
	;; [unrolled: 1-line block ×21, first 2 shown]
	s_mov_b32 s37, 0
	s_branch .LBB139_16
.LBB139_14:                             ;   in Loop: Header=BB139_16 Depth=2
	s_or_b64 exec, exec, s[10:11]
	s_waitcnt vmcnt(3) lgkmcnt(4)
	;;#ASMSTART
	v_dot2c_f32_f16 v78, v38, v18
	;;#ASMEND
	s_waitcnt vmcnt(2)
	;;#ASMSTART
	v_dot2c_f32_f16 v77, v38, v14
	;;#ASMEND
	s_waitcnt vmcnt(1)
	;; [unrolled: 4-line block ×3, first 2 shown]
	;;#ASMSTART
	v_dot2c_f32_f16 v75, v38, v6
	;;#ASMEND
	s_waitcnt lgkmcnt(3)
	;;#ASMSTART
	v_dot2c_f32_f16 v74, v34, v18
	;;#ASMEND
	;;#ASMSTART
	v_dot2c_f32_f16 v73, v34, v14
	;;#ASMEND
	;;#ASMSTART
	v_dot2c_f32_f16 v72, v34, v10
	;;#ASMEND
	;;#ASMSTART
	v_dot2c_f32_f16 v71, v34, v6
	;;#ASMEND
	s_waitcnt lgkmcnt(2)
	;;#ASMSTART
	v_dot2c_f32_f16 v70, v30, v18
	;;#ASMEND
	;;#ASMSTART
	v_dot2c_f32_f16 v69, v30, v14
	;;#ASMEND
	;;#ASMSTART
	v_dot2c_f32_f16 v68, v30, v10
	;;#ASMEND
	;; [unrolled: 13-line block ×4, first 2 shown]
	;;#ASMSTART
	v_dot2c_f32_f16 v43, v22, v6
	;;#ASMEND
	;;#ASMSTART
	v_dot2c_f32_f16 v78, v39, v19
	;;#ASMEND
	;;#ASMSTART
	v_dot2c_f32_f16 v77, v39, v15
	;;#ASMEND
	;;#ASMSTART
	v_dot2c_f32_f16 v76, v39, v11
	;;#ASMEND
	;;#ASMSTART
	v_dot2c_f32_f16 v75, v39, v7
	;;#ASMEND
	;;#ASMSTART
	v_dot2c_f32_f16 v74, v35, v19
	;;#ASMEND
	;;#ASMSTART
	v_dot2c_f32_f16 v73, v35, v15
	;;#ASMEND
	;;#ASMSTART
	v_dot2c_f32_f16 v72, v35, v11
	;;#ASMEND
	;;#ASMSTART
	v_dot2c_f32_f16 v71, v35, v7
	;;#ASMEND
	;;#ASMSTART
	v_dot2c_f32_f16 v70, v31, v19
	;;#ASMEND
	;;#ASMSTART
	v_dot2c_f32_f16 v69, v31, v15
	;;#ASMEND
	;;#ASMSTART
	v_dot2c_f32_f16 v68, v31, v11
	;;#ASMEND
	;;#ASMSTART
	v_dot2c_f32_f16 v67, v31, v7
	;;#ASMEND
	;;#ASMSTART
	v_dot2c_f32_f16 v66, v27, v19
	;;#ASMEND
	;;#ASMSTART
	v_dot2c_f32_f16 v65, v27, v15
	;;#ASMEND
	;;#ASMSTART
	v_dot2c_f32_f16 v64, v27, v11
	;;#ASMEND
	;;#ASMSTART
	v_dot2c_f32_f16 v63, v27, v7
	;;#ASMEND
	s_nop 0
	;;#ASMSTART
	v_dot2c_f32_f16 v62, v23, v19
	;;#ASMEND
	;;#ASMSTART
	v_dot2c_f32_f16 v61, v23, v15
	;;#ASMEND
	;;#ASMSTART
	v_dot2c_f32_f16 v60, v23, v11
	;;#ASMEND
	;;#ASMSTART
	v_dot2c_f32_f16 v43, v23, v7
	;;#ASMEND
	;;#ASMSTART
	v_dot2c_f32_f16 v78, v40, v20
	;;#ASMEND
	;;#ASMSTART
	v_dot2c_f32_f16 v77, v40, v16
	;;#ASMEND
	;;#ASMSTART
	v_dot2c_f32_f16 v76, v40, v12
	;;#ASMEND
	;;#ASMSTART
	v_dot2c_f32_f16 v75, v40, v8
	;;#ASMEND
	;;#ASMSTART
	v_dot2c_f32_f16 v74, v36, v20
	;;#ASMEND
	;;#ASMSTART
	v_dot2c_f32_f16 v73, v36, v16
	;;#ASMEND
	;;#ASMSTART
	v_dot2c_f32_f16 v72, v36, v12
	;;#ASMEND
	;;#ASMSTART
	v_dot2c_f32_f16 v71, v36, v8
	;;#ASMEND
	;;#ASMSTART
	v_dot2c_f32_f16 v70, v32, v20
	;;#ASMEND
	;;#ASMSTART
	v_dot2c_f32_f16 v69, v32, v16
	;;#ASMEND
	;;#ASMSTART
	v_dot2c_f32_f16 v68, v32, v12
	;;#ASMEND
	;;#ASMSTART
	v_dot2c_f32_f16 v67, v32, v8
	;;#ASMEND
	;;#ASMSTART
	v_dot2c_f32_f16 v66, v28, v20
	;;#ASMEND
	;;#ASMSTART
	v_dot2c_f32_f16 v65, v28, v16
	;;#ASMEND
	;;#ASMSTART
	v_dot2c_f32_f16 v64, v28, v12
	;;#ASMEND
	;;#ASMSTART
	v_dot2c_f32_f16 v63, v28, v8
	;;#ASMEND
	s_nop 0
	;;#ASMSTART
	v_dot2c_f32_f16 v62, v24, v20
	;;#ASMEND
	;;#ASMSTART
	v_dot2c_f32_f16 v61, v24, v16
	;;#ASMEND
	;;#ASMSTART
	v_dot2c_f32_f16 v60, v24, v12
	;;#ASMEND
	;; [unrolled: 61-line block ×3, first 2 shown]
	;;#ASMSTART
	v_dot2c_f32_f16 v43, v25, v9
	;;#ASMEND
.LBB139_15:                             ;   in Loop: Header=BB139_16 Depth=2
	s_or_b64 exec, exec, s[8:9]
	s_addk_i32 s37, 0x100
	s_cmp_ge_u32 s37, s20
	s_cbranch_scc1 .LBB139_27
.LBB139_16:                             ;   Parent Loop BB139_12 Depth=1
                                        ; =>  This Loop Header: Depth=2
                                        ;       Child Loop BB139_21 Depth 3
	s_cmp_eq_u32 s37, 0
	s_cselect_b64 s[8:9], -1, 0
	s_add_i32 s10, s36, s40
	s_cmp_eq_u32 s37, s10
	s_cselect_b64 s[34:35], -1, 0
	s_or_b64 s[34:35], s[8:9], s[34:35]
	s_andn2_b64 vcc, exec, s[34:35]
	s_cbranch_vccz .LBB139_18
; %bb.17:                               ;   in Loop: Header=BB139_16 Depth=2
	s_and_saveexec_b64 s[8:9], s[6:7]
	s_cbranch_execz .LBB139_15
	s_branch .LBB139_25
.LBB139_18:                             ;   in Loop: Header=BB139_16 Depth=2
	s_and_b64 s[8:9], s[8:9], exec
	s_cselect_b32 s36, s36, s10
	s_and_b64 vcc, exec, s[4:5]
	s_barrier
	s_cbranch_vccnz .LBB139_24
; %bb.19:                               ;   in Loop: Header=BB139_16 Depth=2
	v_add_u32_e32 v6, s36, v58
	v_add_u32_e32 v7, s36, v46
	;; [unrolled: 1-line block ×5, first 2 shown]
	s_mov_b32 s38, 0
	s_mov_b64 s[10:11], 0
	v_mov_b32_e32 v11, v57
                                        ; implicit-def: $sgpr34_sgpr35
	s_branch .LBB139_21
.LBB139_20:                             ;   in Loop: Header=BB139_21 Depth=3
	s_or_b64 exec, exec, s[8:9]
	s_and_b64 s[8:9], exec, s[34:35]
	s_or_b64 s[10:11], s[8:9], s[10:11]
	s_andn2_b64 exec, exec, s[10:11]
	s_cbranch_execz .LBB139_23
.LBB139_21:                             ;   Parent Loop BB139_12 Depth=1
                                        ;     Parent Loop BB139_16 Depth=2
                                        ; =>    This Inner Loop Header: Depth=3
	v_add_u32_e32 v12, s38, v44
	v_add_u32_e32 v0, s38, v10
	v_cmp_gt_u32_e32 vcc, s22, v0
	v_cmp_gt_u32_e64 s[8:9], s40, v12
	s_and_b64 s[54:55], s[8:9], vcc
	s_or_b64 s[34:35], s[34:35], exec
	s_and_saveexec_b64 s[8:9], s[54:55]
	s_cbranch_execz .LBB139_20
; %bb.22:                               ;   in Loop: Header=BB139_21 Depth=3
	v_lshl_add_u64 v[12:13], v[0:1], 1, s[16:17]
	v_add_u32_e32 v0, s38, v9
	v_lshl_add_u64 v[16:17], v[0:1], 1, s[16:17]
	v_add_u32_e32 v0, s38, v6
	;; [unrolled: 2-line block ×3, first 2 shown]
	v_lshl_add_u64 v[24:25], v[0:1], 1, s[16:17]
	global_load_dwordx4 v[12:15], v[12:13], off
	s_nop 0
	global_load_dwordx4 v[16:19], v[16:17], off
	s_nop 0
	;; [unrolled: 2-line block ×3, first 2 shown]
	global_load_dwordx4 v[24:27], v[24:25], off
	v_add_u32_e32 v0, s38, v8
	v_lshl_add_u64 v[28:29], v[0:1], 1, s[16:17]
	global_load_dwordx4 v[28:31], v[28:29], off
	s_add_i32 s38, s38, s41
	s_cmp_ge_u32 s38, s40
	s_cselect_b64 s[54:55], -1, 0
	s_andn2_b64 s[34:35], s[34:35], exec
	s_and_b64 s[54:55], s[54:55], exec
	v_add_u32_e32 v0, s53, v11
	v_add_u32_e32 v32, s52, v11
	;; [unrolled: 1-line block ×4, first 2 shown]
	s_or_b64 s[34:35], s[34:35], s[54:55]
	s_waitcnt vmcnt(4)
	ds_write_b128 v11, v[12:15]
	v_add_u32_e32 v11, s50, v11
	s_waitcnt vmcnt(3)
	ds_write2_b64 v0, v[16:17], v[18:19] offset1:1
	s_waitcnt vmcnt(2)
	ds_write2_b32 v32, v20, v21 offset1:1
	ds_write2_b32 v32, v22, v23 offset0:2 offset1:3
	s_waitcnt vmcnt(1)
	ds_write2_b64 v33, v[24:25], v[26:27] offset1:1
	s_waitcnt vmcnt(0)
	ds_write2_b64 v34, v[28:29], v[30:31] offset1:1
	s_branch .LBB139_20
.LBB139_23:                             ;   in Loop: Header=BB139_16 Depth=2
	s_or_b64 exec, exec, s[10:11]
.LBB139_24:                             ;   in Loop: Header=BB139_16 Depth=2
	s_waitcnt lgkmcnt(0)
	s_barrier
	s_and_saveexec_b64 s[8:9], s[6:7]
	s_cbranch_execz .LBB139_15
.LBB139_25:                             ;   in Loop: Header=BB139_16 Depth=2
	v_add_u32_e32 v79, s37, v45
	v_min_u32_e32 v0, s42, v79
	v_lshl_add_u64 v[6:7], v[0:1], 1, s[14:15]
	v_lshl_add_u64 v[8:9], v[48:49], 1, v[6:7]
	;; [unrolled: 1-line block ×4, first 2 shown]
	global_load_dwordx4 v[18:21], v[8:9], off nt
	global_load_dwordx4 v[14:17], v[10:11], off nt
	v_lshl_add_u64 v[24:25], v[54:55], 1, v[6:7]
	global_load_dwordx4 v[10:13], v[22:23], off nt
	global_load_dwordx4 v[6:9], v[24:25], off nt
	v_cmp_gt_u32_e32 vcc, s20, v79
	v_mov_b32_e32 v38, 0
	v_mov_b32_e32 v39, 0
	;; [unrolled: 1-line block ×20, first 2 shown]
	s_and_saveexec_b64 s[10:11], vcc
	s_cbranch_execz .LBB139_14
; %bb.26:                               ;   in Loop: Header=BB139_16 Depth=2
	v_subrev_u32_e32 v0, s36, v79
	v_lshlrev_b32_e32 v0, 1, v0
	v_add_u32_e32 v22, s53, v0
	ds_read_b128 v[38:41], v0
	ds_read_b128 v[34:37], v22
	v_add_u32_e32 v0, s53, v22
	v_add_u32_e32 v22, s53, v0
	ds_read_b128 v[30:33], v0
	ds_read_b128 v[26:29], v22
	v_add_u32_e32 v0, s53, v22
	ds_read_b128 v[22:25], v0
	s_branch .LBB139_14
.LBB139_27:                             ;   in Loop: Header=BB139_12 Depth=1
	v_cmp_le_u32_e32 vcc, s23, v42
	s_and_saveexec_b64 s[6:7], vcc
	s_xor_b64 s[6:7], exec, s[6:7]
; %bb.28:                               ;   in Loop: Header=BB139_12 Depth=1
	v_add_u32_e32 v42, s44, v42
                                        ; implicit-def: $vgpr78
                                        ; implicit-def: $vgpr77
                                        ; implicit-def: $vgpr76
                                        ; implicit-def: $vgpr75
                                        ; implicit-def: $vgpr43
                                        ; implicit-def: $vgpr60
                                        ; implicit-def: $vgpr61
                                        ; implicit-def: $vgpr62
                                        ; implicit-def: $vgpr63
                                        ; implicit-def: $vgpr64
                                        ; implicit-def: $vgpr65
                                        ; implicit-def: $vgpr66
                                        ; implicit-def: $vgpr67
                                        ; implicit-def: $vgpr68
                                        ; implicit-def: $vgpr69
                                        ; implicit-def: $vgpr70
                                        ; implicit-def: $vgpr71
                                        ; implicit-def: $vgpr72
                                        ; implicit-def: $vgpr73
                                        ; implicit-def: $vgpr74
; %bb.29:                               ;   in Loop: Header=BB139_12 Depth=1
	s_andn2_saveexec_b64 s[34:35], s[6:7]
	s_cbranch_execz .LBB139_11
; %bb.30:                               ;   in Loop: Header=BB139_12 Depth=1
	v_cvt_i32_f32_e32 v0, v78
	v_cvt_i32_f32_e32 v6, v77
	;; [unrolled: 1-line block ×4, first 2 shown]
	v_cvt_f32_i32_dpp v0, v0 row_shr:8 row_mask:0xf bank_mask:0xf bound_ctrl:1
	v_cvt_f32_i32_dpp v6, v6 row_shr:8 row_mask:0xf bank_mask:0xf bound_ctrl:1
	;; [unrolled: 1-line block ×4, first 2 shown]
	v_add_f32_e32 v0, v78, v0
	v_cvt_i32_f32_e32 v9, v0
	v_add_f32_e32 v6, v77, v6
	v_cvt_i32_f32_e32 v10, v6
	v_add_f32_e32 v7, v76, v7
	v_cvt_f32_i32_dpp v9, v9 row_shr:4 row_mask:0xf bank_mask:0xf bound_ctrl:1
	v_cvt_i32_f32_e32 v11, v7
	v_cvt_f32_i32_dpp v10, v10 row_shr:4 row_mask:0xf bank_mask:0xf bound_ctrl:1
	v_add_f32_e32 v8, v75, v8
	v_add_f32_e32 v0, v0, v9
	v_cvt_i32_f32_e32 v9, v0
	v_add_f32_e32 v6, v6, v10
	v_cvt_i32_f32_e32 v10, v6
	v_cvt_f32_i32_dpp v11, v11 row_shr:4 row_mask:0xf bank_mask:0xf bound_ctrl:1
	v_cvt_f32_i32_dpp v9, v9 row_shr:2 row_mask:0xf bank_mask:0xf bound_ctrl:1
	v_cvt_i32_f32_e32 v12, v8
	v_cvt_f32_i32_dpp v10, v10 row_shr:2 row_mask:0xf bank_mask:0xf bound_ctrl:1
	v_add_f32_e32 v7, v7, v11
	v_add_f32_e32 v0, v0, v9
	v_cvt_i32_f32_e32 v9, v0
	v_add_f32_e32 v6, v6, v10
	v_cvt_i32_f32_e32 v10, v6
	v_cvt_i32_f32_e32 v11, v7
	v_cvt_f32_i32_dpp v9, v9 row_shr:1 row_mask:0xf bank_mask:0xf bound_ctrl:1
	v_cvt_f32_i32_dpp v12, v12 row_shr:4 row_mask:0xf bank_mask:0xf bound_ctrl:1
	;; [unrolled: 1-line block ×4, first 2 shown]
	v_add_f32_e32 v0, v0, v9
	v_cvt_i32_f32_e32 v9, v0
	v_add_f32_e32 v6, v6, v10
	v_cvt_i32_f32_e32 v10, v6
	v_add_f32_e32 v11, v7, v11
	v_cvt_f32_i32_dpp v9, v9 row_bcast:15 row_mask:0xf bank_mask:0xf bound_ctrl:1
	v_cvt_i32_f32_e32 v7, v11
	v_add_f32_e32 v8, v8, v12
	v_cvt_f32_i32_dpp v12, v10 row_bcast:15 row_mask:0xf bank_mask:0xf bound_ctrl:1
	v_add_f32_e32 v10, v0, v9
	v_cvt_i32_f32_e32 v0, v10
	v_cvt_f32_i32_dpp v9, v7 row_shr:1 row_mask:0xf bank_mask:0xf bound_ctrl:1
	v_add_f32_e32 v7, v6, v12
	v_cvt_i32_f32_e32 v6, v7
	v_mov_b32_dpp v13, v0 row_bcast:31 row_mask:0xf bank_mask:0xf bound_ctrl:1
	v_cvt_i32_f32_e32 v0, v8
	v_add_f32_e32 v9, v11, v9
	v_cvt_i32_f32_e32 v11, v74
	v_mov_b32_dpp v12, v6 row_bcast:31 row_mask:0xf bank_mask:0xf bound_ctrl:1
	v_cvt_f32_i32_dpp v0, v0 row_shr:2 row_mask:0xf bank_mask:0xf bound_ctrl:1
	v_cvt_i32_f32_e32 v14, v9
	v_cvt_f32_i32_dpp v6, v11 row_shr:8 row_mask:0xf bank_mask:0xf bound_ctrl:1
	v_add_f32_e32 v0, v8, v0
	v_cvt_f32_i32_dpp v11, v14 row_bcast:15 row_mask:0xf bank_mask:0xf bound_ctrl:1
	v_add_f32_e32 v6, v74, v6
	v_cvt_i32_f32_e32 v8, v0
	v_cvt_i32_f32_e32 v14, v6
	v_add_f32_e32 v9, v9, v11
	v_cvt_i32_f32_e32 v11, v73
	v_cvt_f32_i32_dpp v8, v8 row_shr:1 row_mask:0xf bank_mask:0xf bound_ctrl:1
	v_cvt_f32_i32_dpp v14, v14 row_shr:4 row_mask:0xf bank_mask:0xf bound_ctrl:1
	v_cvt_i32_f32_e32 v15, v9
	v_add_f32_e32 v0, v0, v8
	v_cvt_f32_i32_dpp v8, v11 row_shr:8 row_mask:0xf bank_mask:0xf bound_ctrl:1
	v_add_f32_e32 v6, v6, v14
	v_cvt_i32_f32_e32 v11, v6
	v_cvt_i32_f32_e32 v14, v0
	v_add_f32_e32 v8, v73, v8
	v_cvt_i32_f32_e32 v16, v8
	v_cvt_f32_i32_dpp v11, v11 row_shr:2 row_mask:0xf bank_mask:0xf bound_ctrl:1
	v_cvt_f32_i32_dpp v14, v14 row_bcast:15 row_mask:0xf bank_mask:0xf bound_ctrl:1
	v_mov_b32_dpp v15, v15 row_bcast:31 row_mask:0xf bank_mask:0xf bound_ctrl:1
	v_cvt_f32_i32_dpp v16, v16 row_shr:4 row_mask:0xf bank_mask:0xf bound_ctrl:1
	v_add_f32_e32 v6, v6, v11
	v_cvt_i32_f32_e32 v17, v6
	v_add_f32_e32 v11, v0, v14
	v_add_f32_e32 v0, v8, v16
	v_cvt_i32_f32_e32 v8, v0
	v_cvt_f32_i32_dpp v14, v17 row_shr:1 row_mask:0xf bank_mask:0xf bound_ctrl:1
	v_cvt_i32_f32_e32 v16, v72
	v_cvt_i32_f32_e32 v17, v11
	v_cvt_f32_i32_dpp v8, v8 row_shr:2 row_mask:0xf bank_mask:0xf bound_ctrl:1
	v_add_f32_e32 v6, v6, v14
	v_cvt_f32_i32_dpp v14, v16 row_shr:8 row_mask:0xf bank_mask:0xf bound_ctrl:1
	v_cvt_i32_f32_e32 v16, v6
	v_add_f32_e32 v0, v0, v8
	v_cvt_i32_f32_e32 v8, v0
	v_add_f32_e32 v19, v72, v14
	v_cvt_i32_f32_e32 v14, v19
	v_cvt_f32_i32_dpp v16, v16 row_bcast:15 row_mask:0xf bank_mask:0xf bound_ctrl:1
	v_cvt_f32_i32_dpp v8, v8 row_shr:1 row_mask:0xf bank_mask:0xf bound_ctrl:1
	v_mov_b32_dpp v18, v17 row_bcast:31 row_mask:0xf bank_mask:0xf bound_ctrl:1
	v_cvt_f32_i32_dpp v17, v14 row_shr:4 row_mask:0xf bank_mask:0xf bound_ctrl:1
	v_add_f32_e32 v14, v6, v16
	v_cvt_i32_f32_e32 v6, v71
	v_add_f32_e32 v0, v0, v8
	v_add_f32_e32 v8, v19, v17
	v_cvt_i32_f32_e32 v16, v8
	v_cvt_f32_i32_dpp v6, v6 row_shr:8 row_mask:0xf bank_mask:0xf bound_ctrl:1
	v_cvt_i32_f32_e32 v17, v0
	v_cvt_i32_f32_e32 v19, v14
	v_cvt_f32_i32_dpp v16, v16 row_shr:2 row_mask:0xf bank_mask:0xf bound_ctrl:1
	v_add_f32_e32 v6, v71, v6
	v_cvt_i32_f32_e32 v20, v6
	v_cvt_f32_i32_dpp v17, v17 row_bcast:15 row_mask:0xf bank_mask:0xf bound_ctrl:1
	v_add_f32_e32 v8, v8, v16
	v_cvt_i32_f32_e32 v21, v8
	v_cvt_f32_i32_dpp v20, v20 row_shr:4 row_mask:0xf bank_mask:0xf bound_ctrl:1
	v_add_f32_e32 v16, v0, v17
	v_cvt_i32_f32_e32 v17, v16
	v_cvt_f32_i32_dpp v0, v21 row_shr:1 row_mask:0xf bank_mask:0xf bound_ctrl:1
	v_add_f32_e32 v6, v6, v20
	v_cvt_i32_f32_e32 v20, v6
	v_mov_b32_dpp v21, v17 row_bcast:31 row_mask:0xf bank_mask:0xf bound_ctrl:1
	v_add_f32_e32 v0, v8, v0
	v_cvt_i32_f32_e32 v8, v70
	v_cvt_f32_i32_dpp v20, v20 row_shr:2 row_mask:0xf bank_mask:0xf bound_ctrl:1
	v_cvt_i32_f32_e32 v22, v0
	v_mov_b32_dpp v19, v19 row_bcast:31 row_mask:0xf bank_mask:0xf bound_ctrl:1
	v_cvt_f32_i32_dpp v8, v8 row_shr:8 row_mask:0xf bank_mask:0xf bound_ctrl:1
	v_add_f32_e32 v6, v6, v20
	v_cvt_f32_i32_dpp v17, v22 row_bcast:15 row_mask:0xf bank_mask:0xf bound_ctrl:1
	v_cvt_i32_f32_e32 v20, v6
	v_add_f32_e32 v8, v70, v8
	v_cvt_i32_f32_e32 v22, v8
	v_add_f32_e32 v17, v0, v17
	v_cvt_f32_i32_dpp v0, v20 row_shr:1 row_mask:0xf bank_mask:0xf bound_ctrl:1
	v_cvt_i32_f32_e32 v20, v69
	v_cvt_f32_i32_dpp v22, v22 row_shr:4 row_mask:0xf bank_mask:0xf bound_ctrl:1
	v_cvt_i32_f32_e32 v23, v17
	v_add_f32_e32 v0, v6, v0
	v_cvt_f32_i32_dpp v6, v20 row_shr:8 row_mask:0xf bank_mask:0xf bound_ctrl:1
	v_add_f32_e32 v8, v8, v22
	v_cvt_i32_f32_e32 v20, v8
	v_cvt_i32_f32_e32 v22, v0
	v_add_f32_e32 v6, v69, v6
	v_cvt_i32_f32_e32 v24, v6
	v_cvt_f32_i32_dpp v20, v20 row_shr:2 row_mask:0xf bank_mask:0xf bound_ctrl:1
	v_cvt_f32_i32_dpp v22, v22 row_bcast:15 row_mask:0xf bank_mask:0xf bound_ctrl:1
	v_mov_b32_dpp v23, v23 row_bcast:31 row_mask:0xf bank_mask:0xf bound_ctrl:1
	v_cvt_f32_i32_dpp v24, v24 row_shr:4 row_mask:0xf bank_mask:0xf bound_ctrl:1
	v_add_f32_e32 v8, v8, v20
	v_add_f32_e32 v20, v0, v22
	v_cvt_i32_f32_e32 v25, v8
	v_add_f32_e32 v0, v6, v24
	v_cvt_i32_f32_e32 v6, v0
	v_cvt_i32_f32_e32 v24, v68
	v_cvt_f32_i32_dpp v22, v25 row_shr:1 row_mask:0xf bank_mask:0xf bound_ctrl:1
	v_cvt_i32_f32_e32 v25, v20
	v_cvt_f32_i32_dpp v6, v6 row_shr:2 row_mask:0xf bank_mask:0xf bound_ctrl:1
	v_add_f32_e32 v8, v8, v22
	v_cvt_f32_i32_dpp v22, v24 row_shr:8 row_mask:0xf bank_mask:0xf bound_ctrl:1
	v_add_f32_e32 v0, v0, v6
	v_cvt_i32_f32_e32 v6, v0
	v_cvt_i32_f32_e32 v24, v8
	v_add_f32_e32 v26, v68, v22
	v_cvt_i32_f32_e32 v22, v26
	v_cvt_f32_i32_dpp v6, v6 row_shr:1 row_mask:0xf bank_mask:0xf bound_ctrl:1
	v_cvt_f32_i32_dpp v24, v24 row_bcast:15 row_mask:0xf bank_mask:0xf bound_ctrl:1
	v_mov_b32_dpp v25, v25 row_bcast:31 row_mask:0xf bank_mask:0xf bound_ctrl:1
	v_cvt_f32_i32_dpp v27, v22 row_shr:4 row_mask:0xf bank_mask:0xf bound_ctrl:1
	v_add_f32_e32 v0, v0, v6
	v_cvt_i32_f32_e32 v6, v67
	v_add_f32_e32 v22, v8, v24
	v_add_f32_e32 v8, v26, v27
	v_cvt_i32_f32_e32 v24, v8
	v_cvt_f32_i32_dpp v6, v6 row_shr:8 row_mask:0xf bank_mask:0xf bound_ctrl:1
	v_cvt_i32_f32_e32 v26, v0
	v_cvt_i32_f32_e32 v27, v22
	v_cvt_f32_i32_dpp v24, v24 row_shr:2 row_mask:0xf bank_mask:0xf bound_ctrl:1
	v_add_f32_e32 v6, v67, v6
	v_cvt_i32_f32_e32 v29, v6
	v_cvt_f32_i32_dpp v26, v26 row_bcast:15 row_mask:0xf bank_mask:0xf bound_ctrl:1
	v_add_f32_e32 v8, v8, v24
	v_mov_b32_dpp v28, v27 row_bcast:31 row_mask:0xf bank_mask:0xf bound_ctrl:1
	v_cvt_f32_i32_dpp v27, v29 row_shr:4 row_mask:0xf bank_mask:0xf bound_ctrl:1
	v_cvt_i32_f32_e32 v30, v8
	v_add_f32_e32 v24, v0, v26
	v_cvt_i32_f32_e32 v26, v66
	v_add_f32_e32 v6, v6, v27
	v_cvt_f32_i32_dpp v0, v30 row_shr:1 row_mask:0xf bank_mask:0xf bound_ctrl:1
	v_cvt_i32_f32_e32 v27, v6
	v_cvt_f32_i32_dpp v26, v26 row_shr:8 row_mask:0xf bank_mask:0xf bound_ctrl:1
	v_cvt_i32_f32_e32 v29, v24
	v_add_f32_e32 v0, v8, v0
	v_cvt_f32_i32_dpp v8, v27 row_shr:2 row_mask:0xf bank_mask:0xf bound_ctrl:1
	v_add_f32_e32 v30, v66, v26
	v_cvt_i32_f32_e32 v27, v0
	v_cvt_i32_f32_e32 v26, v30
	v_add_f32_e32 v6, v6, v8
	v_cvt_i32_f32_e32 v8, v6
	v_cvt_f32_i32_dpp v27, v27 row_bcast:15 row_mask:0xf bank_mask:0xf bound_ctrl:1
	v_cvt_f32_i32_dpp v31, v26 row_shr:4 row_mask:0xf bank_mask:0xf bound_ctrl:1
	v_mov_b32_dpp v29, v29 row_bcast:31 row_mask:0xf bank_mask:0xf bound_ctrl:1
	v_cvt_f32_i32_dpp v8, v8 row_shr:1 row_mask:0xf bank_mask:0xf bound_ctrl:1
	v_add_f32_e32 v26, v0, v27
	v_add_f32_e32 v0, v30, v31
	v_cvt_i32_f32_e32 v27, v0
	v_add_f32_e32 v6, v6, v8
	v_cvt_i32_f32_e32 v8, v65
	v_cvt_i32_f32_e32 v30, v6
	v_cvt_f32_i32_dpp v27, v27 row_shr:2 row_mask:0xf bank_mask:0xf bound_ctrl:1
	v_cvt_i32_f32_e32 v31, v26
	v_cvt_f32_i32_dpp v8, v8 row_shr:8 row_mask:0xf bank_mask:0xf bound_ctrl:1
	v_cvt_f32_i32_dpp v32, v30 row_bcast:15 row_mask:0xf bank_mask:0xf bound_ctrl:1
	v_add_f32_e32 v0, v0, v27
	v_cvt_i32_f32_e32 v27, v0
	v_add_f32_e32 v8, v65, v8
	v_cvt_i32_f32_e32 v33, v8
	v_mov_b32_dpp v30, v31 row_bcast:31 row_mask:0xf bank_mask:0xf bound_ctrl:1
	v_cvt_f32_i32_dpp v31, v27 row_shr:1 row_mask:0xf bank_mask:0xf bound_ctrl:1
	v_add_f32_e32 v27, v6, v32
	v_cvt_f32_i32_dpp v6, v33 row_shr:4 row_mask:0xf bank_mask:0xf bound_ctrl:1
	v_cvt_i32_f32_e32 v32, v27
	v_add_f32_e32 v0, v0, v31
	v_cvt_i32_f32_e32 v31, v64
	v_add_f32_e32 v6, v8, v6
	v_cvt_i32_f32_e32 v8, v6
	v_cvt_i32_f32_e32 v33, v0
	v_cvt_f32_i32_dpp v31, v31 row_shr:8 row_mask:0xf bank_mask:0xf bound_ctrl:1
	v_mov_b32_dpp v32, v32 row_bcast:31 row_mask:0xf bank_mask:0xf bound_ctrl:1
	v_cvt_f32_i32_dpp v8, v8 row_shr:2 row_mask:0xf bank_mask:0xf bound_ctrl:1
	v_cvt_f32_i32_dpp v33, v33 row_bcast:15 row_mask:0xf bank_mask:0xf bound_ctrl:1
	v_add_f32_e32 v34, v64, v31
	v_cvt_i32_f32_e32 v31, v34
	v_add_f32_e32 v6, v6, v8
	v_cvt_i32_f32_e32 v8, v63
	v_cvt_i32_f32_e32 v35, v6
	v_cvt_f32_i32_dpp v36, v31 row_shr:4 row_mask:0xf bank_mask:0xf bound_ctrl:1
	v_add_f32_e32 v31, v0, v33
	v_cvt_f32_i32_dpp v0, v8 row_shr:8 row_mask:0xf bank_mask:0xf bound_ctrl:1
	v_cvt_f32_i32_dpp v8, v35 row_shr:1 row_mask:0xf bank_mask:0xf bound_ctrl:1
	v_add_f32_e32 v33, v34, v36
	v_cvt_i32_f32_e32 v34, v33
	v_add_f32_e32 v0, v63, v0
	v_cvt_i32_f32_e32 v35, v0
	v_add_f32_e32 v6, v6, v8
	v_cvt_f32_i32_dpp v34, v34 row_shr:2 row_mask:0xf bank_mask:0xf bound_ctrl:1
	v_cvt_i32_f32_e32 v36, v31
	v_cvt_f32_i32_dpp v8, v35 row_shr:4 row_mask:0xf bank_mask:0xf bound_ctrl:1
	v_cvt_i32_f32_e32 v35, v6
	v_add_f32_e32 v34, v33, v34
	v_cvt_i32_f32_e32 v33, v34
	v_add_f32_e32 v0, v0, v8
	v_cvt_i32_f32_e32 v8, v0
	v_cvt_f32_i32_dpp v35, v35 row_bcast:15 row_mask:0xf bank_mask:0xf bound_ctrl:1
	v_cvt_f32_i32_dpp v37, v33 row_shr:1 row_mask:0xf bank_mask:0xf bound_ctrl:1
	v_mov_b32_dpp v38, v36 row_bcast:31 row_mask:0xf bank_mask:0xf bound_ctrl:1
	v_cvt_f32_i32_dpp v8, v8 row_shr:2 row_mask:0xf bank_mask:0xf bound_ctrl:1
	v_add_f32_e32 v33, v6, v35
	v_add_f32_e32 v6, v34, v37
	v_cvt_i32_f32_e32 v34, v62
	v_add_f32_e32 v0, v0, v8
	v_cvt_i32_f32_e32 v8, v0
	v_cvt_i32_f32_e32 v35, v6
	v_cvt_f32_i32_dpp v34, v34 row_shr:8 row_mask:0xf bank_mask:0xf bound_ctrl:1
	v_cvt_i32_f32_e32 v36, v33
	v_cvt_f32_i32_dpp v8, v8 row_shr:1 row_mask:0xf bank_mask:0xf bound_ctrl:1
	v_cvt_f32_i32_dpp v35, v35 row_bcast:15 row_mask:0xf bank_mask:0xf bound_ctrl:1
	v_add_f32_e32 v37, v62, v34
	v_cvt_i32_f32_e32 v34, v37
	v_add_f32_e32 v0, v0, v8
	v_cvt_i32_f32_e32 v8, v0
	v_mov_b32_dpp v40, v36 row_bcast:31 row_mask:0xf bank_mask:0xf bound_ctrl:1
	v_cvt_f32_i32_dpp v36, v34 row_shr:4 row_mask:0xf bank_mask:0xf bound_ctrl:1
	v_add_f32_e32 v34, v6, v35
	v_cvt_f32_i32_dpp v6, v8 row_bcast:15 row_mask:0xf bank_mask:0xf bound_ctrl:1
	v_cvt_i32_f32_e32 v8, v61
	v_add_f32_e32 v36, v37, v36
	v_cvt_i32_f32_e32 v37, v36
	v_add_f32_e32 v35, v0, v6
	v_cvt_f32_i32_dpp v8, v8 row_shr:8 row_mask:0xf bank_mask:0xf bound_ctrl:1
	v_cvt_i32_f32_e32 v39, v34
	v_cvt_f32_i32_dpp v0, v37 row_shr:2 row_mask:0xf bank_mask:0xf bound_ctrl:1
	v_cvt_i32_f32_e32 v6, v35
	v_add_f32_e32 v8, v61, v8
	v_cvt_i32_f32_e32 v37, v8
	v_add_f32_e32 v0, v36, v0
	v_cvt_i32_f32_e32 v36, v0
	v_mov_b32_dpp v48, v39 row_bcast:31 row_mask:0xf bank_mask:0xf bound_ctrl:1
	v_cvt_f32_i32_dpp v39, v37 row_shr:4 row_mask:0xf bank_mask:0xf bound_ctrl:1
	v_mov_b32_dpp v37, v6 row_bcast:31 row_mask:0xf bank_mask:0xf bound_ctrl:1
	v_cvt_f32_i32_dpp v6, v36 row_shr:1 row_mask:0xf bank_mask:0xf bound_ctrl:1
	v_cvt_i32_f32_e32 v36, v60
	v_add_f32_e32 v8, v8, v39
	v_cvt_i32_f32_e32 v39, v43
	v_add_f32_e32 v0, v0, v6
	v_cvt_f32_i32_dpp v36, v36 row_shr:8 row_mask:0xf bank_mask:0xf bound_ctrl:1
	v_cvt_i32_f32_e32 v41, v8
	v_cvt_f32_i32_dpp v6, v39 row_shr:8 row_mask:0xf bank_mask:0xf bound_ctrl:1
	v_cvt_i32_f32_e32 v49, v0
	v_add_f32_e32 v36, v60, v36
	v_cvt_f32_i32_dpp v39, v41 row_shr:2 row_mask:0xf bank_mask:0xf bound_ctrl:1
	v_add_f32_e32 v6, v43, v6
	v_cvt_i32_f32_e32 v41, v36
	v_cvt_i32_f32_e32 v43, v6
	v_add_f32_e32 v8, v8, v39
	v_cvt_f32_i32_dpp v49, v49 row_bcast:15 row_mask:0xf bank_mask:0xf bound_ctrl:1
	v_cvt_f32_i32_dpp v41, v41 row_shr:4 row_mask:0xf bank_mask:0xf bound_ctrl:1
	v_cvt_f32_i32_dpp v39, v43 row_shr:4 row_mask:0xf bank_mask:0xf bound_ctrl:1
	v_cvt_i32_f32_e32 v43, v8
	v_add_f32_e32 v51, v0, v49
	v_add_f32_e32 v36, v36, v41
	;; [unrolled: 1-line block ×3, first 2 shown]
	v_cvt_i32_f32_e32 v41, v36
	v_cvt_i32_f32_e32 v39, v6
	v_cvt_f32_i32_dpp v43, v43 row_shr:1 row_mask:0xf bank_mask:0xf bound_ctrl:1
	v_cvt_f32_i32_dpp v41, v41 row_shr:2 row_mask:0xf bank_mask:0xf bound_ctrl:1
	;; [unrolled: 1-line block ×3, first 2 shown]
	v_add_f32_e32 v8, v8, v43
	v_cvt_i32_f32_e32 v43, v8
	v_add_f32_e32 v36, v36, v41
	v_add_f32_e32 v6, v6, v39
	v_cvt_i32_f32_e32 v41, v36
	v_cvt_i32_f32_e32 v39, v6
	s_nop 0
	v_cvt_f32_i32_dpp v41, v41 row_shr:1 row_mask:0xf bank_mask:0xf bound_ctrl:1
	v_cvt_f32_i32_dpp v0, v39 row_shr:1 row_mask:0xf bank_mask:0xf bound_ctrl:1
	v_cvt_f32_i32_dpp v39, v43 row_bcast:15 row_mask:0xf bank_mask:0xf bound_ctrl:1
	v_cvt_i32_f32_e32 v43, v51
	v_add_f32_e32 v36, v36, v41
	v_add_f32_e32 v0, v6, v0
	v_cvt_i32_f32_e32 v41, v36
	v_cvt_i32_f32_e32 v6, v0
	v_add_f32_e32 v50, v8, v39
	v_cvt_i32_f32_e32 v8, v50
	v_cvt_f32_i32_dpp v41, v41 row_bcast:15 row_mask:0xf bank_mask:0xf bound_ctrl:1
	v_cvt_f32_i32_dpp v6, v6 row_bcast:15 row_mask:0xf bank_mask:0xf bound_ctrl:1
	v_mov_b32_dpp v53, v43 row_bcast:31 row_mask:0xf bank_mask:0xf bound_ctrl:1
	v_mov_b32_dpp v52, v8 row_bcast:31 row_mask:0xf bank_mask:0xf bound_ctrl:1
	v_add_f32_e32 v41, v36, v41
	v_add_f32_e32 v36, v0, v6
	v_cvt_i32_f32_e32 v39, v41
	v_cvt_i32_f32_e32 v0, v36
	s_nop 0
	v_mov_b32_dpp v49, v39 row_bcast:31 row_mask:0xf bank_mask:0xf bound_ctrl:1
	v_mov_b32_dpp v39, v0 row_bcast:31 row_mask:0xf bank_mask:0xf bound_ctrl:1
	s_and_saveexec_b64 s[36:37], s[0:1]
	s_cbranch_execz .LBB139_54
; %bb.31:                               ;   in Loop: Header=BB139_12 Depth=1
	s_andn2_b64 vcc, exec, s[28:29]
	v_mov_b32_e32 v43, 0
	v_add_u32_e32 v8, 2, v42
	v_add_u32_e32 v6, 3, v42
	v_mov_b32_e32 v76, 0
	v_mov_b32_e32 v75, 0
	v_mov_b32_e32 v74, 0
	v_mov_b32_e32 v73, 0
	v_mov_b32_e32 v72, 0
	v_mov_b32_e32 v70, 0
	v_mov_b32_e32 v68, 0
	v_mov_b32_e32 v71, 0
	v_mov_b32_e32 v69, 0
	v_mov_b32_e32 v67, 0
	v_mov_b32_e32 v66, 0
	v_mov_b32_e32 v65, 0
	v_mov_b32_e32 v64, 0
	v_mov_b32_e32 v63, 0
	v_mov_b32_e32 v61, 0
	v_mov_b32_e32 v62, 0
	v_mov_b32_e32 v60, 0
	s_waitcnt vmcnt(1)
	v_mov_b32_e32 v55, 0
	s_waitcnt vmcnt(0)
	v_mov_b32_e32 v54, 0
	s_cbranch_vccnz .LBB139_33
; %bb.32:                               ;   in Loop: Header=BB139_12 Depth=1
	v_mul_hi_u32 v0, v42, v56
	v_mul_lo_u32 v0, v0, s12
	v_sub_u32_e32 v0, v42, v0
	v_subrev_u32_e32 v43, s12, v0
	v_cmp_le_u32_e32 vcc, s12, v0
	v_mov_b32_e32 v61, v1
	v_mov_b32_e32 v69, v1
	v_cndmask_b32_e32 v0, v0, v43, vcc
	v_subrev_u32_e32 v43, s12, v0
	v_cmp_le_u32_e32 vcc, s12, v0
	v_mov_b32_e32 v79, v1
	v_mov_b32_e32 v81, v1
	v_cndmask_b32_e32 v0, v0, v43, vcc
	v_add_u32_e32 v43, 1, v42
	v_mul_hi_u32 v60, v43, v56
	v_mul_lo_u32 v60, v60, s12
	v_sub_u32_e32 v43, v43, v60
	v_subrev_u32_e32 v60, s12, v43
	v_cmp_le_u32_e32 vcc, s12, v43
	v_add_u32_e32 v68, s45, v0
	v_lshl_add_u64 v[82:83], v[68:69], 1, s[18:19]
	v_cndmask_b32_e32 v43, v43, v60, vcc
	v_subrev_u32_e32 v60, s12, v43
	v_cmp_le_u32_e32 vcc, s12, v43
	v_lshl_add_u64 v[54:55], v[0:1], 1, s[18:19]
	s_nop 0
	v_cndmask_b32_e32 v60, v43, v60, vcc
	v_mul_hi_u32 v43, v8, v56
	v_mul_lo_u32 v43, v43, s12
	v_sub_u32_e32 v43, v8, v43
	v_lshl_add_u64 v[62:63], v[60:61], 1, s[18:19]
	v_subrev_u32_e32 v61, s12, v43
	v_cmp_le_u32_e32 vcc, s12, v43
	v_add_u32_e32 v68, s45, v60
	v_lshl_add_u64 v[84:85], v[68:69], 1, s[18:19]
	v_cndmask_b32_e32 v43, v43, v61, vcc
	v_subrev_u32_e32 v61, s12, v43
	v_cmp_le_u32_e32 vcc, s12, v43
	s_nop 1
	v_cndmask_b32_e32 v78, v43, v61, vcc
	v_mul_hi_u32 v43, v6, v56
	v_mul_lo_u32 v43, v43, s12
	v_sub_u32_e32 v43, v6, v43
	v_subrev_u32_e32 v61, s12, v43
	v_cmp_le_u32_e32 vcc, s12, v43
	v_add_u32_e32 v68, s45, v78
	v_lshl_add_u64 v[86:87], v[68:69], 1, s[18:19]
	v_cndmask_b32_e32 v43, v43, v61, vcc
	v_subrev_u32_e32 v61, s12, v43
	v_cmp_le_u32_e32 vcc, s12, v43
	v_lshl_add_u64 v[64:65], v[78:79], 1, s[18:19]
	s_nop 0
	v_cndmask_b32_e32 v80, v43, v61, vcc
	v_add_u32_e32 v68, s45, v80
	v_lshl_add_u64 v[66:67], v[80:81], 1, s[18:19]
	v_lshl_add_u64 v[88:89], v[68:69], 1, s[18:19]
	global_load_ushort v43, v[54:55], off
	global_load_ushort v76, v[62:63], off
	;; [unrolled: 1-line block ×8, first 2 shown]
	v_add_u32_e32 v62, s46, v60
	v_mov_b32_e32 v63, v1
	v_lshl_add_u64 v[82:83], v[62:63], 1, s[18:19]
	v_add_u32_e32 v62, s46, v78
	v_lshl_add_u64 v[84:85], v[62:63], 1, s[18:19]
	v_add_u32_e32 v62, s46, v80
	;; [unrolled: 2-line block ×4, first 2 shown]
	v_add_u32_e32 v54, s46, v0
	v_mov_b32_e32 v55, v1
	v_lshl_add_u64 v[90:91], v[62:63], 1, s[18:19]
	v_add_u32_e32 v62, s47, v78
	v_lshl_add_u64 v[54:55], v[54:55], 1, s[18:19]
	v_lshl_add_u64 v[92:93], v[62:63], 1, s[18:19]
	v_add_u32_e32 v62, s47, v80
	v_lshl_add_u64 v[94:95], v[62:63], 1, s[18:19]
	global_load_ushort v71, v[54:55], off
	global_load_ushort v69, v[82:83], off
	;; [unrolled: 1-line block ×8, first 2 shown]
	v_add_u32_e32 v0, s48, v0
	v_lshl_add_u64 v[82:83], v[0:1], 1, s[18:19]
	v_add_u32_e32 v0, s48, v60
	v_lshl_add_u64 v[84:85], v[0:1], 1, s[18:19]
	;; [unrolled: 2-line block ×4, first 2 shown]
	global_load_ushort v62, v[82:83], off
	global_load_ushort v60, v[84:85], off
	;; [unrolled: 1-line block ×4, first 2 shown]
.LBB139_33:                             ;   in Loop: Header=BB139_12 Depth=1
	v_cmp_ne_u32_e32 vcc, 0, v2
	s_and_saveexec_b64 s[6:7], vcc
	s_cbranch_execnz .LBB139_59
; %bb.34:                               ;   in Loop: Header=BB139_12 Depth=1
	s_or_b64 exec, exec, s[6:7]
	v_cmp_ne_u32_e64 s[6:7], 0, v3
	s_and_saveexec_b64 s[8:9], s[6:7]
	s_cbranch_execnz .LBB139_60
.LBB139_35:                             ;   in Loop: Header=BB139_12 Depth=1
	s_or_b64 exec, exec, s[8:9]
	v_cmp_ne_u32_e64 s[8:9], 0, v4
	s_and_saveexec_b64 s[10:11], s[8:9]
	s_cbranch_execnz .LBB139_61
.LBB139_36:                             ;   in Loop: Header=BB139_12 Depth=1
	s_or_b64 exec, exec, s[10:11]
	v_cmp_ne_u32_e64 s[10:11], 0, v5
	s_and_saveexec_b64 s[38:39], s[10:11]
	s_cbranch_execnz .LBB139_62
.LBB139_37:                             ;   in Loop: Header=BB139_12 Depth=1
	s_or_b64 exec, exec, s[38:39]
	v_add_u32_e32 v0, s23, v42
	s_and_saveexec_b64 s[38:39], vcc
	s_cbranch_execnz .LBB139_63
.LBB139_38:                             ;   in Loop: Header=BB139_12 Depth=1
	s_or_b64 exec, exec, s[38:39]
	s_and_saveexec_b64 s[38:39], s[6:7]
	s_cbranch_execnz .LBB139_64
.LBB139_39:                             ;   in Loop: Header=BB139_12 Depth=1
	s_or_b64 exec, exec, s[38:39]
	s_and_saveexec_b64 s[38:39], s[8:9]
	s_cbranch_execnz .LBB139_65
.LBB139_40:                             ;   in Loop: Header=BB139_12 Depth=1
	s_or_b64 exec, exec, s[38:39]
	s_and_saveexec_b64 s[38:39], s[10:11]
	s_cbranch_execnz .LBB139_66
.LBB139_41:                             ;   in Loop: Header=BB139_12 Depth=1
	s_or_b64 exec, exec, s[38:39]
	v_add_u32_e32 v0, s23, v0
	s_and_saveexec_b64 s[38:39], vcc
	s_cbranch_execnz .LBB139_67
.LBB139_42:                             ;   in Loop: Header=BB139_12 Depth=1
	s_or_b64 exec, exec, s[38:39]
	s_and_saveexec_b64 s[38:39], s[6:7]
	s_cbranch_execnz .LBB139_68
.LBB139_43:                             ;   in Loop: Header=BB139_12 Depth=1
	s_or_b64 exec, exec, s[38:39]
	s_and_saveexec_b64 s[38:39], s[8:9]
	s_cbranch_execnz .LBB139_69
.LBB139_44:                             ;   in Loop: Header=BB139_12 Depth=1
	s_or_b64 exec, exec, s[38:39]
	s_and_saveexec_b64 s[38:39], s[10:11]
	s_cbranch_execnz .LBB139_70
.LBB139_45:                             ;   in Loop: Header=BB139_12 Depth=1
	s_or_b64 exec, exec, s[38:39]
	v_add_u32_e32 v0, s23, v0
	s_and_saveexec_b64 s[38:39], vcc
	s_cbranch_execnz .LBB139_71
.LBB139_46:                             ;   in Loop: Header=BB139_12 Depth=1
	s_or_b64 exec, exec, s[38:39]
	s_and_saveexec_b64 s[38:39], s[6:7]
	s_cbranch_execnz .LBB139_72
.LBB139_47:                             ;   in Loop: Header=BB139_12 Depth=1
	s_or_b64 exec, exec, s[38:39]
	s_and_saveexec_b64 s[38:39], s[8:9]
	s_cbranch_execnz .LBB139_73
.LBB139_48:                             ;   in Loop: Header=BB139_12 Depth=1
	s_or_b64 exec, exec, s[38:39]
	s_and_saveexec_b64 s[38:39], s[10:11]
	s_cbranch_execnz .LBB139_74
.LBB139_49:                             ;   in Loop: Header=BB139_12 Depth=1
	s_or_b64 exec, exec, s[38:39]
	v_add_u32_e32 v0, s23, v0
	s_and_saveexec_b64 s[38:39], vcc
	s_cbranch_execnz .LBB139_75
.LBB139_50:                             ;   in Loop: Header=BB139_12 Depth=1
	s_or_b64 exec, exec, s[38:39]
	s_and_saveexec_b64 s[38:39], s[6:7]
	s_cbranch_execnz .LBB139_76
.LBB139_51:                             ;   in Loop: Header=BB139_12 Depth=1
	s_or_b64 exec, exec, s[38:39]
	s_and_saveexec_b64 s[6:7], s[8:9]
	s_cbranch_execnz .LBB139_77
.LBB139_52:                             ;   in Loop: Header=BB139_12 Depth=1
	s_or_b64 exec, exec, s[6:7]
	s_and_b64 exec, exec, s[10:11]
	s_cbranch_execz .LBB139_54
.LBB139_53:                             ;   in Loop: Header=BB139_12 Depth=1
	v_cvt_f32_i32_e32 v6, v39
	s_waitcnt vmcnt(0)
	v_cvt_f32_f16_e32 v7, v54
	v_add_u32_e32 v0, 3, v0
	v_add_f32_e32 v6, v36, v6
	v_add_f32_e32 v6, v6, v7
	v_cvt_f16_f32_e32 v8, v6
	v_lshl_add_u64 v[6:7], v[0:1], 1, s[24:25]
	global_store_short v[6:7], v8, off
.LBB139_54:                             ;   in Loop: Header=BB139_12 Depth=1
	s_or_b64 exec, exec, s[36:37]
	v_add_u32_e32 v42, s44, v42
	v_add_u32_e32 v0, 4, v42
	v_cmp_gt_u32_e32 vcc, s23, v42
	v_cmp_le_u32_e64 s[6:7], s23, v0
	s_and_b64 s[6:7], vcc, s[6:7]
	s_and_saveexec_b64 s[8:9], s[6:7]
	s_cbranch_execz .LBB139_10
; %bb.55:                               ;   in Loop: Header=BB139_12 Depth=1
	v_cmp_ne_u32_e32 vcc, s13, v42
	s_and_saveexec_b64 s[10:11], vcc
	s_cbranch_execz .LBB139_9
; %bb.56:                               ;   in Loop: Header=BB139_12 Depth=1
	v_subrev_u32_e32 v0, s13, v42
	v_cmp_lt_u32_e32 vcc, 1, v0
	s_mov_b64 s[36:37], 0
	s_mov_b64 s[38:39], 0
	v_cndmask_b32_e32 v0, 1, v0, vcc
.LBB139_57:                             ;   Parent Loop BB139_12 Depth=1
                                        ; =>  This Inner Loop Header: Depth=2
	s_cmp_lg_u32 s38, 3
	s_cselect_b64 vcc, -1, 0
	s_cmp_lg_u32 s38, 2
	v_cndmask_b32_e32 v5, 0, v5, vcc
	s_cselect_b64 vcc, -1, 0
	s_cmp_lg_u32 s38, 1
	v_cndmask_b32_e32 v4, 0, v4, vcc
	;; [unrolled: 3-line block ×3, first 2 shown]
	s_cselect_b64 vcc, -1, 0
	s_add_u32 s38, s38, 1
	s_addc_u32 s39, s39, 0
	v_cmp_eq_u32_e64 s[6:7], s38, v0
	s_or_b64 s[36:37], s[6:7], s[36:37]
	v_cndmask_b32_e32 v2, 0, v2, vcc
	s_andn2_b64 exec, exec, s[36:37]
	s_cbranch_execnz .LBB139_57
; %bb.58:                               ;   in Loop: Header=BB139_12 Depth=1
	s_or_b64 exec, exec, s[36:37]
	s_branch .LBB139_9
.LBB139_59:                             ;   in Loop: Header=BB139_12 Depth=1
	v_cvt_f32_i32_e32 v0, v13
	s_waitcnt vmcnt(19)
	v_cvt_f32_f16_e32 v13, v43
	v_mov_b32_e32 v43, v1
	v_lshl_add_u64 v[78:79], v[42:43], 1, s[24:25]
	v_add_f32_e32 v0, v10, v0
	v_add_f32_e32 v0, v0, v13
	v_cvt_f16_f32_e32 v0, v0
	global_store_short v[78:79], v0, off
	s_or_b64 exec, exec, s[6:7]
	v_cmp_ne_u32_e64 s[6:7], 0, v3
	s_and_saveexec_b64 s[8:9], s[6:7]
	s_cbranch_execz .LBB139_35
.LBB139_60:                             ;   in Loop: Header=BB139_12 Depth=1
	v_cvt_f32_i32_e32 v0, v12
	s_waitcnt vmcnt(18)
	v_cvt_f32_f16_e32 v10, v76
	v_mov_b32_e32 v43, v1
	v_lshl_add_u64 v[12:13], v[42:43], 1, s[30:31]
	v_add_f32_e32 v0, v7, v0
	v_add_f32_e32 v0, v0, v10
	v_cvt_f16_f32_e32 v0, v0
	global_store_short v[12:13], v0, off
	s_or_b64 exec, exec, s[8:9]
	v_cmp_ne_u32_e64 s[8:9], 0, v4
	s_and_saveexec_b64 s[10:11], s[8:9]
	s_cbranch_execz .LBB139_36
.LBB139_61:                             ;   in Loop: Header=BB139_12 Depth=1
	v_cvt_f32_i32_e32 v0, v15
	s_waitcnt vmcnt(17)
	v_cvt_f32_f16_e32 v7, v75
	v_add_f32_e32 v0, v9, v0
	v_add_f32_e32 v0, v0, v7
	v_cvt_f16_f32_e32 v0, v0
	v_mov_b32_e32 v9, v1
	v_lshl_add_u64 v[8:9], v[8:9], 1, s[24:25]
	global_store_short v[8:9], v0, off
	s_or_b64 exec, exec, s[10:11]
	v_cmp_ne_u32_e64 s[10:11], 0, v5
	s_and_saveexec_b64 s[38:39], s[10:11]
	s_cbranch_execz .LBB139_37
.LBB139_62:                             ;   in Loop: Header=BB139_12 Depth=1
	v_cvt_f32_i32_e32 v0, v18
	s_waitcnt vmcnt(16)
	v_cvt_f32_f16_e32 v7, v74
	v_add_f32_e32 v0, v11, v0
	v_add_f32_e32 v0, v0, v7
	v_cvt_f16_f32_e32 v0, v0
	v_mov_b32_e32 v7, v1
	v_lshl_add_u64 v[6:7], v[6:7], 1, s[24:25]
	global_store_short v[6:7], v0, off
	s_or_b64 exec, exec, s[38:39]
	v_add_u32_e32 v0, s23, v42
	s_and_saveexec_b64 s[38:39], vcc
	s_cbranch_execz .LBB139_38
.LBB139_63:                             ;   in Loop: Header=BB139_12 Depth=1
	v_cvt_f32_i32_e32 v6, v19
	s_waitcnt vmcnt(15)
	v_cvt_f32_f16_e32 v7, v73
	v_add_f32_e32 v6, v14, v6
	v_add_f32_e32 v6, v6, v7
	v_cvt_f16_f32_e32 v8, v6
	v_lshl_add_u64 v[6:7], v[0:1], 1, s[24:25]
	global_store_short v[6:7], v8, off
	s_or_b64 exec, exec, s[38:39]
	s_and_saveexec_b64 s[38:39], s[6:7]
	s_cbranch_execz .LBB139_39
.LBB139_64:                             ;   in Loop: Header=BB139_12 Depth=1
	v_cvt_f32_i32_e32 v6, v21
	s_waitcnt vmcnt(14)
	v_cvt_f32_f16_e32 v7, v72
	v_add_f32_e32 v6, v16, v6
	v_add_f32_e32 v6, v6, v7
	v_cvt_f16_f32_e32 v8, v6
	v_add_u32_e32 v6, 1, v0
	v_mov_b32_e32 v7, v1
	v_lshl_add_u64 v[6:7], v[6:7], 1, s[24:25]
	global_store_short v[6:7], v8, off
	s_or_b64 exec, exec, s[38:39]
	s_and_saveexec_b64 s[38:39], s[8:9]
	s_cbranch_execz .LBB139_40
.LBB139_65:                             ;   in Loop: Header=BB139_12 Depth=1
	v_cvt_f32_i32_e32 v6, v23
	s_waitcnt vmcnt(13)
	v_cvt_f32_f16_e32 v7, v70
	v_add_f32_e32 v6, v17, v6
	v_add_f32_e32 v6, v6, v7
	v_cvt_f16_f32_e32 v8, v6
	v_add_u32_e32 v6, 2, v0
	v_mov_b32_e32 v7, v1
	v_lshl_add_u64 v[6:7], v[6:7], 1, s[24:25]
	global_store_short v[6:7], v8, off
	s_or_b64 exec, exec, s[38:39]
	s_and_saveexec_b64 s[38:39], s[10:11]
	s_cbranch_execz .LBB139_41
.LBB139_66:                             ;   in Loop: Header=BB139_12 Depth=1
	v_cvt_f32_i32_e32 v6, v25
	s_waitcnt vmcnt(12)
	v_cvt_f32_f16_e32 v7, v68
	v_add_f32_e32 v6, v20, v6
	v_add_f32_e32 v6, v6, v7
	v_cvt_f16_f32_e32 v8, v6
	v_add_u32_e32 v6, 3, v0
	v_mov_b32_e32 v7, v1
	v_lshl_add_u64 v[6:7], v[6:7], 1, s[24:25]
	global_store_short v[6:7], v8, off
	s_or_b64 exec, exec, s[38:39]
	v_add_u32_e32 v0, s23, v0
	s_and_saveexec_b64 s[38:39], vcc
	s_cbranch_execz .LBB139_42
.LBB139_67:                             ;   in Loop: Header=BB139_12 Depth=1
	v_cvt_f32_i32_e32 v6, v28
	s_waitcnt vmcnt(11)
	v_cvt_f32_f16_e32 v7, v71
	v_add_f32_e32 v6, v22, v6
	v_add_f32_e32 v6, v6, v7
	v_cvt_f16_f32_e32 v8, v6
	v_lshl_add_u64 v[6:7], v[0:1], 1, s[24:25]
	global_store_short v[6:7], v8, off
	s_or_b64 exec, exec, s[38:39]
	s_and_saveexec_b64 s[38:39], s[6:7]
	s_cbranch_execz .LBB139_43
.LBB139_68:                             ;   in Loop: Header=BB139_12 Depth=1
	v_cvt_f32_i32_e32 v6, v29
	s_waitcnt vmcnt(10)
	v_cvt_f32_f16_e32 v7, v69
	v_add_f32_e32 v6, v24, v6
	v_add_f32_e32 v6, v6, v7
	v_cvt_f16_f32_e32 v8, v6
	v_add_u32_e32 v6, 1, v0
	v_mov_b32_e32 v7, v1
	v_lshl_add_u64 v[6:7], v[6:7], 1, s[24:25]
	global_store_short v[6:7], v8, off
	s_or_b64 exec, exec, s[38:39]
	s_and_saveexec_b64 s[38:39], s[8:9]
	s_cbranch_execz .LBB139_44
.LBB139_69:                             ;   in Loop: Header=BB139_12 Depth=1
	v_cvt_f32_i32_e32 v6, v30
	s_waitcnt vmcnt(9)
	v_cvt_f32_f16_e32 v7, v67
	v_add_f32_e32 v6, v26, v6
	v_add_f32_e32 v6, v6, v7
	v_cvt_f16_f32_e32 v8, v6
	v_add_u32_e32 v6, 2, v0
	v_mov_b32_e32 v7, v1
	v_lshl_add_u64 v[6:7], v[6:7], 1, s[24:25]
	global_store_short v[6:7], v8, off
	s_or_b64 exec, exec, s[38:39]
	s_and_saveexec_b64 s[38:39], s[10:11]
	s_cbranch_execz .LBB139_45
.LBB139_70:                             ;   in Loop: Header=BB139_12 Depth=1
	v_cvt_f32_i32_e32 v6, v32
	s_waitcnt vmcnt(8)
	v_cvt_f32_f16_e32 v7, v66
	v_add_f32_e32 v6, v27, v6
	v_add_f32_e32 v6, v6, v7
	v_cvt_f16_f32_e32 v8, v6
	v_add_u32_e32 v6, 3, v0
	v_mov_b32_e32 v7, v1
	v_lshl_add_u64 v[6:7], v[6:7], 1, s[24:25]
	global_store_short v[6:7], v8, off
	s_or_b64 exec, exec, s[38:39]
	v_add_u32_e32 v0, s23, v0
	s_and_saveexec_b64 s[38:39], vcc
	s_cbranch_execz .LBB139_46
.LBB139_71:                             ;   in Loop: Header=BB139_12 Depth=1
	v_cvt_f32_i32_e32 v6, v38
	s_waitcnt vmcnt(7)
	v_cvt_f32_f16_e32 v7, v65
	v_add_f32_e32 v6, v31, v6
	v_add_f32_e32 v6, v6, v7
	v_cvt_f16_f32_e32 v8, v6
	v_lshl_add_u64 v[6:7], v[0:1], 1, s[24:25]
	global_store_short v[6:7], v8, off
	s_or_b64 exec, exec, s[38:39]
	s_and_saveexec_b64 s[38:39], s[6:7]
	s_cbranch_execz .LBB139_47
.LBB139_72:                             ;   in Loop: Header=BB139_12 Depth=1
	v_cvt_f32_i32_e32 v6, v40
	s_waitcnt vmcnt(6)
	v_cvt_f32_f16_e32 v7, v64
	v_add_f32_e32 v6, v33, v6
	v_add_f32_e32 v6, v6, v7
	v_cvt_f16_f32_e32 v8, v6
	v_add_u32_e32 v6, 1, v0
	v_mov_b32_e32 v7, v1
	v_lshl_add_u64 v[6:7], v[6:7], 1, s[24:25]
	global_store_short v[6:7], v8, off
	s_or_b64 exec, exec, s[38:39]
	s_and_saveexec_b64 s[38:39], s[8:9]
	s_cbranch_execz .LBB139_48
.LBB139_73:                             ;   in Loop: Header=BB139_12 Depth=1
	v_cvt_f32_i32_e32 v6, v48
	s_waitcnt vmcnt(5)
	v_cvt_f32_f16_e32 v7, v63
	v_add_f32_e32 v6, v34, v6
	v_add_f32_e32 v6, v6, v7
	v_cvt_f16_f32_e32 v8, v6
	v_add_u32_e32 v6, 2, v0
	v_mov_b32_e32 v7, v1
	v_lshl_add_u64 v[6:7], v[6:7], 1, s[24:25]
	global_store_short v[6:7], v8, off
	s_or_b64 exec, exec, s[38:39]
	s_and_saveexec_b64 s[38:39], s[10:11]
	s_cbranch_execz .LBB139_49
.LBB139_74:                             ;   in Loop: Header=BB139_12 Depth=1
	v_cvt_f32_i32_e32 v6, v37
	s_waitcnt vmcnt(4)
	v_cvt_f32_f16_e32 v7, v61
	v_add_f32_e32 v6, v35, v6
	v_add_f32_e32 v6, v6, v7
	v_cvt_f16_f32_e32 v8, v6
	v_add_u32_e32 v6, 3, v0
	v_mov_b32_e32 v7, v1
	v_lshl_add_u64 v[6:7], v[6:7], 1, s[24:25]
	global_store_short v[6:7], v8, off
	s_or_b64 exec, exec, s[38:39]
	v_add_u32_e32 v0, s23, v0
	s_and_saveexec_b64 s[38:39], vcc
	s_cbranch_execz .LBB139_50
.LBB139_75:                             ;   in Loop: Header=BB139_12 Depth=1
	v_cvt_f32_i32_e32 v6, v53
	s_waitcnt vmcnt(3)
	v_cvt_f32_f16_e32 v7, v62
	v_add_f32_e32 v6, v51, v6
	v_add_f32_e32 v6, v6, v7
	v_cvt_f16_f32_e32 v8, v6
	v_lshl_add_u64 v[6:7], v[0:1], 1, s[24:25]
	global_store_short v[6:7], v8, off
	s_or_b64 exec, exec, s[38:39]
	s_and_saveexec_b64 s[38:39], s[6:7]
	s_cbranch_execz .LBB139_51
.LBB139_76:                             ;   in Loop: Header=BB139_12 Depth=1
	v_cvt_f32_i32_e32 v6, v52
	s_waitcnt vmcnt(2)
	v_cvt_f32_f16_e32 v7, v60
	v_add_f32_e32 v6, v50, v6
	v_add_f32_e32 v6, v6, v7
	v_cvt_f16_f32_e32 v8, v6
	v_add_u32_e32 v6, 1, v0
	v_mov_b32_e32 v7, v1
	v_lshl_add_u64 v[6:7], v[6:7], 1, s[24:25]
	global_store_short v[6:7], v8, off
	s_or_b64 exec, exec, s[38:39]
	s_and_saveexec_b64 s[6:7], s[8:9]
	s_cbranch_execz .LBB139_52
.LBB139_77:                             ;   in Loop: Header=BB139_12 Depth=1
	v_cvt_f32_i32_e32 v6, v49
	s_waitcnt vmcnt(1)
	v_cvt_f32_f16_e32 v7, v55
	v_add_f32_e32 v6, v41, v6
	v_add_f32_e32 v6, v6, v7
	v_cvt_f16_f32_e32 v8, v6
	v_add_u32_e32 v6, 2, v0
	v_mov_b32_e32 v7, v1
	v_lshl_add_u64 v[6:7], v[6:7], 1, s[24:25]
	global_store_short v[6:7], v8, off
	s_or_b64 exec, exec, s[6:7]
	s_and_b64 exec, exec, s[10:11]
	s_cbranch_execnz .LBB139_53
	s_branch .LBB139_54
.LBB139_78:
	s_endpgm
	.section	.rodata,"a",@progbits
	.p2align	6, 0x0
	.amdhsa_kernel _Z16wvSplitK_hf_big_I6__halfLi32ELi4ELi16ELi8ELi1ELi5EEviiiiiiPKT_S3_S3_PS1_ii
		.amdhsa_group_segment_fixed_size 65536
		.amdhsa_private_segment_fixed_size 0
		.amdhsa_kernarg_size 64
		.amdhsa_user_sgpr_count 2
		.amdhsa_user_sgpr_dispatch_ptr 0
		.amdhsa_user_sgpr_queue_ptr 0
		.amdhsa_user_sgpr_kernarg_segment_ptr 1
		.amdhsa_user_sgpr_dispatch_id 0
		.amdhsa_user_sgpr_kernarg_preload_length 0
		.amdhsa_user_sgpr_kernarg_preload_offset 0
		.amdhsa_user_sgpr_private_segment_size 0
		.amdhsa_uses_dynamic_stack 0
		.amdhsa_enable_private_segment 0
		.amdhsa_system_sgpr_workgroup_id_x 1
		.amdhsa_system_sgpr_workgroup_id_y 0
		.amdhsa_system_sgpr_workgroup_id_z 0
		.amdhsa_system_sgpr_workgroup_info 0
		.amdhsa_system_vgpr_workitem_id 1
		.amdhsa_next_free_vgpr 96
		.amdhsa_next_free_sgpr 56
		.amdhsa_accum_offset 96
		.amdhsa_reserve_vcc 1
		.amdhsa_float_round_mode_32 0
		.amdhsa_float_round_mode_16_64 0
		.amdhsa_float_denorm_mode_32 3
		.amdhsa_float_denorm_mode_16_64 3
		.amdhsa_dx10_clamp 1
		.amdhsa_ieee_mode 1
		.amdhsa_fp16_overflow 0
		.amdhsa_tg_split 0
		.amdhsa_exception_fp_ieee_invalid_op 0
		.amdhsa_exception_fp_denorm_src 0
		.amdhsa_exception_fp_ieee_div_zero 0
		.amdhsa_exception_fp_ieee_overflow 0
		.amdhsa_exception_fp_ieee_underflow 0
		.amdhsa_exception_fp_ieee_inexact 0
		.amdhsa_exception_int_div_zero 0
	.end_amdhsa_kernel
	.section	.text._Z16wvSplitK_hf_big_I6__halfLi32ELi4ELi16ELi8ELi1ELi5EEviiiiiiPKT_S3_S3_PS1_ii,"axG",@progbits,_Z16wvSplitK_hf_big_I6__halfLi32ELi4ELi16ELi8ELi1ELi5EEviiiiiiPKT_S3_S3_PS1_ii,comdat
.Lfunc_end139:
	.size	_Z16wvSplitK_hf_big_I6__halfLi32ELi4ELi16ELi8ELi1ELi5EEviiiiiiPKT_S3_S3_PS1_ii, .Lfunc_end139-_Z16wvSplitK_hf_big_I6__halfLi32ELi4ELi16ELi8ELi1ELi5EEviiiiiiPKT_S3_S3_PS1_ii
                                        ; -- End function
	.section	.AMDGPU.csdata,"",@progbits
; Kernel info:
; codeLenInByte = 6688
; NumSgprs: 62
; NumVgprs: 96
; NumAgprs: 0
; TotalNumVgprs: 96
; ScratchSize: 0
; MemoryBound: 0
; FloatMode: 240
; IeeeMode: 1
; LDSByteSize: 65536 bytes/workgroup (compile time only)
; SGPRBlocks: 7
; VGPRBlocks: 11
; NumSGPRsForWavesPerEU: 62
; NumVGPRsForWavesPerEU: 96
; AccumOffset: 96
; Occupancy: 2
; WaveLimiterHint : 0
; COMPUTE_PGM_RSRC2:SCRATCH_EN: 0
; COMPUTE_PGM_RSRC2:USER_SGPR: 2
; COMPUTE_PGM_RSRC2:TRAP_HANDLER: 0
; COMPUTE_PGM_RSRC2:TGID_X_EN: 1
; COMPUTE_PGM_RSRC2:TGID_Y_EN: 0
; COMPUTE_PGM_RSRC2:TGID_Z_EN: 0
; COMPUTE_PGM_RSRC2:TIDIG_COMP_CNT: 1
; COMPUTE_PGM_RSRC3_GFX90A:ACCUM_OFFSET: 23
; COMPUTE_PGM_RSRC3_GFX90A:TG_SPLIT: 0
	.section	.text._Z16wvSplitK_hf_sml_I6__halfLi32ELi4ELi16ELi8ELi2ELi5EEviiiiiiPKT_S3_S3_PS1_ii,"axG",@progbits,_Z16wvSplitK_hf_sml_I6__halfLi32ELi4ELi16ELi8ELi2ELi5EEviiiiiiPKT_S3_S3_PS1_ii,comdat
	.protected	_Z16wvSplitK_hf_sml_I6__halfLi32ELi4ELi16ELi8ELi2ELi5EEviiiiiiPKT_S3_S3_PS1_ii ; -- Begin function _Z16wvSplitK_hf_sml_I6__halfLi32ELi4ELi16ELi8ELi2ELi5EEviiiiiiPKT_S3_S3_PS1_ii
	.globl	_Z16wvSplitK_hf_sml_I6__halfLi32ELi4ELi16ELi8ELi2ELi5EEviiiiiiPKT_S3_S3_PS1_ii
	.p2align	8
	.type	_Z16wvSplitK_hf_sml_I6__halfLi32ELi4ELi16ELi8ELi2ELi5EEviiiiiiPKT_S3_S3_PS1_ii,@function
_Z16wvSplitK_hf_sml_I6__halfLi32ELi4ELi16ELi8ELi2ELi5EEviiiiiiPKT_S3_S3_PS1_ii: ; @_Z16wvSplitK_hf_sml_I6__halfLi32ELi4ELi16ELi8ELi2ELi5EEviiiiiiPKT_S3_S3_PS1_ii
; %bb.0:
	s_load_dwordx4 s[4:7], s[0:1], 0x0
	v_and_b32_e32 v4, 0x3ff, v0
	v_bfe_u32 v5, v0, 10, 10
	v_lshlrev_b32_e32 v84, 3, v4
	v_lshl_add_u32 v6, v5, 8, v84
	s_waitcnt lgkmcnt(0)
	s_mul_i32 s3, s6, 5
	s_min_u32 s3, s3, 0x8000
	v_cmp_gt_u32_e32 vcc, s3, v6
	s_and_saveexec_b64 s[8:9], vcc
	s_cbranch_execz .LBB140_9
; %bb.1:
	s_load_dwordx2 s[10:11], s[0:1], 0x20
	v_lshlrev_b32_e32 v0, 1, v6
	v_add_u32_e32 v1, 0x1000, v6
	v_cmp_gt_u32_e32 vcc, s3, v1
	s_waitcnt lgkmcnt(0)
	global_load_dwordx4 v[8:11], v0, s[10:11]
	s_waitcnt vmcnt(0)
	ds_write_b128 v0, v[8:11]
	s_and_saveexec_b64 s[12:13], vcc
	s_xor_b64 s[12:13], exec, s[12:13]
	s_cbranch_execz .LBB140_9
; %bb.2:
	v_mov_b32_e32 v1, 0
	v_lshl_add_u64 v[2:3], s[10:11], 0, v[0:1]
	v_add_co_u32_e32 v8, vcc, 0x2000, v2
	v_add_u32_e32 v1, 0x2000, v6
	s_nop 0
	v_addc_co_u32_e32 v9, vcc, 0, v3, vcc
	global_load_dwordx4 v[8:11], v[8:9], off
	v_cmp_gt_u32_e32 vcc, s3, v1
	s_waitcnt vmcnt(0)
	ds_write_b128 v0, v[8:11] offset:8192
	s_and_saveexec_b64 s[10:11], vcc
	s_xor_b64 s[10:11], exec, s[10:11]
	s_cbranch_execz .LBB140_9
; %bb.3:
	v_add_co_u32_e32 v8, vcc, 0x4000, v2
	v_add_u32_e32 v1, 0x3000, v6
	s_nop 0
	v_addc_co_u32_e32 v9, vcc, 0, v3, vcc
	global_load_dwordx4 v[8:11], v[8:9], off
	v_cmp_gt_u32_e32 vcc, s3, v1
	s_waitcnt vmcnt(0)
	ds_write_b128 v0, v[8:11] offset:16384
	s_and_saveexec_b64 s[10:11], vcc
	s_xor_b64 s[10:11], exec, s[10:11]
	s_cbranch_execz .LBB140_9
; %bb.4:
	;; [unrolled: 12-line block ×6, first 2 shown]
	v_add_co_u32_e32 v2, vcc, 0xe000, v2
	s_nop 1
	v_addc_co_u32_e32 v3, vcc, 0, v3, vcc
	global_load_dwordx4 v[6:9], v[2:3], off
	s_waitcnt vmcnt(0)
	ds_write_b128 v0, v[6:9] offset:57344
.LBB140_9:
	s_or_b64 exec, exec, s[8:9]
	s_load_dwordx2 s[16:17], s[0:1], 0x38
	s_waitcnt lgkmcnt(0)
	s_barrier
	v_cmp_gt_u32_e32 vcc, s16, v5
	s_and_saveexec_b64 s[8:9], vcc
	s_cbranch_execz .LBB140_26
; %bb.10:
	s_load_dwordx2 s[12:13], s[0:1], 0x10
	s_mul_i32 s2, s2, s16
	v_add_lshl_u32 v64, s2, v5, 2
	v_cmp_gt_u32_e32 vcc, s7, v64
	s_and_b64 exec, exec, vcc
	s_cbranch_execz .LBB140_26
; %bb.11:
	s_load_dwordx4 s[8:11], s[0:1], 0x28
	s_load_dwordx2 s[14:15], s[0:1], 0x18
	s_cmp_lg_u32 s4, 0
	s_cselect_b64 s[2:3], -1, 0
	s_add_i32 s24, s4, -8
	s_add_i32 s25, s7, -1
	s_waitcnt lgkmcnt(0)
	s_cmp_lg_u64 s[8:9], 0
	s_cselect_b64 s[18:19], -1, 0
	s_abs_i32 s21, s13
	v_cvt_f32_u32_e32 v0, s12
	v_cvt_f32_u32_e32 v1, s21
	s_mul_i32 s20, s16, s17
	s_lshl_b32 s13, s20, 2
	v_rcp_iflag_f32_e32 v0, v0
	v_rcp_iflag_f32_e32 v1, v1
	s_sub_i32 s20, 0, s12
	v_cmp_eq_u32_e64 s[0:1], 31, v4
	v_mul_f32_e32 v0, 0x4f7ffffe, v0
	v_mul_f32_e32 v1, 0x4f7ffffe, v1
	v_cvt_u32_f32_e32 v0, v0
	v_cvt_u32_f32_e32 v1, v1
	s_mov_b64 s[16:17], 0
	v_mov_b32_e32 v67, 0
	v_mul_lo_u32 v2, s20, v0
	s_sub_i32 s20, 0, s21
	v_readfirstlane_b32 s22, v1
	s_mul_i32 s20, s20, s22
	s_mul_hi_u32 s20, s22, s20
	s_add_i32 s22, s22, s20
	s_sub_i32 s20, 1, s21
	s_cmp_lt_u32 s21, 2
	s_cselect_b32 s20, s20, 1
	s_sub_i32 s23, s20, s21
	s_cmp_ge_u32 s20, s21
	s_cselect_b32 s26, s23, s20
	s_lshr_b32 s20, s22, 31
	s_mul_i32 s20, s20, s21
	s_sub_i32 s20, 2, s20
	s_sub_i32 s23, s20, s21
	s_cmp_ge_u32 s20, s21
	s_cselect_b32 s20, s23, s20
	s_sub_i32 s23, s20, s21
	s_cmp_ge_u32 s20, s21
	s_cselect_b32 s27, s23, s20
	s_mul_hi_u32 s20, s22, 3
	s_mul_i32 s20, s20, s21
	s_sub_i32 s20, 3, s20
	s_sub_i32 s23, s20, s21
	s_cmp_ge_u32 s20, s21
	s_cselect_b32 s20, s23, s20
	s_sub_i32 s23, s20, s21
	s_cmp_ge_u32 s20, s21
	s_cselect_b32 s28, s23, s20
	s_lshr_b32 s20, s22, 30
	s_mul_i32 s20, s20, s21
	s_sub_i32 s20, 4, s20
	s_sub_i32 s22, s20, s21
	s_cmp_ge_u32 s20, s21
	s_cselect_b32 s20, s22, s20
	s_sub_i32 s22, s20, s21
	v_mul_hi_u32 v2, v0, v2
	s_cmp_ge_u32 s20, s21
	v_add_u32_e32 v85, v0, v2
	s_cselect_b32 s29, s22, s20
	v_cndmask_b32_e64 v0, 0, 1, s[2:3]
	s_mul_i32 s26, s26, s12
	s_mul_i32 s27, s27, s12
	;; [unrolled: 1-line block ×4, first 2 shown]
	s_lshl_b32 s30, s6, 3
	v_lshlrev_b32_e32 v86, 4, v4
	s_mul_i32 s31, s6, 6
	s_lshl_b32 s33, s6, 2
	s_lshl_b32 s6, s6, 1
	v_cmp_ne_u32_e64 s[2:3], 1, v0
	s_branch .LBB140_14
.LBB140_12:                             ;   in Loop: Header=BB140_14 Depth=1
	v_cvt_f32_i32_e32 v2, v2
	v_cvt_f32_i32_e32 v4, v4
	;; [unrolled: 1-line block ×4, first 2 shown]
	v_add_f32_e32 v0, v0, v2
	v_cvt_f32_i32_e32 v2, v10
	v_add_f32_e32 v1, v1, v4
	v_add_f32_e32 v4, v5, v8
	;; [unrolled: 1-line block ×4, first 2 shown]
	v_cvt_f32_i32_e32 v2, v12
	v_cvt_f32_i32_e32 v7, v16
	;; [unrolled: 1-line block ×4, first 2 shown]
	v_add_f32_e32 v9, v9, v2
	v_cvt_f32_i32_e32 v2, v20
	v_add_f32_e32 v7, v13, v7
	s_waitcnt vmcnt(19)
	v_cvt_f32_f16_e32 v20, v59
	v_add_f32_e32 v6, v11, v6
	v_add_f32_e32 v13, v17, v2
	v_cvt_f32_i32_e32 v2, v28
	v_cvt_f32_i32_e32 v11, v23
	v_add_f32_e32 v0, v0, v20
	s_waitcnt vmcnt(17)
	v_cvt_f32_f16_e32 v20, v57
	v_add_f32_e32 v17, v25, v2
	v_cvt_f32_i32_e32 v2, v38
	v_add_f32_e32 v11, v21, v11
	v_cvt_f16_f32_e32 v22, v0
	s_waitcnt vmcnt(16)
	v_cvt_f32_f16_e32 v0, v56
	v_add_f32_e32 v21, v33, v2
	v_cvt_f32_f16_e32 v2, v58
	v_add_u32_e32 v66, s7, v64
	v_add_f32_e32 v0, v4, v0
	v_cvt_f32_i32_e32 v8, v18
	v_add_f32_e32 v1, v1, v2
	v_add_f32_e32 v2, v3, v20
	v_cvt_f16_f32_e32 v2, v2
	v_cvt_f16_f32_e32 v3, v0
	;; [unrolled: 1-line block ×3, first 2 shown]
	s_waitcnt vmcnt(15)
	v_cvt_f32_f16_e32 v20, v53
	v_lshl_add_u64 v[0:1], v[64:65], 1, s[10:11]
	v_pack_b32_f16 v3, v2, v3
	v_pack_b32_f16 v2, v22, v4
	global_store_dwordx2 v[0:1], v[2:3], off
	v_add_f32_e32 v0, v5, v20
	v_cvt_f16_f32_e32 v2, v0
	s_waitcnt vmcnt(15)
	v_cvt_f32_f16_e32 v3, v51
	v_lshl_add_u64 v[0:1], v[66:67], 1, s[10:11]
	s_waitcnt vmcnt(11)
	v_cvt_f32_f16_e32 v4, v54
	global_store_short v[0:1], v2, off
	v_add_f32_e32 v0, v9, v3
	v_cvt_f16_f32_e32 v2, v0
	v_cvt_f32_f16_e32 v3, v49
	v_add_u32_e32 v0, 1, v66
	v_mov_b32_e32 v1, v67
	v_lshl_add_u64 v[0:1], v[0:1], 1, s[10:11]
	global_store_short v[0:1], v2, off
	v_add_f32_e32 v0, v6, v3
	v_cvt_f16_f32_e32 v2, v0
	v_cvt_f32_f16_e32 v3, v47
	v_add_u32_e32 v0, 2, v66
	v_mov_b32_e32 v1, v67
	v_lshl_add_u64 v[0:1], v[0:1], 1, s[10:11]
	global_store_short v[0:1], v2, off
	v_add_f32_e32 v0, v7, v3
	v_cvt_f16_f32_e32 v2, v0
	v_cvt_f32_f16_e32 v3, v55
	v_add_u32_e32 v0, 3, v66
	v_mov_b32_e32 v1, v67
	v_add_f32_e32 v8, v15, v8
	v_lshl_add_u64 v[0:1], v[0:1], 1, s[10:11]
	global_store_short v[0:1], v2, off
	v_add_f32_e32 v0, v8, v3
	v_cvt_f16_f32_e32 v2, v0
	v_add_f32_e32 v0, v13, v4
	v_cvt_f16_f32_e32 v3, v0
	s_waitcnt vmcnt(14)
	v_cvt_f32_f16_e32 v4, v52
	v_add_u32_e32 v66, s7, v66
	v_add_f32_e32 v10, v19, v10
	v_lshl_add_u64 v[0:1], v[66:67], 1, s[10:11]
	v_pack_b32_f16 v2, v2, v3
	global_store_dword v[0:1], v2, off
	v_add_f32_e32 v0, v10, v4
	v_cvt_f16_f32_e32 v2, v0
	s_waitcnt vmcnt(14)
	v_cvt_f32_f16_e32 v3, v50
	v_add_u32_e32 v0, 2, v66
	v_mov_b32_e32 v1, v67
	v_lshl_add_u64 v[0:1], v[0:1], 1, s[10:11]
	v_cvt_f32_i32_e32 v12, v26
	global_store_short v[0:1], v2, off
	v_add_f32_e32 v0, v11, v3
	v_cvt_f16_f32_e32 v2, v0
	s_waitcnt vmcnt(14)
	v_cvt_f32_f16_e32 v3, v48
	v_add_u32_e32 v0, 3, v66
	v_mov_b32_e32 v1, v67
	v_add_f32_e32 v12, v24, v12
	v_lshl_add_u64 v[0:1], v[0:1], 1, s[10:11]
	global_store_short v[0:1], v2, off
	v_add_f32_e32 v0, v12, v3
	v_cvt_f16_f32_e32 v2, v0
	s_waitcnt vmcnt(14)
	v_cvt_f32_f16_e32 v3, v46
	v_add_u32_e32 v66, s7, v66
	v_lshl_add_u64 v[0:1], v[66:67], 1, s[10:11]
	v_cvt_f32_i32_e32 v14, v30
	global_store_short v[0:1], v2, off
	v_add_f32_e32 v0, v17, v3
	v_cvt_f16_f32_e32 v2, v0
	s_waitcnt vmcnt(14)
	v_cvt_f32_f16_e32 v3, v44
	v_add_u32_e32 v0, 1, v66
	v_mov_b32_e32 v1, v67
	v_add_f32_e32 v14, v27, v14
	v_lshl_add_u64 v[0:1], v[0:1], 1, s[10:11]
	v_cvt_f32_i32_e32 v15, v31
	global_store_short v[0:1], v2, off
	v_add_f32_e32 v0, v14, v3
	v_cvt_f16_f32_e32 v2, v0
	s_waitcnt vmcnt(14)
	v_cvt_f32_f16_e32 v3, v40
	v_add_u32_e32 v0, 2, v66
	v_mov_b32_e32 v1, v67
	v_add_f32_e32 v15, v29, v15
	;; [unrolled: 10-line block ×3, first 2 shown]
	v_lshl_add_u64 v[0:1], v[0:1], 1, s[10:11]
	v_cvt_f32_i32_e32 v18, v37
	v_cvt_f32_i32_e32 v19, v36
	global_store_short v[0:1], v2, off
	v_add_f32_e32 v0, v16, v3
	s_waitcnt vmcnt(14)
	v_cvt_f32_f16_e32 v1, v43
	s_waitcnt vmcnt(13)
	v_cvt_f32_f16_e32 v2, v42
	v_cvt_f16_f32_e32 v4, v0
	s_waitcnt vmcnt(12)
	v_cvt_f32_f16_e32 v0, v41
	v_add_f32_e32 v18, v34, v18
	v_add_f32_e32 v19, v35, v19
	;; [unrolled: 1-line block ×5, first 2 shown]
	v_cvt_f16_f32_e32 v2, v2
	v_cvt_f16_f32_e32 v3, v0
	;; [unrolled: 1-line block ×3, first 2 shown]
	v_add_u32_e32 v66, s7, v66
	v_lshl_add_u64 v[0:1], v[66:67], 1, s[10:11]
	v_pack_b32_f16 v3, v2, v3
	v_pack_b32_f16 v2, v4, v5
	global_store_dwordx2 v[0:1], v[2:3], off
.LBB140_13:                             ;   in Loop: Header=BB140_14 Depth=1
	s_or_b64 exec, exec, s[20:21]
	v_add_u32_e32 v64, s13, v64
	v_cmp_le_u32_e32 vcc, s7, v64
	s_or_b64 s[16:17], vcc, s[16:17]
	s_andn2_b64 exec, exec, s[16:17]
	s_cbranch_execz .LBB140_26
.LBB140_14:                             ; =>This Loop Header: Depth=1
                                        ;     Child Loop BB140_18 Depth 2
	s_mov_b32 s34, 0
	s_and_b64 vcc, exec, s[2:3]
	v_mov_b32_e32 v105, v67
	v_mov_b32_e32 v104, v67
	;; [unrolled: 1-line block ×20, first 2 shown]
	s_cbranch_vccnz .LBB140_21
; %bb.15:                               ;   in Loop: Header=BB140_14 Depth=1
	v_min_u32_e32 v0, s25, v64
	v_mul_lo_u32 v66, v0, s5
	v_or_b32_e32 v0, 1, v64
	v_or_b32_e32 v2, 2, v64
	;; [unrolled: 1-line block ×3, first 2 shown]
	v_min_u32_e32 v0, s25, v0
	v_min_u32_e32 v2, s25, v2
	v_min_u32_e32 v4, s25, v4
	v_mul_lo_u32 v0, v0, s5
	v_mov_b32_e32 v1, v67
	v_mul_lo_u32 v2, v2, s5
	v_mov_b32_e32 v3, v67
	;; [unrolled: 2-line block ×3, first 2 shown]
	v_mov_b32_e32 v97, 0
	v_lshlrev_b64 v[68:69], 1, v[66:67]
	v_lshlrev_b64 v[70:71], 1, v[0:1]
	;; [unrolled: 1-line block ×4, first 2 shown]
	v_mov_b32_e32 v106, v86
	v_mov_b32_e32 v96, 0
	;; [unrolled: 1-line block ×20, first 2 shown]
	s_branch .LBB140_18
.LBB140_16:                             ;   in Loop: Header=BB140_18 Depth=2
	s_or_b64 exec, exec, s[22:23]
.LBB140_17:                             ;   in Loop: Header=BB140_18 Depth=2
	s_or_b64 exec, exec, s[20:21]
	s_waitcnt vmcnt(7) lgkmcnt(1)
	;;#ASMSTART
	v_dot2c_f32_f16 v105, v60, v40
	;;#ASMEND
	s_waitcnt vmcnt(6)
	;;#ASMSTART
	v_dot2c_f32_f16 v104, v60, v36
	;;#ASMEND
	s_waitcnt vmcnt(5)
	;; [unrolled: 4-line block ×3, first 2 shown]
	;;#ASMSTART
	v_dot2c_f32_f16 v102, v60, v28
	;;#ASMEND
	;;#ASMSTART
	v_dot2c_f32_f16 v101, v56, v40
	;;#ASMEND
	;;#ASMSTART
	v_dot2c_f32_f16 v100, v56, v36
	;;#ASMEND
	;;#ASMSTART
	v_dot2c_f32_f16 v99, v56, v32
	;;#ASMEND
	;;#ASMSTART
	v_dot2c_f32_f16 v98, v56, v28
	;;#ASMEND
	;;#ASMSTART
	v_dot2c_f32_f16 v97, v80, v40
	;;#ASMEND
	;;#ASMSTART
	v_dot2c_f32_f16 v96, v80, v36
	;;#ASMEND
	;;#ASMSTART
	v_dot2c_f32_f16 v95, v80, v32
	;;#ASMEND
	;;#ASMSTART
	v_dot2c_f32_f16 v94, v80, v28
	;;#ASMEND
	;;#ASMSTART
	v_dot2c_f32_f16 v93, v52, v40
	;;#ASMEND
	;;#ASMSTART
	v_dot2c_f32_f16 v92, v52, v36
	;;#ASMEND
	;;#ASMSTART
	v_dot2c_f32_f16 v91, v52, v32
	;;#ASMEND
	;;#ASMSTART
	v_dot2c_f32_f16 v90, v52, v28
	;;#ASMEND
	s_waitcnt lgkmcnt(0)
	;;#ASMSTART
	v_dot2c_f32_f16 v89, v48, v40
	;;#ASMEND
	;;#ASMSTART
	v_dot2c_f32_f16 v88, v48, v36
	;;#ASMEND
	;;#ASMSTART
	v_dot2c_f32_f16 v87, v48, v32
	;;#ASMEND
	;;#ASMSTART
	v_dot2c_f32_f16 v65, v48, v28
	;;#ASMEND
	;;#ASMSTART
	v_dot2c_f32_f16 v105, v61, v41
	;;#ASMEND
	;;#ASMSTART
	v_dot2c_f32_f16 v104, v61, v37
	;;#ASMEND
	;;#ASMSTART
	v_dot2c_f32_f16 v103, v61, v33
	;;#ASMEND
	;;#ASMSTART
	v_dot2c_f32_f16 v102, v61, v29
	;;#ASMEND
	;;#ASMSTART
	v_dot2c_f32_f16 v101, v57, v41
	;;#ASMEND
	;;#ASMSTART
	v_dot2c_f32_f16 v100, v57, v37
	;;#ASMEND
	;;#ASMSTART
	v_dot2c_f32_f16 v99, v57, v33
	;;#ASMEND
	;;#ASMSTART
	v_dot2c_f32_f16 v98, v57, v29
	;;#ASMEND
	;;#ASMSTART
	v_dot2c_f32_f16 v97, v81, v41
	;;#ASMEND
	;;#ASMSTART
	v_dot2c_f32_f16 v96, v81, v37
	;;#ASMEND
	;;#ASMSTART
	v_dot2c_f32_f16 v95, v81, v33
	;;#ASMEND
	;;#ASMSTART
	v_dot2c_f32_f16 v94, v81, v29
	;;#ASMEND
	;;#ASMSTART
	v_dot2c_f32_f16 v93, v53, v41
	;;#ASMEND
	;;#ASMSTART
	v_dot2c_f32_f16 v92, v53, v37
	;;#ASMEND
	;;#ASMSTART
	v_dot2c_f32_f16 v91, v53, v33
	;;#ASMEND
	;;#ASMSTART
	v_dot2c_f32_f16 v90, v53, v29
	;;#ASMEND
	s_nop 0
	;;#ASMSTART
	v_dot2c_f32_f16 v89, v49, v41
	;;#ASMEND
	;;#ASMSTART
	v_dot2c_f32_f16 v88, v49, v37
	;;#ASMEND
	;;#ASMSTART
	v_dot2c_f32_f16 v87, v49, v33
	;;#ASMEND
	;;#ASMSTART
	v_dot2c_f32_f16 v65, v49, v29
	;;#ASMEND
	;;#ASMSTART
	v_dot2c_f32_f16 v105, v62, v42
	;;#ASMEND
	;;#ASMSTART
	v_dot2c_f32_f16 v104, v62, v38
	;;#ASMEND
	;;#ASMSTART
	v_dot2c_f32_f16 v103, v62, v34
	;;#ASMEND
	;;#ASMSTART
	v_dot2c_f32_f16 v102, v62, v30
	;;#ASMEND
	;;#ASMSTART
	v_dot2c_f32_f16 v101, v58, v42
	;;#ASMEND
	;;#ASMSTART
	v_dot2c_f32_f16 v100, v58, v38
	;;#ASMEND
	;;#ASMSTART
	v_dot2c_f32_f16 v99, v58, v34
	;;#ASMEND
	;;#ASMSTART
	v_dot2c_f32_f16 v98, v58, v30
	;;#ASMEND
	;;#ASMSTART
	v_dot2c_f32_f16 v97, v82, v42
	;;#ASMEND
	;;#ASMSTART
	v_dot2c_f32_f16 v96, v82, v38
	;;#ASMEND
	;;#ASMSTART
	v_dot2c_f32_f16 v95, v82, v34
	;;#ASMEND
	;;#ASMSTART
	v_dot2c_f32_f16 v94, v82, v30
	;;#ASMEND
	;;#ASMSTART
	v_dot2c_f32_f16 v93, v54, v42
	;;#ASMEND
	;;#ASMSTART
	v_dot2c_f32_f16 v92, v54, v38
	;;#ASMEND
	;;#ASMSTART
	v_dot2c_f32_f16 v91, v54, v34
	;;#ASMEND
	;;#ASMSTART
	v_dot2c_f32_f16 v90, v54, v30
	;;#ASMEND
	s_nop 0
	;; [unrolled: 61-line block ×3, first 2 shown]
	;;#ASMSTART
	v_dot2c_f32_f16 v89, v51, v43
	;;#ASMEND
	;;#ASMSTART
	v_dot2c_f32_f16 v88, v51, v39
	;;#ASMEND
	;;#ASMSTART
	v_dot2c_f32_f16 v87, v51, v35
	;;#ASMEND
	;;#ASMSTART
	v_dot2c_f32_f16 v65, v51, v31
	;;#ASMEND
	s_waitcnt vmcnt(3)
	;;#ASMSTART
	v_dot2c_f32_f16 v105, v44, v12
	;;#ASMEND
	s_waitcnt vmcnt(2)
	;;#ASMSTART
	v_dot2c_f32_f16 v104, v44, v8
	;;#ASMEND
	;; [unrolled: 4-line block ×4, first 2 shown]
	;;#ASMSTART
	v_dot2c_f32_f16 v101, v24, v12
	;;#ASMEND
	;;#ASMSTART
	v_dot2c_f32_f16 v100, v24, v8
	;;#ASMEND
	;; [unrolled: 3-line block ×19, first 2 shown]
	s_nop 0
	;;#ASMSTART
	v_dot2c_f32_f16 v102, v45, v1
	;;#ASMEND
	;;#ASMSTART
	v_dot2c_f32_f16 v101, v25, v13
	;;#ASMEND
	;; [unrolled: 3-line block ×17, first 2 shown]
	s_addk_i32 s34, 0x200
	;;#ASMSTART
	v_dot2c_f32_f16 v105, v46, v14
	;;#ASMEND
	;;#ASMSTART
	v_dot2c_f32_f16 v104, v46, v10
	;;#ASMEND
	;; [unrolled: 3-line block ×20, first 2 shown]
	s_cmp_ge_u32 s34, s4
	v_add_u32_e32 v106, 0x400, v106
	;;#ASMSTART
	v_dot2c_f32_f16 v105, v47, v15
	;;#ASMEND
	;;#ASMSTART
	v_dot2c_f32_f16 v104, v47, v11
	;;#ASMEND
	;; [unrolled: 3-line block ×20, first 2 shown]
	s_cbranch_scc1 .LBB140_21
.LBB140_18:                             ;   Parent Loop BB140_14 Depth=1
                                        ; =>  This Inner Loop Header: Depth=2
	v_add_u32_e32 v20, s34, v84
	v_min_u32_e32 v66, s24, v20
	v_lshl_add_u64 v[0:1], v[66:67], 1, s[14:15]
	v_lshl_add_u64 v[2:3], v[0:1], 0, v[68:69]
	v_add_u32_e32 v107, 0x100, v20
	v_lshl_add_u64 v[4:5], v[0:1], 0, v[70:71]
	global_load_dwordx4 v[40:43], v[2:3], off nt
	global_load_dwordx4 v[36:39], v[4:5], off nt
	v_lshl_add_u64 v[2:3], v[0:1], 0, v[72:73]
	v_lshl_add_u64 v[0:1], v[0:1], 0, v[74:75]
	v_min_u32_e32 v66, s24, v107
	global_load_dwordx4 v[32:35], v[2:3], off nt
	global_load_dwordx4 v[28:31], v[0:1], off nt
	v_lshl_add_u64 v[0:1], v[66:67], 1, s[14:15]
	v_lshl_add_u64 v[2:3], v[0:1], 0, v[68:69]
	;; [unrolled: 1-line block ×4, first 2 shown]
	global_load_dwordx4 v[12:15], v[2:3], off nt
	global_load_dwordx4 v[8:11], v[4:5], off nt
	v_lshl_add_u64 v[18:19], v[0:1], 0, v[74:75]
	global_load_dwordx4 v[4:7], v[16:17], off nt
	global_load_dwordx4 v[0:3], v[18:19], off nt
	v_cmp_gt_u32_e32 vcc, s4, v20
	v_mov_b32_e32 v60, 0
	v_mov_b32_e32 v61, 0
	;; [unrolled: 1-line block ×40, first 2 shown]
	s_and_saveexec_b64 s[20:21], vcc
	s_cbranch_execz .LBB140_17
; %bb.19:                               ;   in Loop: Header=BB140_18 Depth=2
	v_add_u32_e32 v110, s6, v106
	v_add_u32_e32 v66, s33, v106
	ds_read_b128 v[56:59], v110
	ds_read2_b32 v[80:81], v66 offset1:1
	v_add_u32_e32 v109, s31, v106
	ds_read2_b32 v[82:83], v66 offset0:2 offset1:3
	ds_read_b128 v[52:55], v109
	v_add_u32_e32 v108, s30, v106
	ds_read_b128 v[60:63], v106
	ds_read2_b64 v[48:51], v108 offset1:1
	v_cmp_gt_u32_e32 vcc, s4, v107
	v_mov_b32_e32 v19, 0
	v_mov_b32_e32 v18, 0
	;; [unrolled: 1-line block ×20, first 2 shown]
	s_and_saveexec_b64 s[22:23], vcc
	s_cbranch_execz .LBB140_16
; %bb.20:                               ;   in Loop: Header=BB140_18 Depth=2
	ds_read_b128 v[24:27], v110 offset:512
	ds_read2_b32 v[78:79], v66 offset0:128 offset1:129
	ds_read2_b32 v[76:77], v66 offset0:130 offset1:131
	ds_read_b128 v[20:23], v109 offset:512
	ds_read_b128 v[44:47], v106 offset:512
	ds_read2_b64 v[16:19], v108 offset0:64 offset1:65
	s_branch .LBB140_16
.LBB140_21:                             ;   in Loop: Header=BB140_14 Depth=1
	; sched_barrier mask(0x00000000)
	v_cvt_i32_f32_e32 v0, v105
	v_cvt_i32_f32_e32 v1, v104
	;; [unrolled: 1-line block ×4, first 2 shown]
	v_cvt_f32_i32_dpp v0, v0 row_shr:8 row_mask:0xf bank_mask:0xf bound_ctrl:1
	v_cvt_f32_i32_dpp v1, v1 row_shr:8 row_mask:0xf bank_mask:0xf bound_ctrl:1
	;; [unrolled: 1-line block ×4, first 2 shown]
	v_add_f32_e32 v0, v105, v0
	v_cvt_i32_f32_e32 v4, v0
	v_add_f32_e32 v1, v104, v1
	v_cvt_i32_f32_e32 v5, v1
	v_add_f32_e32 v2, v103, v2
	v_cvt_f32_i32_dpp v4, v4 row_shr:4 row_mask:0xf bank_mask:0xf bound_ctrl:1
	v_cvt_i32_f32_e32 v6, v2
	v_cvt_f32_i32_dpp v5, v5 row_shr:4 row_mask:0xf bank_mask:0xf bound_ctrl:1
	v_add_f32_e32 v3, v102, v3
	v_add_f32_e32 v0, v0, v4
	v_cvt_i32_f32_e32 v4, v0
	v_add_f32_e32 v1, v1, v5
	v_cvt_i32_f32_e32 v5, v1
	v_cvt_f32_i32_dpp v6, v6 row_shr:4 row_mask:0xf bank_mask:0xf bound_ctrl:1
	v_cvt_f32_i32_dpp v4, v4 row_shr:2 row_mask:0xf bank_mask:0xf bound_ctrl:1
	v_cvt_i32_f32_e32 v7, v3
	v_cvt_f32_i32_dpp v5, v5 row_shr:2 row_mask:0xf bank_mask:0xf bound_ctrl:1
	v_add_f32_e32 v2, v2, v6
	v_add_f32_e32 v0, v0, v4
	v_cvt_i32_f32_e32 v4, v0
	v_add_f32_e32 v1, v1, v5
	v_cvt_i32_f32_e32 v5, v1
	v_cvt_i32_f32_e32 v6, v2
	v_cvt_f32_i32_dpp v4, v4 row_shr:1 row_mask:0xf bank_mask:0xf bound_ctrl:1
	v_cvt_f32_i32_dpp v7, v7 row_shr:4 row_mask:0xf bank_mask:0xf bound_ctrl:1
	;; [unrolled: 1-line block ×4, first 2 shown]
	v_add_f32_e32 v0, v0, v4
	v_cvt_i32_f32_e32 v4, v0
	v_add_f32_e32 v1, v1, v5
	v_cvt_i32_f32_e32 v5, v1
	v_add_f32_e32 v6, v2, v6
	v_cvt_f32_i32_dpp v4, v4 row_bcast:15 row_mask:0xf bank_mask:0xf bound_ctrl:1
	v_cvt_i32_f32_e32 v2, v6
	v_cvt_f32_i32_dpp v5, v5 row_bcast:15 row_mask:0xf bank_mask:0xf bound_ctrl:1
	v_add_f32_e32 v3, v3, v7
	v_add_f32_e32 v0, v0, v4
	v_cvt_i32_f32_e32 v4, v0
	v_cvt_f32_i32_dpp v7, v2 row_shr:1 row_mask:0xf bank_mask:0xf bound_ctrl:1
	v_add_f32_e32 v1, v1, v5
	v_cvt_i32_f32_e32 v5, v1
	v_mov_b32_dpp v2, v4 row_bcast:31 row_mask:0xf bank_mask:0xf bound_ctrl:1
	v_cvt_i32_f32_e32 v4, v3
	v_add_f32_e32 v6, v6, v7
	v_cvt_i32_f32_e32 v7, v101
	v_cvt_i32_f32_e32 v8, v6
	v_cvt_f32_i32_dpp v9, v4 row_shr:2 row_mask:0xf bank_mask:0xf bound_ctrl:1
	v_mov_b32_dpp v4, v5 row_bcast:31 row_mask:0xf bank_mask:0xf bound_ctrl:1
	v_cvt_f32_i32_dpp v5, v7 row_shr:8 row_mask:0xf bank_mask:0xf bound_ctrl:1
	v_cvt_f32_i32_dpp v7, v8 row_bcast:15 row_mask:0xf bank_mask:0xf bound_ctrl:1
	v_add_f32_e32 v8, v3, v9
	v_cvt_i32_f32_e32 v9, v8
	v_add_f32_e32 v5, v101, v5
	v_cvt_i32_f32_e32 v10, v5
	v_add_f32_e32 v3, v6, v7
	v_cvt_f32_i32_dpp v6, v9 row_shr:1 row_mask:0xf bank_mask:0xf bound_ctrl:1
	v_cvt_i32_f32_e32 v7, v100
	v_cvt_f32_i32_dpp v9, v10 row_shr:4 row_mask:0xf bank_mask:0xf bound_ctrl:1
	v_cvt_i32_f32_e32 v10, v3
	v_add_f32_e32 v8, v8, v6
	v_cvt_f32_i32_dpp v6, v7 row_shr:8 row_mask:0xf bank_mask:0xf bound_ctrl:1
	v_add_f32_e32 v5, v5, v9
	v_cvt_i32_f32_e32 v7, v5
	v_cvt_i32_f32_e32 v9, v8
	v_add_f32_e32 v11, v100, v6
	v_cvt_i32_f32_e32 v12, v11
	v_cvt_f32_i32_dpp v7, v7 row_shr:2 row_mask:0xf bank_mask:0xf bound_ctrl:1
	v_mov_b32_dpp v6, v10 row_bcast:31 row_mask:0xf bank_mask:0xf bound_ctrl:1
	v_cvt_f32_i32_dpp v9, v9 row_bcast:15 row_mask:0xf bank_mask:0xf bound_ctrl:1
	v_cvt_f32_i32_dpp v10, v12 row_shr:4 row_mask:0xf bank_mask:0xf bound_ctrl:1
	v_add_f32_e32 v7, v5, v7
	v_cvt_i32_f32_e32 v12, v7
	v_add_f32_e32 v5, v8, v9
	v_add_f32_e32 v8, v11, v10
	v_cvt_i32_f32_e32 v9, v8
	v_cvt_f32_i32_dpp v10, v12 row_shr:1 row_mask:0xf bank_mask:0xf bound_ctrl:1
	v_cvt_i32_f32_e32 v11, v99
	v_cvt_i32_f32_e32 v12, v5
	v_cvt_f32_i32_dpp v9, v9 row_shr:2 row_mask:0xf bank_mask:0xf bound_ctrl:1
	v_add_f32_e32 v7, v7, v10
	v_cvt_f32_i32_dpp v10, v11 row_shr:8 row_mask:0xf bank_mask:0xf bound_ctrl:1
	v_cvt_i32_f32_e32 v11, v7
	v_add_f32_e32 v9, v8, v9
	v_cvt_i32_f32_e32 v8, v9
	v_add_f32_e32 v10, v99, v10
	v_cvt_i32_f32_e32 v13, v10
	v_cvt_f32_i32_dpp v11, v11 row_bcast:15 row_mask:0xf bank_mask:0xf bound_ctrl:1
	v_cvt_f32_i32_dpp v14, v8 row_shr:1 row_mask:0xf bank_mask:0xf bound_ctrl:1
	v_mov_b32_dpp v8, v12 row_bcast:31 row_mask:0xf bank_mask:0xf bound_ctrl:1
	v_cvt_f32_i32_dpp v12, v13 row_shr:4 row_mask:0xf bank_mask:0xf bound_ctrl:1
	v_add_f32_e32 v7, v7, v11
	v_cvt_i32_f32_e32 v11, v98
	v_add_f32_e32 v9, v9, v14
	v_add_f32_e32 v10, v10, v12
	v_cvt_i32_f32_e32 v12, v10
	v_cvt_f32_i32_dpp v11, v11 row_shr:8 row_mask:0xf bank_mask:0xf bound_ctrl:1
	v_cvt_i32_f32_e32 v14, v7
	v_cvt_i32_f32_e32 v13, v9
	v_cvt_f32_i32_dpp v12, v12 row_shr:2 row_mask:0xf bank_mask:0xf bound_ctrl:1
	v_add_f32_e32 v11, v98, v11
	v_cvt_i32_f32_e32 v15, v11
	v_cvt_f32_i32_dpp v13, v13 row_bcast:15 row_mask:0xf bank_mask:0xf bound_ctrl:1
	v_add_f32_e32 v12, v10, v12
	v_mov_b32_dpp v10, v14 row_bcast:31 row_mask:0xf bank_mask:0xf bound_ctrl:1
	v_cvt_f32_i32_dpp v14, v15 row_shr:4 row_mask:0xf bank_mask:0xf bound_ctrl:1
	v_cvt_i32_f32_e32 v16, v12
	v_add_f32_e32 v9, v9, v13
	v_cvt_i32_f32_e32 v15, v9
	v_add_f32_e32 v11, v11, v14
	v_cvt_f32_i32_dpp v13, v16 row_shr:1 row_mask:0xf bank_mask:0xf bound_ctrl:1
	v_cvt_i32_f32_e32 v14, v11
	v_cvt_i32_f32_e32 v16, v97
	;; [unrolled: 1-line block ×3, first 2 shown]
	v_add_f32_e32 v13, v12, v13
	v_cvt_f32_i32_dpp v14, v14 row_shr:2 row_mask:0xf bank_mask:0xf bound_ctrl:1
	v_cvt_i32_f32_e32 v17, v13
	v_mov_b32_dpp v12, v15 row_bcast:31 row_mask:0xf bank_mask:0xf bound_ctrl:1
	v_cvt_f32_i32_dpp v15, v16 row_shr:8 row_mask:0xf bank_mask:0xf bound_ctrl:1
	v_add_f32_e32 v14, v11, v14
	v_cvt_f32_i32_dpp v16, v17 row_bcast:15 row_mask:0xf bank_mask:0xf bound_ctrl:1
	v_cvt_i32_f32_e32 v17, v14
	v_add_f32_e32 v15, v97, v15
	v_cvt_i32_f32_e32 v18, v15
	v_add_f32_e32 v11, v13, v16
	v_cvt_f32_i32_dpp v13, v17 row_shr:1 row_mask:0xf bank_mask:0xf bound_ctrl:1
	v_cvt_i32_f32_e32 v16, v96
	v_cvt_f32_i32_dpp v17, v18 row_shr:4 row_mask:0xf bank_mask:0xf bound_ctrl:1
	v_cvt_i32_f32_e32 v18, v11
	v_add_f32_e32 v13, v14, v13
	v_cvt_f32_i32_dpp v14, v16 row_shr:8 row_mask:0xf bank_mask:0xf bound_ctrl:1
	v_add_f32_e32 v15, v15, v17
	v_cvt_i32_f32_e32 v16, v15
	v_cvt_i32_f32_e32 v17, v13
	v_add_f32_e32 v19, v96, v14
	v_cvt_i32_f32_e32 v20, v19
	v_cvt_f32_i32_dpp v16, v16 row_shr:2 row_mask:0xf bank_mask:0xf bound_ctrl:1
	v_mov_b32_dpp v14, v18 row_bcast:31 row_mask:0xf bank_mask:0xf bound_ctrl:1
	v_cvt_f32_i32_dpp v17, v17 row_bcast:15 row_mask:0xf bank_mask:0xf bound_ctrl:1
	v_cvt_f32_i32_dpp v18, v20 row_shr:4 row_mask:0xf bank_mask:0xf bound_ctrl:1
	v_add_f32_e32 v15, v15, v16
	v_cvt_i32_f32_e32 v16, v15
	v_add_f32_e32 v13, v13, v17
	v_add_f32_e32 v17, v19, v18
	v_cvt_i32_f32_e32 v18, v17
	v_cvt_f32_i32_dpp v16, v16 row_shr:1 row_mask:0xf bank_mask:0xf bound_ctrl:1
	v_cvt_i32_f32_e32 v19, v95
	v_cvt_i32_f32_e32 v20, v13
	v_cvt_f32_i32_dpp v18, v18 row_shr:2 row_mask:0xf bank_mask:0xf bound_ctrl:1
	v_add_f32_e32 v15, v15, v16
	v_cvt_f32_i32_dpp v16, v19 row_shr:8 row_mask:0xf bank_mask:0xf bound_ctrl:1
	v_cvt_i32_f32_e32 v19, v15
	v_add_f32_e32 v17, v17, v18
	v_cvt_i32_f32_e32 v18, v17
	v_add_f32_e32 v21, v95, v16
	v_cvt_i32_f32_e32 v22, v21
	v_cvt_f32_i32_dpp v19, v19 row_bcast:15 row_mask:0xf bank_mask:0xf bound_ctrl:1
	v_cvt_f32_i32_dpp v18, v18 row_shr:1 row_mask:0xf bank_mask:0xf bound_ctrl:1
	v_mov_b32_dpp v16, v20 row_bcast:31 row_mask:0xf bank_mask:0xf bound_ctrl:1
	v_cvt_f32_i32_dpp v20, v22 row_shr:4 row_mask:0xf bank_mask:0xf bound_ctrl:1
	v_add_f32_e32 v15, v15, v19
	v_add_f32_e32 v17, v17, v18
	v_cvt_i32_f32_e32 v18, v94
	v_add_f32_e32 v19, v21, v20
	v_cvt_i32_f32_e32 v20, v19
	v_cvt_i32_f32_e32 v21, v17
	v_cvt_f32_i32_dpp v18, v18 row_shr:8 row_mask:0xf bank_mask:0xf bound_ctrl:1
	v_cvt_i32_f32_e32 v22, v15
	v_cvt_f32_i32_dpp v20, v20 row_shr:2 row_mask:0xf bank_mask:0xf bound_ctrl:1
	v_cvt_f32_i32_dpp v21, v21 row_bcast:15 row_mask:0xf bank_mask:0xf bound_ctrl:1
	v_add_f32_e32 v23, v94, v18
	v_cvt_i32_f32_e32 v24, v23
	v_add_f32_e32 v19, v19, v20
	v_mov_b32_dpp v18, v22 row_bcast:31 row_mask:0xf bank_mask:0xf bound_ctrl:1
	v_cvt_i32_f32_e32 v20, v19
	v_cvt_f32_i32_dpp v22, v24 row_shr:4 row_mask:0xf bank_mask:0xf bound_ctrl:1
	v_add_f32_e32 v17, v17, v21
	v_cvt_i32_f32_e32 v21, v93
	v_cvt_f32_i32_dpp v20, v20 row_shr:1 row_mask:0xf bank_mask:0xf bound_ctrl:1
	v_add_f32_e32 v22, v23, v22
	;; [unrolled: 3-line block ×4, first 2 shown]
	v_cvt_i32_f32_e32 v25, v21
	v_cvt_i32_f32_e32 v23, v19
	v_add_f32_e32 v22, v22, v20
	v_cvt_i32_f32_e32 v26, v22
	v_cvt_f32_i32_dpp v25, v25 row_shr:4 row_mask:0xf bank_mask:0xf bound_ctrl:1
	v_cvt_f32_i32_dpp v23, v23 row_bcast:15 row_mask:0xf bank_mask:0xf bound_ctrl:1
	v_mov_b32_dpp v20, v24 row_bcast:31 row_mask:0xf bank_mask:0xf bound_ctrl:1
	v_cvt_f32_i32_dpp v24, v26 row_shr:1 row_mask:0xf bank_mask:0xf bound_ctrl:1
	v_add_f32_e32 v21, v21, v25
	v_add_f32_e32 v19, v19, v23
	v_cvt_i32_f32_e32 v23, v21
	v_add_f32_e32 v24, v22, v24
	v_cvt_i32_f32_e32 v22, v92
	v_cvt_i32_f32_e32 v25, v24
	v_cvt_f32_i32_dpp v23, v23 row_shr:2 row_mask:0xf bank_mask:0xf bound_ctrl:1
	v_cvt_i32_f32_e32 v26, v19
	v_cvt_f32_i32_dpp v22, v22 row_shr:8 row_mask:0xf bank_mask:0xf bound_ctrl:1
	v_cvt_f32_i32_dpp v25, v25 row_bcast:15 row_mask:0xf bank_mask:0xf bound_ctrl:1
	v_add_f32_e32 v23, v21, v23
	v_cvt_i32_f32_e32 v21, v23
	v_add_f32_e32 v27, v92, v22
	v_cvt_i32_f32_e32 v28, v27
	v_mov_b32_dpp v22, v26 row_bcast:31 row_mask:0xf bank_mask:0xf bound_ctrl:1
	v_cvt_f32_i32_dpp v26, v21 row_shr:1 row_mask:0xf bank_mask:0xf bound_ctrl:1
	v_add_f32_e32 v21, v24, v25
	v_cvt_f32_i32_dpp v24, v28 row_shr:4 row_mask:0xf bank_mask:0xf bound_ctrl:1
	v_cvt_i32_f32_e32 v25, v21
	v_add_f32_e32 v26, v23, v26
	v_cvt_i32_f32_e32 v23, v91
	v_add_f32_e32 v24, v27, v24
	v_cvt_i32_f32_e32 v27, v24
	v_cvt_i32_f32_e32 v28, v26
	v_cvt_f32_i32_dpp v29, v23 row_shr:8 row_mask:0xf bank_mask:0xf bound_ctrl:1
	v_mov_b32_dpp v23, v25 row_bcast:31 row_mask:0xf bank_mask:0xf bound_ctrl:1
	v_cvt_f32_i32_dpp v25, v27 row_shr:2 row_mask:0xf bank_mask:0xf bound_ctrl:1
	v_cvt_f32_i32_dpp v27, v28 row_bcast:15 row_mask:0xf bank_mask:0xf bound_ctrl:1
	v_add_f32_e32 v28, v91, v29
	v_cvt_i32_f32_e32 v29, v28
	v_add_f32_e32 v25, v24, v25
	v_add_f32_e32 v24, v26, v27
	v_cvt_f32_i32_dpp v26, v30 row_shr:8 row_mask:0xf bank_mask:0xf bound_ctrl:1
	v_cvt_f32_i32_dpp v29, v29 row_shr:4 row_mask:0xf bank_mask:0xf bound_ctrl:1
	v_cvt_i32_f32_e32 v31, v25
	v_add_f32_e32 v26, v90, v26
	v_add_f32_e32 v28, v28, v29
	v_cvt_i32_f32_e32 v29, v28
	v_cvt_f32_i32_dpp v27, v31 row_shr:1 row_mask:0xf bank_mask:0xf bound_ctrl:1
	v_cvt_i32_f32_e32 v30, v26
	v_cvt_i32_f32_e32 v31, v24
	v_cvt_f32_i32_dpp v29, v29 row_shr:2 row_mask:0xf bank_mask:0xf bound_ctrl:1
	v_add_f32_e32 v25, v25, v27
	v_cvt_f32_i32_dpp v27, v30 row_shr:4 row_mask:0xf bank_mask:0xf bound_ctrl:1
	v_cvt_i32_f32_e32 v30, v25
	v_add_f32_e32 v28, v28, v29
	v_cvt_i32_f32_e32 v29, v28
	v_add_f32_e32 v27, v26, v27
	v_cvt_i32_f32_e32 v32, v27
	v_mov_b32_dpp v26, v31 row_bcast:31 row_mask:0xf bank_mask:0xf bound_ctrl:1
	v_cvt_f32_i32_dpp v29, v29 row_shr:1 row_mask:0xf bank_mask:0xf bound_ctrl:1
	v_cvt_f32_i32_dpp v30, v30 row_bcast:15 row_mask:0xf bank_mask:0xf bound_ctrl:1
	v_cvt_f32_i32_dpp v31, v32 row_shr:2 row_mask:0xf bank_mask:0xf bound_ctrl:1
	v_add_f32_e32 v29, v28, v29
	v_cvt_i32_f32_e32 v28, v89
	v_add_f32_e32 v27, v27, v31
	v_add_f32_e32 v25, v25, v30
	v_cvt_i32_f32_e32 v30, v27
	v_cvt_f32_i32_dpp v28, v28 row_shr:8 row_mask:0xf bank_mask:0xf bound_ctrl:1
	v_cvt_i32_f32_e32 v31, v29
	v_cvt_i32_f32_e32 v32, v25
	v_cvt_f32_i32_dpp v30, v30 row_shr:1 row_mask:0xf bank_mask:0xf bound_ctrl:1
	v_add_f32_e32 v33, v89, v28
	v_cvt_i32_f32_e32 v34, v33
	v_cvt_f32_i32_dpp v31, v31 row_bcast:15 row_mask:0xf bank_mask:0xf bound_ctrl:1
	v_add_f32_e32 v30, v27, v30
	v_mov_b32_dpp v28, v32 row_bcast:31 row_mask:0xf bank_mask:0xf bound_ctrl:1
	v_cvt_f32_i32_dpp v32, v34 row_shr:4 row_mask:0xf bank_mask:0xf bound_ctrl:1
	v_cvt_i32_f32_e32 v35, v30
	v_add_f32_e32 v27, v29, v31
	v_cvt_i32_f32_e32 v31, v88
	v_add_f32_e32 v32, v33, v32
	v_cvt_f32_i32_dpp v29, v35 row_bcast:15 row_mask:0xf bank_mask:0xf bound_ctrl:1
	v_cvt_i32_f32_e32 v33, v32
	v_cvt_f32_i32_dpp v31, v31 row_shr:8 row_mask:0xf bank_mask:0xf bound_ctrl:1
	v_cvt_i32_f32_e32 v34, v27
	v_add_f32_e32 v29, v30, v29
	v_cvt_f32_i32_dpp v30, v33 row_shr:2 row_mask:0xf bank_mask:0xf bound_ctrl:1
	v_add_f32_e32 v35, v88, v31
	v_cvt_i32_f32_e32 v31, v35
	v_cvt_i32_f32_e32 v33, v29
	v_add_f32_e32 v32, v32, v30
	v_cvt_i32_f32_e32 v36, v32
	v_mov_b32_dpp v30, v34 row_bcast:31 row_mask:0xf bank_mask:0xf bound_ctrl:1
	v_cvt_f32_i32_dpp v34, v31 row_shr:4 row_mask:0xf bank_mask:0xf bound_ctrl:1
	v_mov_b32_dpp v31, v33 row_bcast:31 row_mask:0xf bank_mask:0xf bound_ctrl:1
	v_cvt_f32_i32_dpp v33, v36 row_shr:1 row_mask:0xf bank_mask:0xf bound_ctrl:1
	v_cvt_i32_f32_e32 v36, v87
	v_add_f32_e32 v34, v35, v34
	v_cvt_i32_f32_e32 v35, v65
	v_add_f32_e32 v32, v32, v33
	v_cvt_f32_i32_dpp v36, v36 row_shr:8 row_mask:0xf bank_mask:0xf bound_ctrl:1
	v_cvt_i32_f32_e32 v37, v34
	v_cvt_f32_i32_dpp v33, v35 row_shr:8 row_mask:0xf bank_mask:0xf bound_ctrl:1
	v_cvt_i32_f32_e32 v39, v32
	v_add_f32_e32 v36, v87, v36
	v_cvt_f32_i32_dpp v35, v37 row_shr:2 row_mask:0xf bank_mask:0xf bound_ctrl:1
	v_add_f32_e32 v33, v65, v33
	v_cvt_i32_f32_e32 v37, v36
	v_cvt_i32_f32_e32 v38, v33
	v_add_f32_e32 v34, v34, v35
	v_cvt_f32_i32_dpp v39, v39 row_bcast:15 row_mask:0xf bank_mask:0xf bound_ctrl:1
	v_cvt_f32_i32_dpp v37, v37 row_shr:4 row_mask:0xf bank_mask:0xf bound_ctrl:1
	v_cvt_f32_i32_dpp v35, v38 row_shr:4 row_mask:0xf bank_mask:0xf bound_ctrl:1
	v_cvt_i32_f32_e32 v38, v34
	v_add_f32_e32 v32, v32, v39
	v_add_f32_e32 v36, v36, v37
	;; [unrolled: 1-line block ×3, first 2 shown]
	v_cvt_i32_f32_e32 v37, v36
	v_cvt_i32_f32_e32 v35, v33
	v_cvt_f32_i32_dpp v38, v38 row_shr:1 row_mask:0xf bank_mask:0xf bound_ctrl:1
	v_cvt_i32_f32_e32 v40, v32
	v_cvt_f32_i32_dpp v37, v37 row_shr:2 row_mask:0xf bank_mask:0xf bound_ctrl:1
	v_cvt_f32_i32_dpp v35, v35 row_shr:2 row_mask:0xf bank_mask:0xf bound_ctrl:1
	v_add_f32_e32 v34, v34, v38
	v_cvt_i32_f32_e32 v38, v34
	v_add_f32_e32 v36, v36, v37
	v_add_f32_e32 v33, v33, v35
	v_cvt_i32_f32_e32 v37, v36
	v_cvt_i32_f32_e32 v35, v33
	v_cvt_f32_i32_dpp v38, v38 row_bcast:15 row_mask:0xf bank_mask:0xf bound_ctrl:1
	v_cvt_f32_i32_dpp v37, v37 row_shr:1 row_mask:0xf bank_mask:0xf bound_ctrl:1
	v_cvt_f32_i32_dpp v35, v35 row_shr:1 row_mask:0xf bank_mask:0xf bound_ctrl:1
	v_add_f32_e32 v36, v36, v37
	v_add_f32_e32 v35, v33, v35
	v_cvt_i32_f32_e32 v37, v36
	v_cvt_i32_f32_e32 v39, v35
	v_add_f32_e32 v33, v34, v38
	v_cvt_i32_f32_e32 v41, v33
	v_cvt_f32_i32_dpp v37, v37 row_bcast:15 row_mask:0xf bank_mask:0xf bound_ctrl:1
	v_cvt_f32_i32_dpp v38, v39 row_bcast:15 row_mask:0xf bank_mask:0xf bound_ctrl:1
	v_mov_b32_dpp v39, v40 row_bcast:31 row_mask:0xf bank_mask:0xf bound_ctrl:1
	v_add_f32_e32 v34, v36, v37
	v_add_f32_e32 v35, v35, v38
	v_cvt_i32_f32_e32 v36, v34
	v_cvt_i32_f32_e32 v42, v35
	v_mov_b32_dpp v38, v41 row_bcast:31 row_mask:0xf bank_mask:0xf bound_ctrl:1
	v_mov_b32_dpp v37, v36 row_bcast:31 row_mask:0xf bank_mask:0xf bound_ctrl:1
	;; [unrolled: 1-line block ×3, first 2 shown]
	s_and_saveexec_b64 s[20:21], s[0:1]
	s_cbranch_execz .LBB140_13
; %bb.22:                               ;   in Loop: Header=BB140_14 Depth=1
	s_and_b64 vcc, exec, s[18:19]
	s_cbranch_vccz .LBB140_24
; %bb.23:                               ;   in Loop: Header=BB140_14 Depth=1
	v_mul_hi_u32 v40, v64, v85
	v_mul_lo_u32 v40, v40, s12
	v_sub_u32_e32 v40, v64, v40
	v_or_b32_e32 v42, 1, v64
	v_subrev_u32_e32 v41, s12, v40
	v_cmp_le_u32_e32 vcc, s12, v40
	v_mul_hi_u32 v43, v42, v85
	v_mul_lo_u32 v43, v43, s12
	v_cndmask_b32_e32 v40, v40, v41, vcc
	v_subrev_u32_e32 v41, s12, v40
	v_cmp_le_u32_e32 vcc, s12, v40
	v_sub_u32_e32 v42, v42, v43
	v_subrev_u32_e32 v43, s12, v42
	v_cndmask_b32_e32 v66, v40, v41, vcc
	v_cmp_le_u32_e32 vcc, s12, v42
	v_mov_b32_e32 v47, v67
	v_lshl_add_u64 v[40:41], v[66:67], 1, s[8:9]
	v_cndmask_b32_e32 v42, v42, v43, vcc
	v_subrev_u32_e32 v43, s12, v42
	v_cmp_le_u32_e32 vcc, s12, v42
	v_mov_b32_e32 v61, v67
	v_mov_b32_e32 v63, v67
	v_cndmask_b32_e32 v42, v42, v43, vcc
	v_mov_b32_e32 v43, v67
	v_lshl_add_u64 v[44:45], v[42:43], 1, s[8:9]
	v_or_b32_e32 v43, 2, v64
	v_mul_hi_u32 v46, v43, v85
	v_mul_lo_u32 v46, v46, s12
	v_sub_u32_e32 v43, v43, v46
	v_subrev_u32_e32 v46, s12, v43
	v_cmp_le_u32_e32 vcc, s12, v43
	v_mov_b32_e32 v65, v67
	s_nop 0
	v_cndmask_b32_e32 v43, v43, v46, vcc
	v_subrev_u32_e32 v46, s12, v43
	v_cmp_le_u32_e32 vcc, s12, v43
	s_nop 1
	v_cndmask_b32_e32 v60, v43, v46, vcc
	v_or_b32_e32 v43, 3, v64
	v_mul_hi_u32 v46, v43, v85
	v_mul_lo_u32 v46, v46, s12
	v_sub_u32_e32 v43, v43, v46
	v_subrev_u32_e32 v46, s12, v43
	v_cmp_le_u32_e32 vcc, s12, v43
	v_lshl_add_u64 v[54:55], v[60:61], 1, s[8:9]
	s_nop 0
	v_cndmask_b32_e32 v43, v43, v46, vcc
	v_subrev_u32_e32 v46, s12, v43
	v_cmp_le_u32_e32 vcc, s12, v43
	s_nop 1
	v_cndmask_b32_e32 v62, v43, v46, vcc
	v_add_u32_e32 v46, s26, v66
	v_lshl_add_u64 v[70:71], v[46:47], 1, s[8:9]
	v_add_u32_e32 v46, s26, v42
	v_lshl_add_u64 v[72:73], v[46:47], 1, s[8:9]
	;; [unrolled: 2-line block ×4, first 2 shown]
	v_lshl_add_u64 v[76:77], v[46:47], 1, s[8:9]
	global_load_ushort v59, v[40:41], off
	global_load_ushort v58, v[44:45], off
	;; [unrolled: 1-line block ×8, first 2 shown]
	v_add_u32_e32 v40, s27, v66
	v_mov_b32_e32 v41, v67
	v_lshl_add_u64 v[68:69], v[40:41], 1, s[8:9]
	v_add_u32_e32 v40, s27, v42
	v_lshl_add_u64 v[70:71], v[40:41], 1, s[8:9]
	v_add_u32_e32 v40, s27, v60
	;; [unrolled: 2-line block ×7, first 2 shown]
	v_lshl_add_u64 v[82:83], v[40:41], 1, s[8:9]
	global_load_ushort v55, v[68:69], off
	global_load_ushort v54, v[70:71], off
	;; [unrolled: 1-line block ×8, first 2 shown]
	v_add_u32_e32 v66, s29, v66
	v_lshl_add_u64 v[68:69], v[66:67], 1, s[8:9]
	v_add_u32_e32 v66, s29, v42
	v_lshl_add_u64 v[70:71], v[66:67], 1, s[8:9]
	;; [unrolled: 2-line block ×4, first 2 shown]
	global_load_ushort v45, v[68:69], off
	global_load_ushort v43, v[70:71], off
	;; [unrolled: 1-line block ×4, first 2 shown]
	s_cbranch_execnz .LBB140_12
	s_branch .LBB140_25
.LBB140_24:                             ;   in Loop: Header=BB140_14 Depth=1
                                        ; implicit-def: $vgpr41
                                        ; implicit-def: $vgpr42
                                        ; implicit-def: $vgpr43
                                        ; implicit-def: $vgpr45
                                        ; implicit-def: $vgpr40
                                        ; implicit-def: $vgpr44
                                        ; implicit-def: $vgpr46
                                        ; implicit-def: $vgpr48
                                        ; implicit-def: $vgpr50
                                        ; implicit-def: $vgpr52
                                        ; implicit-def: $vgpr54
                                        ; implicit-def: $vgpr55
                                        ; implicit-def: $vgpr47
                                        ; implicit-def: $vgpr49
                                        ; implicit-def: $vgpr51
                                        ; implicit-def: $vgpr53
                                        ; implicit-def: $vgpr56
                                        ; implicit-def: $vgpr57
                                        ; implicit-def: $vgpr58
                                        ; implicit-def: $vgpr59
.LBB140_25:                             ;   in Loop: Header=BB140_14 Depth=1
	v_mov_b32_e32 v65, v67
	s_waitcnt vmcnt(19)
	v_mov_b32_e32 v59, 0
	s_waitcnt vmcnt(18)
	;; [unrolled: 2-line block ×20, first 2 shown]
	v_mov_b32_e32 v41, 0
	s_branch .LBB140_12
.LBB140_26:
	s_endpgm
	.section	.rodata,"a",@progbits
	.p2align	6, 0x0
	.amdhsa_kernel _Z16wvSplitK_hf_sml_I6__halfLi32ELi4ELi16ELi8ELi2ELi5EEviiiiiiPKT_S3_S3_PS1_ii
		.amdhsa_group_segment_fixed_size 65536
		.amdhsa_private_segment_fixed_size 0
		.amdhsa_kernarg_size 64
		.amdhsa_user_sgpr_count 2
		.amdhsa_user_sgpr_dispatch_ptr 0
		.amdhsa_user_sgpr_queue_ptr 0
		.amdhsa_user_sgpr_kernarg_segment_ptr 1
		.amdhsa_user_sgpr_dispatch_id 0
		.amdhsa_user_sgpr_kernarg_preload_length 0
		.amdhsa_user_sgpr_kernarg_preload_offset 0
		.amdhsa_user_sgpr_private_segment_size 0
		.amdhsa_uses_dynamic_stack 0
		.amdhsa_enable_private_segment 0
		.amdhsa_system_sgpr_workgroup_id_x 1
		.amdhsa_system_sgpr_workgroup_id_y 0
		.amdhsa_system_sgpr_workgroup_id_z 0
		.amdhsa_system_sgpr_workgroup_info 0
		.amdhsa_system_vgpr_workitem_id 1
		.amdhsa_next_free_vgpr 111
		.amdhsa_next_free_sgpr 35
		.amdhsa_accum_offset 112
		.amdhsa_reserve_vcc 1
		.amdhsa_float_round_mode_32 0
		.amdhsa_float_round_mode_16_64 0
		.amdhsa_float_denorm_mode_32 3
		.amdhsa_float_denorm_mode_16_64 3
		.amdhsa_dx10_clamp 1
		.amdhsa_ieee_mode 1
		.amdhsa_fp16_overflow 0
		.amdhsa_tg_split 0
		.amdhsa_exception_fp_ieee_invalid_op 0
		.amdhsa_exception_fp_denorm_src 0
		.amdhsa_exception_fp_ieee_div_zero 0
		.amdhsa_exception_fp_ieee_overflow 0
		.amdhsa_exception_fp_ieee_underflow 0
		.amdhsa_exception_fp_ieee_inexact 0
		.amdhsa_exception_int_div_zero 0
	.end_amdhsa_kernel
	.section	.text._Z16wvSplitK_hf_sml_I6__halfLi32ELi4ELi16ELi8ELi2ELi5EEviiiiiiPKT_S3_S3_PS1_ii,"axG",@progbits,_Z16wvSplitK_hf_sml_I6__halfLi32ELi4ELi16ELi8ELi2ELi5EEviiiiiiPKT_S3_S3_PS1_ii,comdat
.Lfunc_end140:
	.size	_Z16wvSplitK_hf_sml_I6__halfLi32ELi4ELi16ELi8ELi2ELi5EEviiiiiiPKT_S3_S3_PS1_ii, .Lfunc_end140-_Z16wvSplitK_hf_sml_I6__halfLi32ELi4ELi16ELi8ELi2ELi5EEviiiiiiPKT_S3_S3_PS1_ii
                                        ; -- End function
	.section	.AMDGPU.csdata,"",@progbits
; Kernel info:
; codeLenInByte = 6592
; NumSgprs: 41
; NumVgprs: 111
; NumAgprs: 0
; TotalNumVgprs: 111
; ScratchSize: 0
; MemoryBound: 0
; FloatMode: 240
; IeeeMode: 1
; LDSByteSize: 65536 bytes/workgroup (compile time only)
; SGPRBlocks: 5
; VGPRBlocks: 13
; NumSGPRsForWavesPerEU: 41
; NumVGPRsForWavesPerEU: 111
; AccumOffset: 112
; Occupancy: 2
; WaveLimiterHint : 0
; COMPUTE_PGM_RSRC2:SCRATCH_EN: 0
; COMPUTE_PGM_RSRC2:USER_SGPR: 2
; COMPUTE_PGM_RSRC2:TRAP_HANDLER: 0
; COMPUTE_PGM_RSRC2:TGID_X_EN: 1
; COMPUTE_PGM_RSRC2:TGID_Y_EN: 0
; COMPUTE_PGM_RSRC2:TGID_Z_EN: 0
; COMPUTE_PGM_RSRC2:TIDIG_COMP_CNT: 1
; COMPUTE_PGM_RSRC3_GFX90A:ACCUM_OFFSET: 27
; COMPUTE_PGM_RSRC3_GFX90A:TG_SPLIT: 0
	.section	.text._Z12wvSplitK_hf_I6__halfLi32ELi4ELi16ELi8ELi2ELi5EEviiiiiiPKT_S3_S3_PS1_ii,"axG",@progbits,_Z12wvSplitK_hf_I6__halfLi32ELi4ELi16ELi8ELi2ELi5EEviiiiiiPKT_S3_S3_PS1_ii,comdat
	.protected	_Z12wvSplitK_hf_I6__halfLi32ELi4ELi16ELi8ELi2ELi5EEviiiiiiPKT_S3_S3_PS1_ii ; -- Begin function _Z12wvSplitK_hf_I6__halfLi32ELi4ELi16ELi8ELi2ELi5EEviiiiiiPKT_S3_S3_PS1_ii
	.globl	_Z12wvSplitK_hf_I6__halfLi32ELi4ELi16ELi8ELi2ELi5EEviiiiiiPKT_S3_S3_PS1_ii
	.p2align	8
	.type	_Z12wvSplitK_hf_I6__halfLi32ELi4ELi16ELi8ELi2ELi5EEviiiiiiPKT_S3_S3_PS1_ii,@function
_Z12wvSplitK_hf_I6__halfLi32ELi4ELi16ELi8ELi2ELi5EEviiiiiiPKT_S3_S3_PS1_ii: ; @_Z12wvSplitK_hf_I6__halfLi32ELi4ELi16ELi8ELi2ELi5EEviiiiiiPKT_S3_S3_PS1_ii
; %bb.0:
	s_load_dwordx2 s[8:9], s[0:1], 0x38
	s_load_dwordx2 s[10:11], s[0:1], 0x20
	s_load_dwordx4 s[12:15], s[0:1], 0x0
	s_load_dwordx2 s[20:21], s[0:1], 0x10
	v_bfe_u32 v1, v0, 10, 10
	s_waitcnt lgkmcnt(0)
	s_mul_i32 s2, s2, s8
	v_add_lshl_u32 v78, s2, v1, 2
	s_mov_b32 s4, 1
	v_add_u32_e32 v2, 4, v78
	s_mov_b32 s5, s4
	v_cmp_gt_u32_e32 vcc, s15, v78
	v_cmp_le_u32_e64 s[2:3], s15, v2
	s_mov_b32 s6, s4
	s_mov_b32 s7, s4
	v_mov_b64_e32 v[2:3], s[4:5]
	s_and_b64 s[16:17], vcc, s[2:3]
	v_mov_b64_e32 v[4:5], s[6:7]
	s_and_saveexec_b64 s[2:3], s[16:17]
	s_cbranch_execz .LBB141_6
; %bb.1:
	s_add_i32 s24, s15, -4
	v_mov_b64_e32 v[2:3], s[4:5]
	v_cmp_ne_u32_e32 vcc, s24, v78
	v_mov_b64_e32 v[4:5], s[6:7]
	s_and_saveexec_b64 s[16:17], vcc
	s_cbranch_execz .LBB141_5
; %bb.2:
	v_subrev_u32_e32 v2, s24, v78
	v_cmp_lt_u32_e32 vcc, 1, v2
	s_mov_b64 s[18:19], 0
	s_mov_b64 s[22:23], 0
	v_cndmask_b32_e32 v6, 1, v2, vcc
	s_mov_b32 s5, s4
	s_mov_b32 s6, s4
	;; [unrolled: 1-line block ×3, first 2 shown]
.LBB141_3:                              ; =>This Inner Loop Header: Depth=1
	s_cmp_lg_u32 s22, 3
	s_cselect_b32 s7, s7, 0
	s_cmp_lg_u32 s22, 2
	s_cselect_b32 s6, s6, 0
	;; [unrolled: 2-line block ×4, first 2 shown]
	s_add_u32 s22, s22, 1
	s_addc_u32 s23, s23, 0
	v_cmp_eq_u32_e32 vcc, s22, v6
	v_mov_b64_e32 v[2:3], s[4:5]
	s_or_b64 s[18:19], vcc, s[18:19]
	v_mov_b64_e32 v[4:5], s[6:7]
	s_andn2_b64 exec, exec, s[18:19]
	s_cbranch_execnz .LBB141_3
; %bb.4:
	s_or_b64 exec, exec, s[18:19]
	v_mov_b32_e32 v78, s24
.LBB141_5:
	s_or_b64 exec, exec, s[16:17]
.LBB141_6:
	s_or_b64 exec, exec, s[2:3]
	v_and_b32_e32 v10, 0x3ff, v0
	v_lshlrev_b32_e32 v0, 3, v10
	s_mul_i32 s2, s14, 5
	v_lshl_add_u32 v11, v1, 8, v0
	s_min_u32 s4, s2, 0x8000
	v_cmp_gt_u32_e32 vcc, s4, v11
	s_and_saveexec_b64 s[2:3], vcc
	s_cbranch_execz .LBB141_15
; %bb.7:
	v_lshlrev_b32_e32 v6, 1, v11
	global_load_dwordx4 v[12:15], v6, s[10:11]
	v_add_u32_e32 v7, 0x1000, v11
	v_cmp_gt_u32_e32 vcc, s4, v7
	s_waitcnt vmcnt(0)
	ds_write_b128 v6, v[12:15]
	s_and_saveexec_b64 s[6:7], vcc
	s_xor_b64 s[6:7], exec, s[6:7]
	s_cbranch_execz .LBB141_15
; %bb.8:
	v_mov_b32_e32 v7, 0
	v_lshl_add_u64 v[8:9], s[10:11], 0, v[6:7]
	v_add_co_u32_e32 v12, vcc, 0x2000, v8
	v_add_u32_e32 v7, 0x2000, v11
	s_nop 0
	v_addc_co_u32_e32 v13, vcc, 0, v9, vcc
	global_load_dwordx4 v[12:15], v[12:13], off
	v_cmp_gt_u32_e32 vcc, s4, v7
	s_waitcnt vmcnt(0)
	ds_write_b128 v6, v[12:15] offset:8192
	s_and_saveexec_b64 s[6:7], vcc
	s_xor_b64 s[6:7], exec, s[6:7]
	s_cbranch_execz .LBB141_15
; %bb.9:
	v_add_co_u32_e32 v12, vcc, 0x4000, v8
	v_add_u32_e32 v7, 0x3000, v11
	s_nop 0
	v_addc_co_u32_e32 v13, vcc, 0, v9, vcc
	global_load_dwordx4 v[12:15], v[12:13], off
	v_cmp_gt_u32_e32 vcc, s4, v7
	s_waitcnt vmcnt(0)
	ds_write_b128 v6, v[12:15] offset:16384
	s_and_saveexec_b64 s[6:7], vcc
	s_xor_b64 s[6:7], exec, s[6:7]
	s_cbranch_execz .LBB141_15
; %bb.10:
	;; [unrolled: 12-line block ×6, first 2 shown]
	v_add_co_u32_e32 v8, vcc, 0xe000, v8
	s_nop 1
	v_addc_co_u32_e32 v9, vcc, 0, v9, vcc
	global_load_dwordx4 v[12:15], v[8:9], off
	s_waitcnt vmcnt(0)
	ds_write_b128 v6, v[12:15] offset:57344
.LBB141_15:
	s_or_b64 exec, exec, s[2:3]
	v_cmp_gt_u32_e32 vcc, s8, v1
	v_cmp_gt_u32_e64 s[2:3], s15, v78
	s_and_b64 s[2:3], vcc, s[2:3]
	s_waitcnt lgkmcnt(0)
	s_barrier
	s_and_saveexec_b64 s[4:5], s[2:3]
	s_cbranch_execz .LBB141_114
; %bb.16:
	s_load_dwordx4 s[16:19], s[0:1], 0x28
	s_load_dwordx2 s[22:23], s[0:1], 0x18
	s_cmp_lg_u32 s12, 0
	s_cselect_b64 s[2:3], -1, 0
	s_add_i32 s33, s12, -8
	s_add_i32 s36, s15, -1
	s_mul_i32 s4, s8, s9
	s_waitcnt lgkmcnt(0)
	s_cmp_lg_u64 s[16:17], 0
	s_cselect_b64 s[26:27], -1, 0
	s_lshl_b32 s37, s4, 2
	s_abs_i32 s4, s21
	v_cvt_f32_u32_e32 v1, s20
	v_cvt_f32_u32_e32 v6, s4
	s_sub_i32 s5, 0, s20
	s_add_i32 s38, s15, -4
	v_rcp_iflag_f32_e32 v1, v1
	v_rcp_iflag_f32_e32 v6, v6
	s_lshl_b32 s21, s14, 1
	v_cmp_eq_u32_e64 s[0:1], 31, v10
	v_mul_f32_e32 v1, 0x4f7ffffe, v1
	v_mul_f32_e32 v6, 0x4f7ffffe, v6
	v_cvt_u32_f32_e32 v1, v1
	v_cvt_u32_f32_e32 v6, v6
	s_mov_b64 s[24:25], 0
	v_mov_b32_e32 v81, 0
	v_mul_lo_u32 v7, s5, v1
	s_sub_i32 s5, 0, s4
	v_readfirstlane_b32 s6, v6
	s_mul_i32 s5, s5, s6
	s_mul_hi_u32 s5, s6, s5
	s_add_i32 s6, s6, s5
	s_sub_i32 s5, 1, s4
	s_cmp_lt_u32 s4, 2
	s_cselect_b32 s5, s5, 1
	s_sub_i32 s7, s5, s4
	s_cmp_ge_u32 s5, s4
	s_cselect_b32 s39, s7, s5
	s_lshr_b32 s5, s6, 31
	s_mul_i32 s5, s5, s4
	s_sub_i32 s5, 2, s5
	s_sub_i32 s7, s5, s4
	s_cmp_ge_u32 s5, s4
	s_cselect_b32 s5, s7, s5
	s_sub_i32 s7, s5, s4
	s_cmp_ge_u32 s5, s4
	s_cselect_b32 s40, s7, s5
	s_mul_hi_u32 s5, s6, 3
	s_mul_i32 s5, s5, s4
	s_sub_i32 s5, 3, s5
	s_sub_i32 s7, s5, s4
	s_cmp_ge_u32 s5, s4
	s_cselect_b32 s5, s7, s5
	s_sub_i32 s7, s5, s4
	s_cmp_ge_u32 s5, s4
	s_cselect_b32 s41, s7, s5
	s_lshr_b32 s5, s6, 30
	s_mul_i32 s5, s5, s4
	s_sub_i32 s5, 4, s5
	s_sub_i32 s6, s5, s4
	s_cmp_ge_u32 s5, s4
	s_cselect_b32 s5, s6, s5
	v_mul_hi_u32 v7, v1, v7
	s_sub_i32 s6, s5, s4
	v_add_u32_e32 v1, v1, v7
	s_cmp_ge_u32 s5, s4
	s_cselect_b32 s42, s6, s5
	s_lshl_b32 s43, s14, 2
	v_mad_u64_u32 v[82:83], s[4:5], s14, 3, v[0:1]
	v_cndmask_b32_e64 v6, 0, 1, s[2:3]
	s_mul_i32 s39, s39, s20
	s_mul_i32 s40, s40, s20
	;; [unrolled: 1-line block ×4, first 2 shown]
	v_lshlrev_b32_e32 v106, 4, v10
	v_add_u32_e32 v107, s21, v0
	s_mul_i32 s44, s14, 6
	s_lshl_b32 s45, s14, 3
	v_add_u32_e32 v83, s43, v0
	v_add_u32_e32 v108, s14, v0
	v_cmp_ne_u32_e64 s[2:3], 1, v6
	s_movk_i32 s14, 0x7fff
	s_mov_b32 s28, 0
	s_branch .LBB141_19
.LBB141_17:                             ;   in Loop: Header=BB141_19 Depth=1
	s_or_b64 exec, exec, s[8:9]
	v_mov_b32_e32 v78, s38
.LBB141_18:                             ;   in Loop: Header=BB141_19 Depth=1
	s_or_b64 exec, exec, s[6:7]
	v_cmp_le_u32_e32 vcc, s15, v78
	s_or_b64 s[24:25], vcc, s[24:25]
	s_andn2_b64 exec, exec, s[24:25]
	s_cbranch_execz .LBB141_114
.LBB141_19:                             ; =>This Loop Header: Depth=1
                                        ;     Child Loop BB141_24 Depth 2
                                        ;     Child Loop BB141_93 Depth 2
	s_and_b64 vcc, exec, s[2:3]
	v_add_u32_e32 v88, 1, v78
	v_add_u32_e32 v86, 2, v78
	;; [unrolled: 1-line block ×3, first 2 shown]
	v_mov_b32_e32 v124, v81
	v_mov_b32_e32 v123, v81
	;; [unrolled: 1-line block ×20, first 2 shown]
	s_cbranch_vccnz .LBB141_66
; %bb.20:                               ;   in Loop: Header=BB141_19 Depth=1
	v_min_u32_e32 v6, s36, v78
	v_mul_lo_u32 v80, v6, s13
	v_min_u32_e32 v6, s36, v88
	v_min_u32_e32 v8, s36, v86
	;; [unrolled: 1-line block ×3, first 2 shown]
	v_mul_lo_u32 v6, v6, s13
	v_mov_b32_e32 v7, v81
	v_mul_lo_u32 v8, v8, s13
	v_mov_b32_e32 v9, v81
	;; [unrolled: 2-line block ×3, first 2 shown]
	v_mov_b32_e32 v116, 0
	v_lshlrev_b64 v[90:91], 1, v[80:81]
	v_lshlrev_b64 v[92:93], 1, v[6:7]
	;; [unrolled: 1-line block ×4, first 2 shown]
	v_mov_b32_e32 v125, v106
	v_mov_b32_e32 v115, 0
	v_mov_b32_e32 v114, 0
	v_mov_b32_e32 v113, 0
	v_mov_b32_e32 v112, 0
	v_mov_b32_e32 v111, 0
	v_mov_b32_e32 v110, 0
	v_mov_b32_e32 v109, 0
	v_mov_b32_e32 v89, 0
	v_mov_b32_e32 v87, 0
	v_mov_b32_e32 v85, 0
	v_mov_b32_e32 v79, 0
	v_mov_b32_e32 v117, 0
	v_mov_b32_e32 v118, 0
	v_mov_b32_e32 v119, 0
	v_mov_b32_e32 v120, 0
	v_mov_b32_e32 v121, 0
	v_mov_b32_e32 v122, 0
	v_mov_b32_e32 v123, 0
	v_mov_b32_e32 v124, 0
	s_mov_b32 s30, s28
	s_branch .LBB141_24
.LBB141_21:                             ;   in Loop: Header=BB141_24 Depth=2
	s_or_b64 exec, exec, s[8:9]
.LBB141_22:                             ;   in Loop: Header=BB141_24 Depth=2
	s_or_b64 exec, exec, s[6:7]
.LBB141_23:                             ;   in Loop: Header=BB141_24 Depth=2
	s_or_b64 exec, exec, s[4:5]
	s_waitcnt vmcnt(0) lgkmcnt(0)
	;;#ASMSTART
	v_dot2c_f32_f16 v124, v54, v34
	;;#ASMEND
	;;#ASMSTART
	v_dot2c_f32_f16 v123, v54, v30
	;;#ASMEND
	;;#ASMSTART
	v_dot2c_f32_f16 v122, v54, v26
	;;#ASMEND
	;;#ASMSTART
	v_dot2c_f32_f16 v121, v54, v22
	;;#ASMEND
	;;#ASMSTART
	v_dot2c_f32_f16 v120, v50, v34
	;;#ASMEND
	;;#ASMSTART
	v_dot2c_f32_f16 v119, v50, v30
	;;#ASMEND
	;;#ASMSTART
	v_dot2c_f32_f16 v118, v50, v26
	;;#ASMEND
	;;#ASMSTART
	v_dot2c_f32_f16 v117, v50, v22
	;;#ASMEND
	;;#ASMSTART
	v_dot2c_f32_f16 v116, v46, v34
	;;#ASMEND
	;;#ASMSTART
	v_dot2c_f32_f16 v115, v46, v30
	;;#ASMEND
	;;#ASMSTART
	v_dot2c_f32_f16 v114, v46, v26
	;;#ASMEND
	;;#ASMSTART
	v_dot2c_f32_f16 v113, v46, v22
	;;#ASMEND
	;;#ASMSTART
	v_dot2c_f32_f16 v112, v42, v34
	;;#ASMEND
	;;#ASMSTART
	v_dot2c_f32_f16 v111, v42, v30
	;;#ASMEND
	;;#ASMSTART
	v_dot2c_f32_f16 v110, v42, v26
	;;#ASMEND
	;;#ASMSTART
	v_dot2c_f32_f16 v109, v42, v22
	;;#ASMEND
	;;#ASMSTART
	v_dot2c_f32_f16 v89, v38, v34
	;;#ASMEND
	;;#ASMSTART
	v_dot2c_f32_f16 v87, v38, v30
	;;#ASMEND
	;;#ASMSTART
	v_dot2c_f32_f16 v85, v38, v26
	;;#ASMEND
	;;#ASMSTART
	v_dot2c_f32_f16 v79, v38, v22
	;;#ASMEND
	s_nop 0
	;;#ASMSTART
	v_dot2c_f32_f16 v124, v55, v35
	;;#ASMEND
	;;#ASMSTART
	v_dot2c_f32_f16 v123, v55, v31
	;;#ASMEND
	;;#ASMSTART
	v_dot2c_f32_f16 v122, v55, v27
	;;#ASMEND
	;;#ASMSTART
	v_dot2c_f32_f16 v121, v55, v23
	;;#ASMEND
	;;#ASMSTART
	v_dot2c_f32_f16 v120, v51, v35
	;;#ASMEND
	;;#ASMSTART
	v_dot2c_f32_f16 v119, v51, v31
	;;#ASMEND
	;;#ASMSTART
	v_dot2c_f32_f16 v118, v51, v27
	;;#ASMEND
	;;#ASMSTART
	v_dot2c_f32_f16 v117, v51, v23
	;;#ASMEND
	;;#ASMSTART
	v_dot2c_f32_f16 v116, v47, v35
	;;#ASMEND
	;;#ASMSTART
	v_dot2c_f32_f16 v115, v47, v31
	;;#ASMEND
	;;#ASMSTART
	v_dot2c_f32_f16 v114, v47, v27
	;;#ASMEND
	;;#ASMSTART
	v_dot2c_f32_f16 v113, v47, v23
	;;#ASMEND
	;;#ASMSTART
	v_dot2c_f32_f16 v112, v43, v35
	;;#ASMEND
	;;#ASMSTART
	v_dot2c_f32_f16 v111, v43, v31
	;;#ASMEND
	;;#ASMSTART
	v_dot2c_f32_f16 v110, v43, v27
	;;#ASMEND
	;;#ASMSTART
	v_dot2c_f32_f16 v109, v43, v23
	;;#ASMEND
	;;#ASMSTART
	v_dot2c_f32_f16 v89, v39, v35
	;;#ASMEND
	;;#ASMSTART
	v_dot2c_f32_f16 v87, v39, v31
	;;#ASMEND
	;;#ASMSTART
	v_dot2c_f32_f16 v85, v39, v27
	;;#ASMEND
	;;#ASMSTART
	v_dot2c_f32_f16 v79, v39, v23
	;;#ASMEND
	s_nop 0
	;; [unrolled: 61-line block ×5, first 2 shown]
	;;#ASMSTART
	v_dot2c_f32_f16 v124, v75, v19
	;;#ASMEND
	;;#ASMSTART
	v_dot2c_f32_f16 v123, v75, v15
	;;#ASMEND
	;; [unrolled: 3-line block ×20, first 2 shown]
	s_addk_i32 s30, 0x200
	;;#ASMSTART
	v_dot2c_f32_f16 v124, v76, v20
	;;#ASMEND
	;;#ASMSTART
	v_dot2c_f32_f16 v123, v76, v16
	;;#ASMEND
	;; [unrolled: 3-line block ×20, first 2 shown]
	s_cmp_ge_u32 s30, s12
	v_add_u32_e32 v125, 0x400, v125
	;;#ASMSTART
	v_dot2c_f32_f16 v124, v77, v21
	;;#ASMEND
	;;#ASMSTART
	v_dot2c_f32_f16 v123, v77, v17
	;;#ASMEND
	;; [unrolled: 3-line block ×20, first 2 shown]
	s_cbranch_scc1 .LBB141_66
.LBB141_24:                             ;   Parent Loop BB141_19 Depth=1
                                        ; =>  This Inner Loop Header: Depth=2
	v_add_u32_e32 v100, s30, v0
	v_min_u32_e32 v80, s33, v100
	v_lshl_add_u64 v[6:7], v[80:81], 1, s[22:23]
	v_lshl_add_u64 v[8:9], v[6:7], 0, v[90:91]
	v_add_u32_e32 v98, 0x100, v100
	v_lshl_add_u64 v[10:11], v[6:7], 0, v[92:93]
	global_load_dwordx4 v[34:37], v[8:9], off nt
	global_load_dwordx4 v[30:33], v[10:11], off nt
	v_lshl_add_u64 v[8:9], v[6:7], 0, v[94:95]
	v_lshl_add_u64 v[6:7], v[6:7], 0, v[96:97]
	v_min_u32_e32 v80, s33, v98
	global_load_dwordx4 v[26:29], v[8:9], off nt
	global_load_dwordx4 v[22:25], v[6:7], off nt
	v_lshl_add_u64 v[6:7], v[80:81], 1, s[22:23]
	v_lshl_add_u64 v[8:9], v[6:7], 0, v[90:91]
	;; [unrolled: 1-line block ×4, first 2 shown]
	global_load_dwordx4 v[18:21], v[8:9], off nt
	global_load_dwordx4 v[14:17], v[10:11], off nt
	v_lshl_add_u64 v[40:41], v[6:7], 0, v[96:97]
	global_load_dwordx4 v[10:13], v[38:39], off nt
	global_load_dwordx4 v[6:9], v[40:41], off nt
	s_mov_b32 s29, s28
	v_cmp_gt_u32_e32 vcc, s12, v100
	s_waitcnt vmcnt(26)
	v_mov_b64_e32 v[64:65], s[28:29]
	s_waitcnt vmcnt(23)
	v_mov_b32_e32 v61, 0
	s_waitcnt vmcnt(22)
	v_mov_b32_e32 v60, 0
	;; [unrolled: 2-line block ×3, first 2 shown]
	v_mov_b32_e32 v58, 0
	v_mov_b64_e32 v[62:63], s[28:29]
	v_mov_b64_e32 v[68:69], s[28:29]
	;; [unrolled: 1-line block ×11, first 2 shown]
	s_waitcnt vmcnt(10)
	v_mov_b64_e32 v[48:49], s[28:29]
	s_waitcnt vmcnt(8)
	v_mov_b64_e32 v[46:47], s[28:29]
	v_mov_b64_e32 v[52:53], s[28:29]
	v_mov_b64_e32 v[50:51], s[28:29]
	v_mov_b64_e32 v[56:57], s[28:29]
	v_mov_b64_e32 v[54:55], s[28:29]
	s_and_saveexec_b64 s[4:5], vcc
	s_cbranch_execz .LBB141_23
; %bb.25:                               ;   in Loop: Header=BB141_24 Depth=2
	v_cmp_lt_u32_e32 vcc, s14, v100
                                        ; implicit-def: $vgpr56_vgpr57
	s_and_saveexec_b64 s[6:7], vcc
	s_xor_b64 s[6:7], exec, s[6:7]
	s_cbranch_execz .LBB141_27
; %bb.26:                               ;   in Loop: Header=BB141_24 Depth=2
	v_mov_b32_e32 v101, v81
	v_lshl_add_u64 v[38:39], v[100:101], 1, s[10:11]
	global_load_dwordx4 v[54:57], v[38:39], off
.LBB141_27:                             ;   in Loop: Header=BB141_24 Depth=2
	s_andn2_saveexec_b64 s[6:7], s[6:7]
	s_cbranch_execz .LBB141_29
; %bb.28:                               ;   in Loop: Header=BB141_24 Depth=2
	s_waitcnt vmcnt(0)
	ds_read_b128 v[54:57], v125
.LBB141_29:                             ;   in Loop: Header=BB141_24 Depth=2
	s_or_b64 exec, exec, s[6:7]
	v_add_u32_e32 v80, s30, v108
	v_cmp_lt_u32_e32 vcc, s14, v80
                                        ; implicit-def: $vgpr52_vgpr53
	s_and_saveexec_b64 s[6:7], vcc
	s_xor_b64 s[6:7], exec, s[6:7]
	s_cbranch_execz .LBB141_31
; %bb.30:                               ;   in Loop: Header=BB141_24 Depth=2
	v_lshl_add_u64 v[38:39], v[80:81], 1, s[10:11]
	global_load_dwordx4 v[50:53], v[38:39], off
.LBB141_31:                             ;   in Loop: Header=BB141_24 Depth=2
	s_andn2_saveexec_b64 s[6:7], s[6:7]
	s_cbranch_execz .LBB141_33
; %bb.32:                               ;   in Loop: Header=BB141_24 Depth=2
	v_add_u32_e32 v38, s21, v125
	s_waitcnt vmcnt(0)
	ds_read_b128 v[50:53], v38
.LBB141_33:                             ;   in Loop: Header=BB141_24 Depth=2
	s_or_b64 exec, exec, s[6:7]
	v_add_u32_e32 v104, s30, v107
	v_cmp_lt_u32_e32 vcc, s14, v104
                                        ; implicit-def: $vgpr48_vgpr49
	s_and_saveexec_b64 s[6:7], vcc
	s_xor_b64 s[6:7], exec, s[6:7]
	s_cbranch_execz .LBB141_35
; %bb.34:                               ;   in Loop: Header=BB141_24 Depth=2
	v_mov_b32_e32 v105, v81
	v_lshl_add_u64 v[38:39], v[104:105], 1, s[10:11]
	global_load_dwordx4 v[46:49], v[38:39], off
.LBB141_35:                             ;   in Loop: Header=BB141_24 Depth=2
	s_andn2_saveexec_b64 s[6:7], s[6:7]
	s_cbranch_execz .LBB141_37
; %bb.36:                               ;   in Loop: Header=BB141_24 Depth=2
	v_add_u32_e32 v38, s43, v125
	s_waitcnt vmcnt(0)
	ds_read2_b32 v[46:47], v38 offset1:1
	ds_read2_b32 v[48:49], v38 offset0:2 offset1:3
.LBB141_37:                             ;   in Loop: Header=BB141_24 Depth=2
	s_or_b64 exec, exec, s[6:7]
	v_add_u32_e32 v102, s30, v82
	v_cmp_lt_u32_e32 vcc, s14, v102
                                        ; implicit-def: $vgpr44_vgpr45
	s_and_saveexec_b64 s[6:7], vcc
	s_xor_b64 s[6:7], exec, s[6:7]
	s_cbranch_execz .LBB141_39
; %bb.38:                               ;   in Loop: Header=BB141_24 Depth=2
	v_mov_b32_e32 v103, v81
	v_lshl_add_u64 v[38:39], v[102:103], 1, s[10:11]
	global_load_dwordx4 v[42:45], v[38:39], off
.LBB141_39:                             ;   in Loop: Header=BB141_24 Depth=2
	s_andn2_saveexec_b64 s[6:7], s[6:7]
	s_cbranch_execz .LBB141_41
; %bb.40:                               ;   in Loop: Header=BB141_24 Depth=2
	v_add_u32_e32 v38, s44, v125
	s_waitcnt vmcnt(0)
	ds_read_b128 v[42:45], v38
.LBB141_41:                             ;   in Loop: Header=BB141_24 Depth=2
	s_or_b64 exec, exec, s[6:7]
	v_add_u32_e32 v100, s30, v83
	v_cmp_lt_u32_e32 vcc, s14, v100
                                        ; implicit-def: $vgpr40_vgpr41
	s_and_saveexec_b64 s[6:7], vcc
	s_xor_b64 s[6:7], exec, s[6:7]
	s_cbranch_execz .LBB141_43
; %bb.42:                               ;   in Loop: Header=BB141_24 Depth=2
	v_mov_b32_e32 v101, v81
	v_lshl_add_u64 v[38:39], v[100:101], 1, s[10:11]
	global_load_dwordx4 v[38:41], v[38:39], off
.LBB141_43:                             ;   in Loop: Header=BB141_24 Depth=2
	s_andn2_saveexec_b64 s[6:7], s[6:7]
	s_cbranch_execz .LBB141_45
; %bb.44:                               ;   in Loop: Header=BB141_24 Depth=2
	s_waitcnt vmcnt(0)
	v_add_u32_e32 v38, s45, v125
	ds_read2_b64 v[38:41], v38 offset1:1
.LBB141_45:                             ;   in Loop: Header=BB141_24 Depth=2
	s_or_b64 exec, exec, s[6:7]
	s_mov_b32 s29, s28
	v_cmp_gt_u32_e32 vcc, s12, v98
	v_mov_b32_e32 v61, 0
	v_mov_b64_e32 v[64:65], s[28:29]
	v_mov_b32_e32 v60, 0
	v_mov_b32_e32 v59, 0
	;; [unrolled: 1-line block ×3, first 2 shown]
	v_mov_b64_e32 v[62:63], s[28:29]
	v_mov_b64_e32 v[68:69], s[28:29]
	;; [unrolled: 1-line block ×7, first 2 shown]
	s_and_saveexec_b64 s[6:7], vcc
	s_cbranch_execz .LBB141_22
; %bb.46:                               ;   in Loop: Header=BB141_24 Depth=2
	v_cmp_lt_u32_e32 vcc, s14, v98
                                        ; implicit-def: $vgpr76_vgpr77
	s_and_saveexec_b64 s[8:9], vcc
	s_xor_b64 s[8:9], exec, s[8:9]
	s_cbranch_execz .LBB141_48
; %bb.47:                               ;   in Loop: Header=BB141_24 Depth=2
	v_mov_b32_e32 v99, v81
	v_lshl_add_u64 v[58:59], v[98:99], 1, s[10:11]
	global_load_dwordx4 v[74:77], v[58:59], off
.LBB141_48:                             ;   in Loop: Header=BB141_24 Depth=2
	s_andn2_saveexec_b64 s[8:9], s[8:9]
	s_cbranch_execz .LBB141_50
; %bb.49:                               ;   in Loop: Header=BB141_24 Depth=2
	s_waitcnt vmcnt(0)
	ds_read_b128 v[74:77], v125 offset:512
.LBB141_50:                             ;   in Loop: Header=BB141_24 Depth=2
	s_or_b64 exec, exec, s[8:9]
	v_add_u32_e32 v80, 0x100, v80
	v_cmp_lt_u32_e32 vcc, s14, v80
                                        ; implicit-def: $vgpr72_vgpr73
	s_and_saveexec_b64 s[8:9], vcc
	s_xor_b64 s[8:9], exec, s[8:9]
	s_cbranch_execz .LBB141_52
; %bb.51:                               ;   in Loop: Header=BB141_24 Depth=2
	v_lshl_add_u64 v[58:59], v[80:81], 1, s[10:11]
	global_load_dwordx4 v[70:73], v[58:59], off
.LBB141_52:                             ;   in Loop: Header=BB141_24 Depth=2
	s_andn2_saveexec_b64 s[8:9], s[8:9]
	s_cbranch_execz .LBB141_54
; %bb.53:                               ;   in Loop: Header=BB141_24 Depth=2
	v_add_u32_e32 v58, s21, v125
	s_waitcnt vmcnt(0)
	ds_read_b128 v[70:73], v58 offset:512
.LBB141_54:                             ;   in Loop: Header=BB141_24 Depth=2
	s_or_b64 exec, exec, s[8:9]
	v_add_u32_e32 v80, 0x100, v104
	v_cmp_lt_u32_e32 vcc, s14, v80
                                        ; implicit-def: $vgpr68_vgpr69
	s_and_saveexec_b64 s[8:9], vcc
	s_xor_b64 s[8:9], exec, s[8:9]
	s_cbranch_execz .LBB141_56
; %bb.55:                               ;   in Loop: Header=BB141_24 Depth=2
	v_lshl_add_u64 v[58:59], v[80:81], 1, s[10:11]
	global_load_dwordx4 v[66:69], v[58:59], off
.LBB141_56:                             ;   in Loop: Header=BB141_24 Depth=2
	s_andn2_saveexec_b64 s[8:9], s[8:9]
	s_cbranch_execz .LBB141_58
; %bb.57:                               ;   in Loop: Header=BB141_24 Depth=2
	v_add_u32_e32 v58, s43, v125
	s_waitcnt vmcnt(0)
	ds_read2_b32 v[66:67], v58 offset0:128 offset1:129
	ds_read2_b32 v[68:69], v58 offset0:130 offset1:131
.LBB141_58:                             ;   in Loop: Header=BB141_24 Depth=2
	s_or_b64 exec, exec, s[8:9]
	v_add_u32_e32 v80, 0x100, v102
	v_cmp_lt_u32_e32 vcc, s14, v80
                                        ; implicit-def: $vgpr64_vgpr65
	s_and_saveexec_b64 s[8:9], vcc
	s_xor_b64 s[8:9], exec, s[8:9]
	s_cbranch_execz .LBB141_60
; %bb.59:                               ;   in Loop: Header=BB141_24 Depth=2
	v_lshl_add_u64 v[58:59], v[80:81], 1, s[10:11]
	global_load_dwordx4 v[62:65], v[58:59], off
.LBB141_60:                             ;   in Loop: Header=BB141_24 Depth=2
	s_andn2_saveexec_b64 s[8:9], s[8:9]
	s_cbranch_execz .LBB141_62
; %bb.61:                               ;   in Loop: Header=BB141_24 Depth=2
	v_add_u32_e32 v58, s44, v125
	s_waitcnt vmcnt(0)
	ds_read_b128 v[62:65], v58 offset:512
.LBB141_62:                             ;   in Loop: Header=BB141_24 Depth=2
	s_or_b64 exec, exec, s[8:9]
	v_add_u32_e32 v80, 0x100, v100
	v_cmp_lt_u32_e32 vcc, s14, v80
                                        ; implicit-def: $vgpr61
	s_and_saveexec_b64 s[8:9], vcc
	s_xor_b64 s[8:9], exec, s[8:9]
	s_cbranch_execz .LBB141_64
; %bb.63:                               ;   in Loop: Header=BB141_24 Depth=2
	v_lshl_add_u64 v[58:59], v[80:81], 1, s[10:11]
	global_load_dwordx4 v[58:61], v[58:59], off
.LBB141_64:                             ;   in Loop: Header=BB141_24 Depth=2
	s_andn2_saveexec_b64 s[8:9], s[8:9]
	s_cbranch_execz .LBB141_21
; %bb.65:                               ;   in Loop: Header=BB141_24 Depth=2
	s_waitcnt vmcnt(0)
	v_add_u32_e32 v58, s45, v125
	ds_read2_b64 v[58:61], v58 offset0:64 offset1:65
	s_branch .LBB141_21
.LBB141_66:                             ;   in Loop: Header=BB141_19 Depth=1
	v_cvt_i32_f32_e32 v6, v124
	v_cvt_i32_f32_e32 v7, v123
	;; [unrolled: 1-line block ×4, first 2 shown]
	v_cvt_f32_i32_dpp v6, v6 row_shr:8 row_mask:0xf bank_mask:0xf bound_ctrl:1
	v_cvt_f32_i32_dpp v7, v7 row_shr:8 row_mask:0xf bank_mask:0xf bound_ctrl:1
	;; [unrolled: 1-line block ×4, first 2 shown]
	v_add_f32_e32 v6, v124, v6
	v_cvt_i32_f32_e32 v10, v6
	v_add_f32_e32 v7, v123, v7
	v_cvt_i32_f32_e32 v11, v7
	v_add_f32_e32 v8, v122, v8
	v_cvt_f32_i32_dpp v10, v10 row_shr:4 row_mask:0xf bank_mask:0xf bound_ctrl:1
	v_cvt_i32_f32_e32 v12, v8
	v_cvt_f32_i32_dpp v11, v11 row_shr:4 row_mask:0xf bank_mask:0xf bound_ctrl:1
	v_add_f32_e32 v9, v121, v9
	v_add_f32_e32 v6, v6, v10
	v_cvt_i32_f32_e32 v10, v6
	v_add_f32_e32 v7, v7, v11
	v_cvt_i32_f32_e32 v11, v7
	v_cvt_f32_i32_dpp v12, v12 row_shr:4 row_mask:0xf bank_mask:0xf bound_ctrl:1
	v_cvt_f32_i32_dpp v10, v10 row_shr:2 row_mask:0xf bank_mask:0xf bound_ctrl:1
	v_cvt_i32_f32_e32 v13, v9
	v_cvt_f32_i32_dpp v11, v11 row_shr:2 row_mask:0xf bank_mask:0xf bound_ctrl:1
	v_add_f32_e32 v8, v8, v12
	v_add_f32_e32 v6, v6, v10
	v_cvt_i32_f32_e32 v10, v6
	v_add_f32_e32 v7, v7, v11
	v_cvt_i32_f32_e32 v11, v7
	v_cvt_i32_f32_e32 v12, v8
	v_cvt_f32_i32_dpp v10, v10 row_shr:1 row_mask:0xf bank_mask:0xf bound_ctrl:1
	v_cvt_f32_i32_dpp v13, v13 row_shr:4 row_mask:0xf bank_mask:0xf bound_ctrl:1
	;; [unrolled: 1-line block ×4, first 2 shown]
	v_add_f32_e32 v6, v6, v10
	v_cvt_i32_f32_e32 v10, v6
	v_add_f32_e32 v7, v7, v11
	v_cvt_i32_f32_e32 v11, v7
	v_add_f32_e32 v12, v8, v12
	v_cvt_f32_i32_dpp v10, v10 row_bcast:15 row_mask:0xf bank_mask:0xf bound_ctrl:1
	v_add_f32_e32 v9, v9, v13
	v_cvt_i32_f32_e32 v13, v12
	v_cvt_f32_i32_dpp v11, v11 row_bcast:15 row_mask:0xf bank_mask:0xf bound_ctrl:1
	v_add_f32_e32 v8, v6, v10
	v_cvt_i32_f32_e32 v10, v8
	v_cvt_f32_i32_dpp v13, v13 row_shr:1 row_mask:0xf bank_mask:0xf bound_ctrl:1
	v_add_f32_e32 v6, v7, v11
	v_cvt_i32_f32_e32 v7, v6
	v_mov_b32_dpp v11, v10 row_bcast:31 row_mask:0xf bank_mask:0xf bound_ctrl:1
	v_cvt_i32_f32_e32 v10, v9
	v_add_f32_e32 v12, v12, v13
	v_cvt_i32_f32_e32 v13, v120
	v_cvt_i32_f32_e32 v14, v12
	v_cvt_f32_i32_dpp v15, v10 row_shr:2 row_mask:0xf bank_mask:0xf bound_ctrl:1
	v_mov_b32_dpp v10, v7 row_bcast:31 row_mask:0xf bank_mask:0xf bound_ctrl:1
	v_cvt_f32_i32_dpp v7, v13 row_shr:8 row_mask:0xf bank_mask:0xf bound_ctrl:1
	v_cvt_f32_i32_dpp v13, v14 row_bcast:15 row_mask:0xf bank_mask:0xf bound_ctrl:1
	v_add_f32_e32 v9, v9, v15
	v_cvt_i32_f32_e32 v14, v9
	v_add_f32_e32 v15, v120, v7
	v_cvt_i32_f32_e32 v16, v15
	v_add_f32_e32 v7, v12, v13
	v_cvt_f32_i32_dpp v12, v14 row_shr:1 row_mask:0xf bank_mask:0xf bound_ctrl:1
	v_cvt_i32_f32_e32 v13, v119
	v_cvt_f32_i32_dpp v14, v16 row_shr:4 row_mask:0xf bank_mask:0xf bound_ctrl:1
	v_cvt_i32_f32_e32 v16, v7
	v_add_f32_e32 v9, v9, v12
	v_cvt_f32_i32_dpp v12, v13 row_shr:8 row_mask:0xf bank_mask:0xf bound_ctrl:1
	v_add_f32_e32 v14, v15, v14
	v_cvt_i32_f32_e32 v13, v14
	v_cvt_i32_f32_e32 v15, v9
	v_add_f32_e32 v12, v119, v12
	v_cvt_i32_f32_e32 v17, v12
	v_cvt_f32_i32_dpp v18, v13 row_shr:2 row_mask:0xf bank_mask:0xf bound_ctrl:1
	v_mov_b32_dpp v13, v16 row_bcast:31 row_mask:0xf bank_mask:0xf bound_ctrl:1
	v_cvt_f32_i32_dpp v15, v15 row_bcast:15 row_mask:0xf bank_mask:0xf bound_ctrl:1
	v_cvt_f32_i32_dpp v16, v17 row_shr:4 row_mask:0xf bank_mask:0xf bound_ctrl:1
	v_add_f32_e32 v14, v14, v18
	v_cvt_i32_f32_e32 v17, v14
	v_add_f32_e32 v9, v9, v15
	v_add_f32_e32 v12, v12, v16
	v_cvt_i32_f32_e32 v15, v12
	v_cvt_f32_i32_dpp v16, v17 row_shr:1 row_mask:0xf bank_mask:0xf bound_ctrl:1
	v_cvt_i32_f32_e32 v17, v118
	v_cvt_i32_f32_e32 v18, v9
	v_cvt_f32_i32_dpp v15, v15 row_shr:2 row_mask:0xf bank_mask:0xf bound_ctrl:1
	v_add_f32_e32 v14, v14, v16
	v_cvt_f32_i32_dpp v16, v17 row_shr:8 row_mask:0xf bank_mask:0xf bound_ctrl:1
	v_cvt_i32_f32_e32 v17, v14
	v_add_f32_e32 v15, v12, v15
	v_cvt_i32_f32_e32 v12, v15
	v_add_f32_e32 v19, v118, v16
	v_cvt_i32_f32_e32 v20, v19
	v_cvt_f32_i32_dpp v17, v17 row_bcast:15 row_mask:0xf bank_mask:0xf bound_ctrl:1
	v_cvt_f32_i32_dpp v21, v12 row_shr:1 row_mask:0xf bank_mask:0xf bound_ctrl:1
	v_mov_b32_dpp v16, v18 row_bcast:31 row_mask:0xf bank_mask:0xf bound_ctrl:1
	v_cvt_f32_i32_dpp v18, v20 row_shr:4 row_mask:0xf bank_mask:0xf bound_ctrl:1
	v_add_f32_e32 v12, v14, v17
	v_add_f32_e32 v14, v15, v21
	v_cvt_i32_f32_e32 v15, v117
	v_add_f32_e32 v17, v19, v18
	v_cvt_i32_f32_e32 v18, v17
	v_cvt_i32_f32_e32 v19, v14
	v_cvt_f32_i32_dpp v15, v15 row_shr:8 row_mask:0xf bank_mask:0xf bound_ctrl:1
	v_cvt_i32_f32_e32 v20, v12
	v_cvt_f32_i32_dpp v18, v18 row_shr:2 row_mask:0xf bank_mask:0xf bound_ctrl:1
	v_cvt_f32_i32_dpp v19, v19 row_bcast:15 row_mask:0xf bank_mask:0xf bound_ctrl:1
	v_add_f32_e32 v15, v117, v15
	v_cvt_i32_f32_e32 v21, v15
	v_add_f32_e32 v18, v17, v18
	v_mov_b32_dpp v17, v20 row_bcast:31 row_mask:0xf bank_mask:0xf bound_ctrl:1
	v_cvt_i32_f32_e32 v22, v18
	v_cvt_f32_i32_dpp v20, v21 row_shr:4 row_mask:0xf bank_mask:0xf bound_ctrl:1
	v_add_f32_e32 v14, v14, v19
	v_cvt_i32_f32_e32 v21, v14
	v_cvt_f32_i32_dpp v19, v22 row_shr:1 row_mask:0xf bank_mask:0xf bound_ctrl:1
	v_add_f32_e32 v15, v15, v20
	v_cvt_i32_f32_e32 v20, v15
	v_cvt_i32_f32_e32 v22, v116
	v_add_f32_e32 v18, v18, v19
	v_mov_b32_dpp v19, v21 row_bcast:31 row_mask:0xf bank_mask:0xf bound_ctrl:1
	v_cvt_f32_i32_dpp v20, v20 row_shr:2 row_mask:0xf bank_mask:0xf bound_ctrl:1
	v_cvt_f32_i32_dpp v21, v22 row_shr:8 row_mask:0xf bank_mask:0xf bound_ctrl:1
	v_cvt_i32_f32_e32 v23, v18
	v_add_f32_e32 v20, v15, v20
	v_add_f32_e32 v21, v116, v21
	v_cvt_f32_i32_dpp v22, v23 row_bcast:15 row_mask:0xf bank_mask:0xf bound_ctrl:1
	v_cvt_i32_f32_e32 v23, v20
	v_cvt_i32_f32_e32 v24, v21
	v_add_f32_e32 v15, v18, v22
	v_cvt_f32_i32_dpp v18, v23 row_shr:1 row_mask:0xf bank_mask:0xf bound_ctrl:1
	v_cvt_i32_f32_e32 v22, v115
	v_cvt_f32_i32_dpp v23, v24 row_shr:4 row_mask:0xf bank_mask:0xf bound_ctrl:1
	v_cvt_i32_f32_e32 v24, v15
	v_add_f32_e32 v18, v20, v18
	v_cvt_f32_i32_dpp v20, v22 row_shr:8 row_mask:0xf bank_mask:0xf bound_ctrl:1
	v_add_f32_e32 v22, v21, v23
	v_cvt_i32_f32_e32 v21, v22
	v_cvt_i32_f32_e32 v23, v18
	v_add_f32_e32 v20, v115, v20
	v_cvt_i32_f32_e32 v25, v20
	v_cvt_f32_i32_dpp v26, v21 row_shr:2 row_mask:0xf bank_mask:0xf bound_ctrl:1
	v_mov_b32_dpp v21, v24 row_bcast:31 row_mask:0xf bank_mask:0xf bound_ctrl:1
	v_cvt_f32_i32_dpp v23, v23 row_bcast:15 row_mask:0xf bank_mask:0xf bound_ctrl:1
	v_cvt_f32_i32_dpp v24, v25 row_shr:4 row_mask:0xf bank_mask:0xf bound_ctrl:1
	v_add_f32_e32 v22, v22, v26
	v_cvt_i32_f32_e32 v25, v22
	v_add_f32_e32 v18, v18, v23
	v_add_f32_e32 v20, v20, v24
	v_cvt_i32_f32_e32 v23, v20
	v_cvt_f32_i32_dpp v24, v25 row_shr:1 row_mask:0xf bank_mask:0xf bound_ctrl:1
	v_cvt_i32_f32_e32 v25, v114
	v_cvt_i32_f32_e32 v26, v18
	v_cvt_f32_i32_dpp v23, v23 row_shr:2 row_mask:0xf bank_mask:0xf bound_ctrl:1
	v_add_f32_e32 v22, v22, v24
	v_cvt_f32_i32_dpp v24, v25 row_shr:8 row_mask:0xf bank_mask:0xf bound_ctrl:1
	v_cvt_i32_f32_e32 v25, v22
	v_add_f32_e32 v27, v20, v23
	v_cvt_i32_f32_e32 v20, v27
	v_add_f32_e32 v24, v114, v24
	v_cvt_i32_f32_e32 v28, v24
	v_cvt_f32_i32_dpp v25, v25 row_bcast:15 row_mask:0xf bank_mask:0xf bound_ctrl:1
	v_mov_b32_dpp v23, v26 row_bcast:31 row_mask:0xf bank_mask:0xf bound_ctrl:1
	v_cvt_f32_i32_dpp v29, v20 row_shr:1 row_mask:0xf bank_mask:0xf bound_ctrl:1
	v_cvt_f32_i32_dpp v26, v28 row_shr:4 row_mask:0xf bank_mask:0xf bound_ctrl:1
	v_add_f32_e32 v20, v22, v25
	v_cvt_i32_f32_e32 v25, v113
	v_add_f32_e32 v22, v27, v29
	v_add_f32_e32 v24, v24, v26
	v_cvt_i32_f32_e32 v26, v24
	v_cvt_f32_i32_dpp v25, v25 row_shr:8 row_mask:0xf bank_mask:0xf bound_ctrl:1
	v_cvt_i32_f32_e32 v27, v22
	v_cvt_i32_f32_e32 v28, v20
	v_cvt_f32_i32_dpp v26, v26 row_shr:2 row_mask:0xf bank_mask:0xf bound_ctrl:1
	v_add_f32_e32 v25, v113, v25
	v_cvt_i32_f32_e32 v29, v25
	v_cvt_f32_i32_dpp v27, v27 row_bcast:15 row_mask:0xf bank_mask:0xf bound_ctrl:1
	v_add_f32_e32 v24, v24, v26
	v_cvt_i32_f32_e32 v30, v24
	v_mov_b32_dpp v26, v28 row_bcast:31 row_mask:0xf bank_mask:0xf bound_ctrl:1
	v_cvt_f32_i32_dpp v28, v29 row_shr:4 row_mask:0xf bank_mask:0xf bound_ctrl:1
	v_cvt_i32_f32_e32 v29, v112
	v_add_f32_e32 v22, v22, v27
	v_cvt_f32_i32_dpp v27, v30 row_shr:1 row_mask:0xf bank_mask:0xf bound_ctrl:1
	v_add_f32_e32 v25, v25, v28
	v_cvt_f32_i32_dpp v29, v29 row_shr:8 row_mask:0xf bank_mask:0xf bound_ctrl:1
	v_cvt_i32_f32_e32 v28, v25
	v_add_f32_e32 v24, v24, v27
	v_cvt_i32_f32_e32 v30, v22
	v_add_f32_e32 v29, v112, v29
	v_cvt_f32_i32_dpp v27, v28 row_shr:2 row_mask:0xf bank_mask:0xf bound_ctrl:1
	v_cvt_i32_f32_e32 v28, v24
	v_cvt_i32_f32_e32 v31, v29
	v_add_f32_e32 v25, v25, v27
	v_cvt_f32_i32_dpp v28, v28 row_bcast:15 row_mask:0xf bank_mask:0xf bound_ctrl:1
	v_cvt_f32_i32_dpp v31, v31 row_shr:4 row_mask:0xf bank_mask:0xf bound_ctrl:1
	v_cvt_i32_f32_e32 v32, v25
	v_mov_b32_dpp v27, v30 row_bcast:31 row_mask:0xf bank_mask:0xf bound_ctrl:1
	v_add_f32_e32 v24, v24, v28
	v_add_f32_e32 v28, v29, v31
	v_cvt_f32_i32_dpp v30, v32 row_shr:1 row_mask:0xf bank_mask:0xf bound_ctrl:1
	v_cvt_i32_f32_e32 v29, v28
	v_cvt_i32_f32_e32 v32, v24
	v_add_f32_e32 v25, v25, v30
	v_cvt_i32_f32_e32 v30, v111
	v_cvt_f32_i32_dpp v29, v29 row_shr:2 row_mask:0xf bank_mask:0xf bound_ctrl:1
	v_cvt_i32_f32_e32 v31, v25
	v_cvt_f32_i32_dpp v30, v30 row_shr:8 row_mask:0xf bank_mask:0xf bound_ctrl:1
	v_add_f32_e32 v29, v28, v29
	v_cvt_i32_f32_e32 v33, v29
	v_cvt_f32_i32_dpp v31, v31 row_bcast:15 row_mask:0xf bank_mask:0xf bound_ctrl:1
	v_add_f32_e32 v30, v111, v30
	v_cvt_i32_f32_e32 v34, v30
	v_mov_b32_dpp v28, v32 row_bcast:31 row_mask:0xf bank_mask:0xf bound_ctrl:1
	v_cvt_f32_i32_dpp v32, v33 row_shr:1 row_mask:0xf bank_mask:0xf bound_ctrl:1
	v_add_f32_e32 v25, v25, v31
	v_cvt_f32_i32_dpp v31, v34 row_shr:4 row_mask:0xf bank_mask:0xf bound_ctrl:1
	v_cvt_i32_f32_e32 v33, v25
	v_add_f32_e32 v29, v29, v32
	v_cvt_i32_f32_e32 v32, v110
	v_add_f32_e32 v31, v30, v31
	v_cvt_i32_f32_e32 v34, v31
	v_cvt_i32_f32_e32 v35, v29
	v_cvt_f32_i32_dpp v32, v32 row_shr:8 row_mask:0xf bank_mask:0xf bound_ctrl:1
	v_mov_b32_dpp v30, v33 row_bcast:31 row_mask:0xf bank_mask:0xf bound_ctrl:1
	v_cvt_f32_i32_dpp v33, v34 row_shr:2 row_mask:0xf bank_mask:0xf bound_ctrl:1
	v_cvt_f32_i32_dpp v34, v35 row_bcast:15 row_mask:0xf bank_mask:0xf bound_ctrl:1
	v_add_f32_e32 v32, v110, v32
	v_cvt_i32_f32_e32 v35, v32
	v_add_f32_e32 v31, v31, v33
	v_cvt_i32_f32_e32 v33, v109
	v_cvt_i32_f32_e32 v36, v31
	v_cvt_f32_i32_dpp v35, v35 row_shr:4 row_mask:0xf bank_mask:0xf bound_ctrl:1
	v_add_f32_e32 v29, v29, v34
	v_cvt_f32_i32_dpp v33, v33 row_shr:8 row_mask:0xf bank_mask:0xf bound_ctrl:1
	v_cvt_f32_i32_dpp v34, v36 row_shr:1 row_mask:0xf bank_mask:0xf bound_ctrl:1
	v_add_f32_e32 v32, v32, v35
	v_cvt_i32_f32_e32 v35, v32
	v_add_f32_e32 v33, v109, v33
	v_cvt_i32_f32_e32 v36, v33
	v_add_f32_e32 v31, v31, v34
	v_cvt_f32_i32_dpp v35, v35 row_shr:2 row_mask:0xf bank_mask:0xf bound_ctrl:1
	v_cvt_i32_f32_e32 v37, v29
	v_cvt_f32_i32_dpp v34, v36 row_shr:4 row_mask:0xf bank_mask:0xf bound_ctrl:1
	v_cvt_i32_f32_e32 v36, v31
	v_add_f32_e32 v32, v32, v35
	v_cvt_i32_f32_e32 v35, v32
	v_add_f32_e32 v33, v33, v34
	v_cvt_i32_f32_e32 v34, v33
	v_cvt_f32_i32_dpp v38, v36 row_bcast:15 row_mask:0xf bank_mask:0xf bound_ctrl:1
	v_cvt_f32_i32_dpp v35, v35 row_shr:1 row_mask:0xf bank_mask:0xf bound_ctrl:1
	v_mov_b32_dpp v36, v37 row_bcast:31 row_mask:0xf bank_mask:0xf bound_ctrl:1
	v_cvt_f32_i32_dpp v34, v34 row_shr:2 row_mask:0xf bank_mask:0xf bound_ctrl:1
	v_add_f32_e32 v31, v31, v38
	v_add_f32_e32 v32, v32, v35
	v_cvt_i32_f32_e32 v35, v89
	v_add_f32_e32 v33, v33, v34
	v_cvt_i32_f32_e32 v34, v33
	v_cvt_i32_f32_e32 v37, v32
	v_cvt_f32_i32_dpp v35, v35 row_shr:8 row_mask:0xf bank_mask:0xf bound_ctrl:1
	v_cvt_i32_f32_e32 v38, v31
	v_cvt_f32_i32_dpp v34, v34 row_shr:1 row_mask:0xf bank_mask:0xf bound_ctrl:1
	v_cvt_f32_i32_dpp v37, v37 row_bcast:15 row_mask:0xf bank_mask:0xf bound_ctrl:1
	v_add_f32_e32 v35, v89, v35
	v_cvt_i32_f32_e32 v39, v35
	v_add_f32_e32 v33, v33, v34
	v_cvt_i32_f32_e32 v34, v33
	v_add_f32_e32 v32, v32, v37
	v_cvt_f32_i32_dpp v39, v39 row_shr:4 row_mask:0xf bank_mask:0xf bound_ctrl:1
	v_cvt_i32_f32_e32 v37, v87
	v_cvt_f32_i32_dpp v34, v34 row_bcast:15 row_mask:0xf bank_mask:0xf bound_ctrl:1
	v_cvt_i32_f32_e32 v40, v32
	v_add_f32_e32 v35, v35, v39
	v_cvt_i32_f32_e32 v39, v35
	v_cvt_f32_i32_dpp v37, v37 row_shr:8 row_mask:0xf bank_mask:0xf bound_ctrl:1
	v_add_f32_e32 v33, v33, v34
	v_mov_b32_dpp v38, v38 row_bcast:31 row_mask:0xf bank_mask:0xf bound_ctrl:1
	v_cvt_f32_i32_dpp v34, v39 row_shr:2 row_mask:0xf bank_mask:0xf bound_ctrl:1
	v_add_f32_e32 v37, v87, v37
	v_cvt_i32_f32_e32 v41, v37
	v_cvt_i32_f32_e32 v39, v33
	v_add_f32_e32 v34, v35, v34
	v_cvt_i32_f32_e32 v42, v34
	v_cvt_f32_i32_dpp v41, v41 row_shr:4 row_mask:0xf bank_mask:0xf bound_ctrl:1
	v_mov_b32_dpp v35, v39 row_bcast:31 row_mask:0xf bank_mask:0xf bound_ctrl:1
	v_mov_b32_dpp v40, v40 row_bcast:31 row_mask:0xf bank_mask:0xf bound_ctrl:1
	v_cvt_f32_i32_dpp v39, v42 row_shr:1 row_mask:0xf bank_mask:0xf bound_ctrl:1
	v_cvt_i32_f32_e32 v42, v85
	v_add_f32_e32 v37, v37, v41
	v_cvt_i32_f32_e32 v41, v79
	v_add_f32_e32 v34, v34, v39
	v_cvt_f32_i32_dpp v42, v42 row_shr:8 row_mask:0xf bank_mask:0xf bound_ctrl:1
	v_cvt_i32_f32_e32 v43, v37
	v_cvt_f32_i32_dpp v39, v41 row_shr:8 row_mask:0xf bank_mask:0xf bound_ctrl:1
	v_cvt_i32_f32_e32 v45, v34
	v_add_f32_e32 v42, v85, v42
	v_cvt_f32_i32_dpp v41, v43 row_shr:2 row_mask:0xf bank_mask:0xf bound_ctrl:1
	v_add_f32_e32 v39, v79, v39
	v_cvt_i32_f32_e32 v43, v42
	v_cvt_i32_f32_e32 v44, v39
	v_add_f32_e32 v37, v37, v41
	v_cvt_f32_i32_dpp v45, v45 row_bcast:15 row_mask:0xf bank_mask:0xf bound_ctrl:1
	v_cvt_f32_i32_dpp v43, v43 row_shr:4 row_mask:0xf bank_mask:0xf bound_ctrl:1
	v_cvt_f32_i32_dpp v41, v44 row_shr:4 row_mask:0xf bank_mask:0xf bound_ctrl:1
	v_cvt_i32_f32_e32 v44, v37
	v_add_f32_e32 v42, v42, v43
	v_add_f32_e32 v39, v39, v41
	v_cvt_i32_f32_e32 v43, v42
	v_cvt_i32_f32_e32 v41, v39
	v_cvt_f32_i32_dpp v44, v44 row_shr:1 row_mask:0xf bank_mask:0xf bound_ctrl:1
	v_cvt_f32_i32_dpp v43, v43 row_shr:2 row_mask:0xf bank_mask:0xf bound_ctrl:1
	;; [unrolled: 1-line block ×3, first 2 shown]
	v_add_f32_e32 v37, v37, v44
	v_cvt_i32_f32_e32 v44, v37
	v_add_f32_e32 v42, v42, v43
	v_add_f32_e32 v39, v39, v41
	v_cvt_i32_f32_e32 v43, v42
	v_cvt_i32_f32_e32 v41, v39
	s_waitcnt vmcnt(0)
	v_cvt_f32_i32_dpp v46, v43 row_shr:1 row_mask:0xf bank_mask:0xf bound_ctrl:1
	v_add_f32_e32 v43, v34, v45
	v_cvt_f32_i32_dpp v34, v41 row_shr:1 row_mask:0xf bank_mask:0xf bound_ctrl:1
	v_cvt_f32_i32_dpp v41, v44 row_bcast:15 row_mask:0xf bank_mask:0xf bound_ctrl:1
	v_add_f32_e32 v44, v42, v46
	v_cvt_i32_f32_e32 v42, v44
	v_add_f32_e32 v34, v39, v34
	v_cvt_i32_f32_e32 v39, v34
	v_cvt_i32_f32_e32 v45, v43
	v_cvt_f32_i32_dpp v46, v42 row_bcast:15 row_mask:0xf bank_mask:0xf bound_ctrl:1
	v_add_f32_e32 v42, v37, v41
	v_cvt_f32_i32_dpp v37, v39 row_bcast:15 row_mask:0xf bank_mask:0xf bound_ctrl:1
	v_cvt_i32_f32_e32 v41, v42
	v_add_f32_e32 v39, v44, v46
	v_cvt_i32_f32_e32 v46, v39
	v_add_f32_e32 v34, v34, v37
	v_cvt_i32_f32_e32 v37, v34
	v_mov_b32_dpp v45, v45 row_bcast:31 row_mask:0xf bank_mask:0xf bound_ctrl:1
	v_mov_b32_dpp v44, v41 row_bcast:31 row_mask:0xf bank_mask:0xf bound_ctrl:1
	;; [unrolled: 1-line block ×4, first 2 shown]
	s_and_saveexec_b64 s[30:31], s[0:1]
	s_cbranch_execz .LBB141_90
; %bb.67:                               ;   in Loop: Header=BB141_19 Depth=1
	s_andn2_b64 vcc, exec, s[26:27]
	v_mov_b32_e32 v65, 0
	v_mov_b32_e32 v64, 0
	;; [unrolled: 1-line block ×20, first 2 shown]
	s_cbranch_vccnz .LBB141_69
; %bb.68:                               ;   in Loop: Header=BB141_19 Depth=1
	v_mul_hi_u32 v46, v78, v1
	v_mul_lo_u32 v46, v46, s20
	v_sub_u32_e32 v46, v78, v46
	v_subrev_u32_e32 v47, s20, v46
	v_cmp_le_u32_e32 vcc, s20, v46
	v_mul_hi_u32 v48, v88, v1
	v_mul_lo_u32 v48, v48, s20
	v_cndmask_b32_e32 v46, v46, v47, vcc
	v_subrev_u32_e32 v47, s20, v46
	v_cmp_le_u32_e32 vcc, s20, v46
	v_sub_u32_e32 v48, v88, v48
	v_subrev_u32_e32 v49, s20, v48
	v_cndmask_b32_e32 v80, v46, v47, vcc
	v_cmp_le_u32_e32 vcc, s20, v48
	v_add_u32_e32 v56, s39, v80
	v_mov_b32_e32 v57, v81
	v_cndmask_b32_e32 v48, v48, v49, vcc
	v_subrev_u32_e32 v49, s20, v48
	v_cmp_le_u32_e32 vcc, s20, v48
	v_lshl_add_u64 v[70:71], v[56:57], 1, s[16:17]
	v_lshl_add_u64 v[46:47], v[80:81], 1, s[16:17]
	v_cndmask_b32_e32 v48, v48, v49, vcc
	v_mov_b32_e32 v49, v81
	v_lshl_add_u64 v[50:51], v[48:49], 1, s[16:17]
	v_mul_hi_u32 v49, v86, v1
	v_mul_lo_u32 v49, v49, s20
	v_sub_u32_e32 v49, v86, v49
	v_subrev_u32_e32 v52, s20, v49
	v_cmp_le_u32_e32 vcc, s20, v49
	v_add_u32_e32 v56, s39, v48
	v_lshl_add_u64 v[72:73], v[56:57], 1, s[16:17]
	v_cndmask_b32_e32 v49, v49, v52, vcc
	v_subrev_u32_e32 v52, s20, v49
	v_cmp_le_u32_e32 vcc, s20, v49
	v_mov_b32_e32 v67, v81
	v_mov_b32_e32 v69, v81
	v_cndmask_b32_e32 v66, v49, v52, vcc
	v_mul_hi_u32 v49, v84, v1
	v_mul_lo_u32 v49, v49, s20
	v_sub_u32_e32 v49, v84, v49
	v_subrev_u32_e32 v54, s20, v49
	v_cmp_le_u32_e32 vcc, s20, v49
	v_add_u32_e32 v56, s39, v66
	v_lshl_add_u64 v[74:75], v[56:57], 1, s[16:17]
	v_cndmask_b32_e32 v49, v49, v54, vcc
	v_subrev_u32_e32 v54, s20, v49
	v_cmp_le_u32_e32 vcc, s20, v49
	v_lshl_add_u64 v[52:53], v[66:67], 1, s[16:17]
	s_nop 0
	v_cndmask_b32_e32 v68, v49, v54, vcc
	v_add_u32_e32 v56, s39, v68
	v_lshl_add_u64 v[54:55], v[68:69], 1, s[16:17]
	v_lshl_add_u64 v[76:77], v[56:57], 1, s[16:17]
	global_load_ushort v65, v[46:47], off
	global_load_ushort v64, v[50:51], off
	global_load_ushort v63, v[52:53], off
	global_load_ushort v62, v[54:55], off
	global_load_ushort v61, v[70:71], off
	global_load_ushort v60, v[72:73], off
	global_load_ushort v58, v[74:75], off
	global_load_ushort v56, v[76:77], off
	v_add_u32_e32 v50, s40, v48
	v_mov_b32_e32 v51, v81
	v_lshl_add_u64 v[70:71], v[50:51], 1, s[16:17]
	v_add_u32_e32 v50, s40, v66
	v_lshl_add_u64 v[72:73], v[50:51], 1, s[16:17]
	v_add_u32_e32 v50, s40, v68
	;; [unrolled: 2-line block ×4, first 2 shown]
	v_add_u32_e32 v46, s40, v80
	v_mov_b32_e32 v47, v81
	v_lshl_add_u64 v[90:91], v[50:51], 1, s[16:17]
	v_add_u32_e32 v50, s41, v66
	v_lshl_add_u64 v[46:47], v[46:47], 1, s[16:17]
	v_lshl_add_u64 v[92:93], v[50:51], 1, s[16:17]
	v_add_u32_e32 v50, s41, v68
	v_lshl_add_u64 v[94:95], v[50:51], 1, s[16:17]
	global_load_ushort v59, v[46:47], off
	global_load_ushort v57, v[70:71], off
	;; [unrolled: 1-line block ×8, first 2 shown]
	v_add_u32_e32 v80, s42, v80
	v_lshl_add_u64 v[70:71], v[80:81], 1, s[16:17]
	v_add_u32_e32 v80, s42, v48
	v_lshl_add_u64 v[72:73], v[80:81], 1, s[16:17]
	;; [unrolled: 2-line block ×4, first 2 shown]
	global_load_ushort v50, v[70:71], off
	global_load_ushort v48, v[72:73], off
	;; [unrolled: 1-line block ×4, first 2 shown]
.LBB141_69:                             ;   in Loop: Header=BB141_19 Depth=1
	v_cmp_ne_u32_e32 vcc, 0, v2
	s_and_saveexec_b64 s[4:5], vcc
	s_cbranch_execnz .LBB141_95
; %bb.70:                               ;   in Loop: Header=BB141_19 Depth=1
	s_or_b64 exec, exec, s[4:5]
	v_cmp_ne_u32_e64 s[4:5], 0, v3
	s_and_saveexec_b64 s[6:7], s[4:5]
	s_cbranch_execnz .LBB141_96
.LBB141_71:                             ;   in Loop: Header=BB141_19 Depth=1
	s_or_b64 exec, exec, s[6:7]
	v_cmp_ne_u32_e64 s[6:7], 0, v4
	s_and_saveexec_b64 s[8:9], s[6:7]
	s_cbranch_execnz .LBB141_97
.LBB141_72:                             ;   in Loop: Header=BB141_19 Depth=1
	s_or_b64 exec, exec, s[8:9]
	v_cmp_ne_u32_e64 s[8:9], 0, v5
	s_and_saveexec_b64 s[34:35], s[8:9]
	s_cbranch_execnz .LBB141_98
.LBB141_73:                             ;   in Loop: Header=BB141_19 Depth=1
	s_or_b64 exec, exec, s[34:35]
	v_add_u32_e32 v80, s15, v78
	s_and_saveexec_b64 s[34:35], vcc
	s_cbranch_execnz .LBB141_99
.LBB141_74:                             ;   in Loop: Header=BB141_19 Depth=1
	s_or_b64 exec, exec, s[34:35]
	s_and_saveexec_b64 s[34:35], s[4:5]
	s_cbranch_execnz .LBB141_100
.LBB141_75:                             ;   in Loop: Header=BB141_19 Depth=1
	s_or_b64 exec, exec, s[34:35]
	s_and_saveexec_b64 s[34:35], s[6:7]
	s_cbranch_execnz .LBB141_101
.LBB141_76:                             ;   in Loop: Header=BB141_19 Depth=1
	s_or_b64 exec, exec, s[34:35]
	s_and_saveexec_b64 s[34:35], s[8:9]
	s_cbranch_execnz .LBB141_102
.LBB141_77:                             ;   in Loop: Header=BB141_19 Depth=1
	s_or_b64 exec, exec, s[34:35]
	v_add_u32_e32 v80, s15, v80
	s_and_saveexec_b64 s[34:35], vcc
	s_cbranch_execnz .LBB141_103
.LBB141_78:                             ;   in Loop: Header=BB141_19 Depth=1
	s_or_b64 exec, exec, s[34:35]
	s_and_saveexec_b64 s[34:35], s[4:5]
	s_cbranch_execnz .LBB141_104
.LBB141_79:                             ;   in Loop: Header=BB141_19 Depth=1
	s_or_b64 exec, exec, s[34:35]
	s_and_saveexec_b64 s[34:35], s[6:7]
	s_cbranch_execnz .LBB141_105
.LBB141_80:                             ;   in Loop: Header=BB141_19 Depth=1
	s_or_b64 exec, exec, s[34:35]
	s_and_saveexec_b64 s[34:35], s[8:9]
	s_cbranch_execnz .LBB141_106
.LBB141_81:                             ;   in Loop: Header=BB141_19 Depth=1
	s_or_b64 exec, exec, s[34:35]
	v_add_u32_e32 v80, s15, v80
	s_and_saveexec_b64 s[34:35], vcc
	s_cbranch_execnz .LBB141_107
.LBB141_82:                             ;   in Loop: Header=BB141_19 Depth=1
	s_or_b64 exec, exec, s[34:35]
	s_and_saveexec_b64 s[34:35], s[4:5]
	s_cbranch_execnz .LBB141_108
.LBB141_83:                             ;   in Loop: Header=BB141_19 Depth=1
	s_or_b64 exec, exec, s[34:35]
	s_and_saveexec_b64 s[34:35], s[6:7]
	s_cbranch_execnz .LBB141_109
.LBB141_84:                             ;   in Loop: Header=BB141_19 Depth=1
	s_or_b64 exec, exec, s[34:35]
	s_and_saveexec_b64 s[34:35], s[8:9]
	s_cbranch_execnz .LBB141_110
.LBB141_85:                             ;   in Loop: Header=BB141_19 Depth=1
	s_or_b64 exec, exec, s[34:35]
	v_add_u32_e32 v80, s15, v80
	s_and_saveexec_b64 s[34:35], vcc
	s_cbranch_execnz .LBB141_111
.LBB141_86:                             ;   in Loop: Header=BB141_19 Depth=1
	s_or_b64 exec, exec, s[34:35]
	s_and_saveexec_b64 s[34:35], s[4:5]
	s_cbranch_execnz .LBB141_112
.LBB141_87:                             ;   in Loop: Header=BB141_19 Depth=1
	s_or_b64 exec, exec, s[34:35]
	s_and_saveexec_b64 s[4:5], s[6:7]
	s_cbranch_execnz .LBB141_113
.LBB141_88:                             ;   in Loop: Header=BB141_19 Depth=1
	s_or_b64 exec, exec, s[4:5]
	s_and_b64 exec, exec, s[8:9]
	s_cbranch_execz .LBB141_90
.LBB141_89:                             ;   in Loop: Header=BB141_19 Depth=1
	v_cvt_f32_i32_e32 v6, v37
	s_waitcnt vmcnt(0)
	v_cvt_f32_f16_e32 v7, v46
	v_add_u32_e32 v80, 3, v80
	v_add_f32_e32 v6, v34, v6
	v_add_f32_e32 v6, v6, v7
	v_cvt_f16_f32_e32 v8, v6
	v_lshl_add_u64 v[6:7], v[80:81], 1, s[18:19]
	global_store_short v[6:7], v8, off
.LBB141_90:                             ;   in Loop: Header=BB141_19 Depth=1
	s_or_b64 exec, exec, s[30:31]
	v_add_u32_e32 v78, s37, v78
	v_add_u32_e32 v6, 4, v78
	v_cmp_gt_u32_e32 vcc, s15, v78
	v_cmp_le_u32_e64 s[4:5], s15, v6
	s_and_b64 s[4:5], vcc, s[4:5]
	s_and_saveexec_b64 s[6:7], s[4:5]
	s_cbranch_execz .LBB141_18
; %bb.91:                               ;   in Loop: Header=BB141_19 Depth=1
	v_cmp_ne_u32_e32 vcc, s38, v78
	s_and_saveexec_b64 s[8:9], vcc
	s_cbranch_execz .LBB141_17
; %bb.92:                               ;   in Loop: Header=BB141_19 Depth=1
	v_subrev_u32_e32 v6, s38, v78
	v_cmp_lt_u32_e32 vcc, 1, v6
	s_mov_b64 s[30:31], 0
	s_mov_b64 s[34:35], 0
	v_cndmask_b32_e32 v6, 1, v6, vcc
.LBB141_93:                             ;   Parent Loop BB141_19 Depth=1
                                        ; =>  This Inner Loop Header: Depth=2
	s_cmp_lg_u32 s34, 3
	s_cselect_b64 vcc, -1, 0
	s_cmp_lg_u32 s34, 2
	v_cndmask_b32_e32 v5, 0, v5, vcc
	s_cselect_b64 vcc, -1, 0
	s_cmp_lg_u32 s34, 1
	v_cndmask_b32_e32 v4, 0, v4, vcc
	;; [unrolled: 3-line block ×3, first 2 shown]
	s_cselect_b64 vcc, -1, 0
	s_add_u32 s34, s34, 1
	s_addc_u32 s35, s35, 0
	v_cmp_eq_u32_e64 s[4:5], s34, v6
	s_or_b64 s[30:31], s[4:5], s[30:31]
	v_cndmask_b32_e32 v2, 0, v2, vcc
	s_andn2_b64 exec, exec, s[30:31]
	s_cbranch_execnz .LBB141_93
; %bb.94:                               ;   in Loop: Header=BB141_19 Depth=1
	s_or_b64 exec, exec, s[30:31]
	s_branch .LBB141_17
.LBB141_95:                             ;   in Loop: Header=BB141_19 Depth=1
	v_cvt_f32_i32_e32 v11, v11
	s_waitcnt vmcnt(19)
	v_cvt_f32_f16_e32 v65, v65
	v_mov_b32_e32 v79, v81
	v_lshl_add_u64 v[66:67], v[78:79], 1, s[18:19]
	v_add_f32_e32 v8, v8, v11
	v_add_f32_e32 v8, v8, v65
	v_cvt_f16_f32_e32 v8, v8
	global_store_short v[66:67], v8, off
	s_or_b64 exec, exec, s[4:5]
	v_cmp_ne_u32_e64 s[4:5], 0, v3
	s_and_saveexec_b64 s[6:7], s[4:5]
	s_cbranch_execz .LBB141_71
.LBB141_96:                             ;   in Loop: Header=BB141_19 Depth=1
	v_cvt_f32_i32_e32 v8, v10
	s_waitcnt vmcnt(18)
	v_cvt_f32_f16_e32 v10, v64
	v_mov_b32_e32 v89, v81
	v_add_f32_e32 v6, v6, v8
	v_add_f32_e32 v6, v6, v10
	v_cvt_f16_f32_e32 v6, v6
	v_lshl_add_u64 v[10:11], v[88:89], 1, s[18:19]
	global_store_short v[10:11], v6, off
	s_or_b64 exec, exec, s[6:7]
	v_cmp_ne_u32_e64 s[6:7], 0, v4
	s_and_saveexec_b64 s[8:9], s[6:7]
	s_cbranch_execz .LBB141_72
.LBB141_97:                             ;   in Loop: Header=BB141_19 Depth=1
	v_cvt_f32_i32_e32 v6, v13
	s_waitcnt vmcnt(17)
	v_cvt_f32_f16_e32 v8, v63
	v_mov_b32_e32 v87, v81
	v_add_f32_e32 v6, v7, v6
	v_add_f32_e32 v6, v6, v8
	v_cvt_f16_f32_e32 v8, v6
	v_lshl_add_u64 v[6:7], v[86:87], 1, s[18:19]
	global_store_short v[6:7], v8, off
	s_or_b64 exec, exec, s[8:9]
	v_cmp_ne_u32_e64 s[8:9], 0, v5
	s_and_saveexec_b64 s[34:35], s[8:9]
	s_cbranch_execz .LBB141_73
.LBB141_98:                             ;   in Loop: Header=BB141_19 Depth=1
	v_cvt_f32_i32_e32 v6, v16
	s_waitcnt vmcnt(16)
	v_cvt_f32_f16_e32 v7, v62
	v_mov_b32_e32 v85, v81
	v_add_f32_e32 v6, v9, v6
	v_add_f32_e32 v6, v6, v7
	v_cvt_f16_f32_e32 v8, v6
	v_lshl_add_u64 v[6:7], v[84:85], 1, s[18:19]
	global_store_short v[6:7], v8, off
	s_or_b64 exec, exec, s[34:35]
	v_add_u32_e32 v80, s15, v78
	s_and_saveexec_b64 s[34:35], vcc
	s_cbranch_execz .LBB141_74
.LBB141_99:                             ;   in Loop: Header=BB141_19 Depth=1
	v_cvt_f32_i32_e32 v6, v17
	s_waitcnt vmcnt(15)
	v_cvt_f32_f16_e32 v7, v61
	v_add_f32_e32 v6, v12, v6
	v_add_f32_e32 v6, v6, v7
	v_cvt_f16_f32_e32 v8, v6
	v_lshl_add_u64 v[6:7], v[80:81], 1, s[18:19]
	global_store_short v[6:7], v8, off
	s_or_b64 exec, exec, s[34:35]
	s_and_saveexec_b64 s[34:35], s[4:5]
	s_cbranch_execz .LBB141_75
.LBB141_100:                            ;   in Loop: Header=BB141_19 Depth=1
	v_cvt_f32_i32_e32 v6, v19
	s_waitcnt vmcnt(14)
	v_cvt_f32_f16_e32 v7, v60
	v_add_f32_e32 v6, v14, v6
	v_add_f32_e32 v6, v6, v7
	v_cvt_f16_f32_e32 v8, v6
	v_add_u32_e32 v6, 1, v80
	v_mov_b32_e32 v7, v81
	v_lshl_add_u64 v[6:7], v[6:7], 1, s[18:19]
	global_store_short v[6:7], v8, off
	s_or_b64 exec, exec, s[34:35]
	s_and_saveexec_b64 s[34:35], s[6:7]
	s_cbranch_execz .LBB141_76
.LBB141_101:                            ;   in Loop: Header=BB141_19 Depth=1
	v_cvt_f32_i32_e32 v6, v21
	s_waitcnt vmcnt(13)
	v_cvt_f32_f16_e32 v7, v58
	v_add_f32_e32 v6, v15, v6
	v_add_f32_e32 v6, v6, v7
	v_cvt_f16_f32_e32 v8, v6
	v_add_u32_e32 v6, 2, v80
	v_mov_b32_e32 v7, v81
	v_lshl_add_u64 v[6:7], v[6:7], 1, s[18:19]
	global_store_short v[6:7], v8, off
	s_or_b64 exec, exec, s[34:35]
	s_and_saveexec_b64 s[34:35], s[8:9]
	s_cbranch_execz .LBB141_77
.LBB141_102:                            ;   in Loop: Header=BB141_19 Depth=1
	v_cvt_f32_i32_e32 v6, v23
	s_waitcnt vmcnt(12)
	v_cvt_f32_f16_e32 v7, v56
	v_add_f32_e32 v6, v18, v6
	v_add_f32_e32 v6, v6, v7
	v_cvt_f16_f32_e32 v8, v6
	v_add_u32_e32 v6, 3, v80
	v_mov_b32_e32 v7, v81
	v_lshl_add_u64 v[6:7], v[6:7], 1, s[18:19]
	global_store_short v[6:7], v8, off
	s_or_b64 exec, exec, s[34:35]
	v_add_u32_e32 v80, s15, v80
	s_and_saveexec_b64 s[34:35], vcc
	s_cbranch_execz .LBB141_78
.LBB141_103:                            ;   in Loop: Header=BB141_19 Depth=1
	v_cvt_f32_i32_e32 v6, v26
	s_waitcnt vmcnt(11)
	v_cvt_f32_f16_e32 v7, v59
	v_add_f32_e32 v6, v20, v6
	v_add_f32_e32 v6, v6, v7
	v_cvt_f16_f32_e32 v8, v6
	v_lshl_add_u64 v[6:7], v[80:81], 1, s[18:19]
	global_store_short v[6:7], v8, off
	s_or_b64 exec, exec, s[34:35]
	s_and_saveexec_b64 s[34:35], s[4:5]
	s_cbranch_execz .LBB141_79
.LBB141_104:                            ;   in Loop: Header=BB141_19 Depth=1
	v_cvt_f32_i32_e32 v6, v27
	s_waitcnt vmcnt(10)
	v_cvt_f32_f16_e32 v7, v57
	v_add_f32_e32 v6, v22, v6
	v_add_f32_e32 v6, v6, v7
	v_cvt_f16_f32_e32 v8, v6
	v_add_u32_e32 v6, 1, v80
	v_mov_b32_e32 v7, v81
	v_lshl_add_u64 v[6:7], v[6:7], 1, s[18:19]
	global_store_short v[6:7], v8, off
	s_or_b64 exec, exec, s[34:35]
	s_and_saveexec_b64 s[34:35], s[6:7]
	s_cbranch_execz .LBB141_80
.LBB141_105:                            ;   in Loop: Header=BB141_19 Depth=1
	v_cvt_f32_i32_e32 v6, v28
	s_waitcnt vmcnt(9)
	v_cvt_f32_f16_e32 v7, v55
	v_add_f32_e32 v6, v24, v6
	v_add_f32_e32 v6, v6, v7
	v_cvt_f16_f32_e32 v8, v6
	v_add_u32_e32 v6, 2, v80
	v_mov_b32_e32 v7, v81
	v_lshl_add_u64 v[6:7], v[6:7], 1, s[18:19]
	global_store_short v[6:7], v8, off
	s_or_b64 exec, exec, s[34:35]
	s_and_saveexec_b64 s[34:35], s[8:9]
	s_cbranch_execz .LBB141_81
.LBB141_106:                            ;   in Loop: Header=BB141_19 Depth=1
	v_cvt_f32_i32_e32 v6, v30
	s_waitcnt vmcnt(8)
	v_cvt_f32_f16_e32 v7, v54
	v_add_f32_e32 v6, v25, v6
	v_add_f32_e32 v6, v6, v7
	v_cvt_f16_f32_e32 v8, v6
	v_add_u32_e32 v6, 3, v80
	v_mov_b32_e32 v7, v81
	v_lshl_add_u64 v[6:7], v[6:7], 1, s[18:19]
	global_store_short v[6:7], v8, off
	s_or_b64 exec, exec, s[34:35]
	v_add_u32_e32 v80, s15, v80
	s_and_saveexec_b64 s[34:35], vcc
	s_cbranch_execz .LBB141_82
.LBB141_107:                            ;   in Loop: Header=BB141_19 Depth=1
	v_cvt_f32_i32_e32 v6, v36
	s_waitcnt vmcnt(7)
	v_cvt_f32_f16_e32 v7, v53
	v_add_f32_e32 v6, v29, v6
	v_add_f32_e32 v6, v6, v7
	v_cvt_f16_f32_e32 v8, v6
	v_lshl_add_u64 v[6:7], v[80:81], 1, s[18:19]
	global_store_short v[6:7], v8, off
	s_or_b64 exec, exec, s[34:35]
	s_and_saveexec_b64 s[34:35], s[4:5]
	s_cbranch_execz .LBB141_83
.LBB141_108:                            ;   in Loop: Header=BB141_19 Depth=1
	v_cvt_f32_i32_e32 v6, v38
	s_waitcnt vmcnt(6)
	v_cvt_f32_f16_e32 v7, v52
	v_add_f32_e32 v6, v31, v6
	v_add_f32_e32 v6, v6, v7
	v_cvt_f16_f32_e32 v8, v6
	v_add_u32_e32 v6, 1, v80
	v_mov_b32_e32 v7, v81
	v_lshl_add_u64 v[6:7], v[6:7], 1, s[18:19]
	global_store_short v[6:7], v8, off
	s_or_b64 exec, exec, s[34:35]
	s_and_saveexec_b64 s[34:35], s[6:7]
	s_cbranch_execz .LBB141_84
.LBB141_109:                            ;   in Loop: Header=BB141_19 Depth=1
	v_cvt_f32_i32_e32 v6, v40
	s_waitcnt vmcnt(5)
	v_cvt_f32_f16_e32 v7, v51
	v_add_f32_e32 v6, v32, v6
	v_add_f32_e32 v6, v6, v7
	v_cvt_f16_f32_e32 v8, v6
	v_add_u32_e32 v6, 2, v80
	v_mov_b32_e32 v7, v81
	v_lshl_add_u64 v[6:7], v[6:7], 1, s[18:19]
	global_store_short v[6:7], v8, off
	s_or_b64 exec, exec, s[34:35]
	s_and_saveexec_b64 s[34:35], s[8:9]
	s_cbranch_execz .LBB141_85
.LBB141_110:                            ;   in Loop: Header=BB141_19 Depth=1
	v_cvt_f32_i32_e32 v6, v35
	s_waitcnt vmcnt(4)
	v_cvt_f32_f16_e32 v7, v49
	v_add_f32_e32 v6, v33, v6
	v_add_f32_e32 v6, v6, v7
	v_cvt_f16_f32_e32 v8, v6
	v_add_u32_e32 v6, 3, v80
	v_mov_b32_e32 v7, v81
	v_lshl_add_u64 v[6:7], v[6:7], 1, s[18:19]
	global_store_short v[6:7], v8, off
	s_or_b64 exec, exec, s[34:35]
	v_add_u32_e32 v80, s15, v80
	s_and_saveexec_b64 s[34:35], vcc
	s_cbranch_execz .LBB141_86
.LBB141_111:                            ;   in Loop: Header=BB141_19 Depth=1
	v_cvt_f32_i32_e32 v6, v45
	s_waitcnt vmcnt(3)
	v_cvt_f32_f16_e32 v7, v50
	v_add_f32_e32 v6, v43, v6
	v_add_f32_e32 v6, v6, v7
	v_cvt_f16_f32_e32 v8, v6
	v_lshl_add_u64 v[6:7], v[80:81], 1, s[18:19]
	global_store_short v[6:7], v8, off
	s_or_b64 exec, exec, s[34:35]
	s_and_saveexec_b64 s[34:35], s[4:5]
	s_cbranch_execz .LBB141_87
.LBB141_112:                            ;   in Loop: Header=BB141_19 Depth=1
	v_cvt_f32_i32_e32 v6, v44
	s_waitcnt vmcnt(2)
	v_cvt_f32_f16_e32 v7, v48
	v_add_f32_e32 v6, v42, v6
	v_add_f32_e32 v6, v6, v7
	v_cvt_f16_f32_e32 v8, v6
	v_add_u32_e32 v6, 1, v80
	v_mov_b32_e32 v7, v81
	v_lshl_add_u64 v[6:7], v[6:7], 1, s[18:19]
	global_store_short v[6:7], v8, off
	s_or_b64 exec, exec, s[34:35]
	s_and_saveexec_b64 s[4:5], s[6:7]
	s_cbranch_execz .LBB141_88
.LBB141_113:                            ;   in Loop: Header=BB141_19 Depth=1
	v_cvt_f32_i32_e32 v6, v41
	s_waitcnt vmcnt(1)
	v_cvt_f32_f16_e32 v7, v47
	v_add_f32_e32 v6, v39, v6
	v_add_f32_e32 v6, v6, v7
	v_cvt_f16_f32_e32 v8, v6
	v_add_u32_e32 v6, 2, v80
	v_mov_b32_e32 v7, v81
	v_lshl_add_u64 v[6:7], v[6:7], 1, s[18:19]
	global_store_short v[6:7], v8, off
	s_or_b64 exec, exec, s[4:5]
	s_and_b64 exec, exec, s[8:9]
	s_cbranch_execnz .LBB141_89
	s_branch .LBB141_90
.LBB141_114:
	s_endpgm
	.section	.rodata,"a",@progbits
	.p2align	6, 0x0
	.amdhsa_kernel _Z12wvSplitK_hf_I6__halfLi32ELi4ELi16ELi8ELi2ELi5EEviiiiiiPKT_S3_S3_PS1_ii
		.amdhsa_group_segment_fixed_size 65536
		.amdhsa_private_segment_fixed_size 0
		.amdhsa_kernarg_size 64
		.amdhsa_user_sgpr_count 2
		.amdhsa_user_sgpr_dispatch_ptr 0
		.amdhsa_user_sgpr_queue_ptr 0
		.amdhsa_user_sgpr_kernarg_segment_ptr 1
		.amdhsa_user_sgpr_dispatch_id 0
		.amdhsa_user_sgpr_kernarg_preload_length 0
		.amdhsa_user_sgpr_kernarg_preload_offset 0
		.amdhsa_user_sgpr_private_segment_size 0
		.amdhsa_uses_dynamic_stack 0
		.amdhsa_enable_private_segment 0
		.amdhsa_system_sgpr_workgroup_id_x 1
		.amdhsa_system_sgpr_workgroup_id_y 0
		.amdhsa_system_sgpr_workgroup_id_z 0
		.amdhsa_system_sgpr_workgroup_info 0
		.amdhsa_system_vgpr_workitem_id 1
		.amdhsa_next_free_vgpr 126
		.amdhsa_next_free_sgpr 46
		.amdhsa_accum_offset 128
		.amdhsa_reserve_vcc 1
		.amdhsa_float_round_mode_32 0
		.amdhsa_float_round_mode_16_64 0
		.amdhsa_float_denorm_mode_32 3
		.amdhsa_float_denorm_mode_16_64 3
		.amdhsa_dx10_clamp 1
		.amdhsa_ieee_mode 1
		.amdhsa_fp16_overflow 0
		.amdhsa_tg_split 0
		.amdhsa_exception_fp_ieee_invalid_op 0
		.amdhsa_exception_fp_denorm_src 0
		.amdhsa_exception_fp_ieee_div_zero 0
		.amdhsa_exception_fp_ieee_overflow 0
		.amdhsa_exception_fp_ieee_underflow 0
		.amdhsa_exception_fp_ieee_inexact 0
		.amdhsa_exception_int_div_zero 0
	.end_amdhsa_kernel
	.section	.text._Z12wvSplitK_hf_I6__halfLi32ELi4ELi16ELi8ELi2ELi5EEviiiiiiPKT_S3_S3_PS1_ii,"axG",@progbits,_Z12wvSplitK_hf_I6__halfLi32ELi4ELi16ELi8ELi2ELi5EEviiiiiiPKT_S3_S3_PS1_ii,comdat
.Lfunc_end141:
	.size	_Z12wvSplitK_hf_I6__halfLi32ELi4ELi16ELi8ELi2ELi5EEviiiiiiPKT_S3_S3_PS1_ii, .Lfunc_end141-_Z12wvSplitK_hf_I6__halfLi32ELi4ELi16ELi8ELi2ELi5EEviiiiiiPKT_S3_S3_PS1_ii
                                        ; -- End function
	.section	.AMDGPU.csdata,"",@progbits
; Kernel info:
; codeLenInByte = 7980
; NumSgprs: 52
; NumVgprs: 126
; NumAgprs: 0
; TotalNumVgprs: 126
; ScratchSize: 0
; MemoryBound: 1
; FloatMode: 240
; IeeeMode: 1
; LDSByteSize: 65536 bytes/workgroup (compile time only)
; SGPRBlocks: 6
; VGPRBlocks: 15
; NumSGPRsForWavesPerEU: 52
; NumVGPRsForWavesPerEU: 126
; AccumOffset: 128
; Occupancy: 2
; WaveLimiterHint : 0
; COMPUTE_PGM_RSRC2:SCRATCH_EN: 0
; COMPUTE_PGM_RSRC2:USER_SGPR: 2
; COMPUTE_PGM_RSRC2:TRAP_HANDLER: 0
; COMPUTE_PGM_RSRC2:TGID_X_EN: 1
; COMPUTE_PGM_RSRC2:TGID_Y_EN: 0
; COMPUTE_PGM_RSRC2:TGID_Z_EN: 0
; COMPUTE_PGM_RSRC2:TIDIG_COMP_CNT: 1
; COMPUTE_PGM_RSRC3_GFX90A:ACCUM_OFFSET: 31
; COMPUTE_PGM_RSRC3_GFX90A:TG_SPLIT: 0
	.section	.text._Z16wvSplitK_hf_big_I6__halfLi32ELi4ELi16ELi8ELi2ELi5EEviiiiiiPKT_S3_S3_PS1_ii,"axG",@progbits,_Z16wvSplitK_hf_big_I6__halfLi32ELi4ELi16ELi8ELi2ELi5EEviiiiiiPKT_S3_S3_PS1_ii,comdat
	.protected	_Z16wvSplitK_hf_big_I6__halfLi32ELi4ELi16ELi8ELi2ELi5EEviiiiiiPKT_S3_S3_PS1_ii ; -- Begin function _Z16wvSplitK_hf_big_I6__halfLi32ELi4ELi16ELi8ELi2ELi5EEviiiiiiPKT_S3_S3_PS1_ii
	.globl	_Z16wvSplitK_hf_big_I6__halfLi32ELi4ELi16ELi8ELi2ELi5EEviiiiiiPKT_S3_S3_PS1_ii
	.p2align	8
	.type	_Z16wvSplitK_hf_big_I6__halfLi32ELi4ELi16ELi8ELi2ELi5EEviiiiiiPKT_S3_S3_PS1_ii,@function
_Z16wvSplitK_hf_big_I6__halfLi32ELi4ELi16ELi8ELi2ELi5EEviiiiiiPKT_S3_S3_PS1_ii: ; @_Z16wvSplitK_hf_big_I6__halfLi32ELi4ELi16ELi8ELi2ELi5EEviiiiiiPKT_S3_S3_PS1_ii
; %bb.0:
	s_load_dwordx2 s[8:9], s[0:1], 0x38
	v_bfe_u32 v7, v0, 10, 10
	s_waitcnt lgkmcnt(0)
	v_cmp_gt_u32_e32 vcc, s8, v7
	s_and_saveexec_b64 s[4:5], vcc
	s_cbranch_execz .LBB142_80
; %bb.1:
	s_load_dwordx4 s[20:23], s[0:1], 0x0
	s_mul_i32 s2, s2, s8
	v_add_lshl_u32 v78, s2, v7, 2
	s_mov_b32 s4, 1
	v_add_u32_e32 v1, 4, v78
	s_mov_b32 s5, s4
	s_waitcnt lgkmcnt(0)
	v_cmp_gt_u32_e32 vcc, s23, v78
	v_cmp_le_u32_e64 s[2:3], s23, v1
	s_mov_b32 s6, s4
	s_mov_b32 s7, s4
	v_mov_b64_e32 v[2:3], s[4:5]
	s_and_b64 s[10:11], vcc, s[2:3]
	v_mov_b64_e32 v[4:5], s[6:7]
	s_and_saveexec_b64 s[2:3], s[10:11]
	s_cbranch_execz .LBB142_7
; %bb.2:
	s_add_i32 s16, s23, -4
	v_mov_b64_e32 v[2:3], s[4:5]
	v_cmp_ne_u32_e32 vcc, s16, v78
	v_mov_b64_e32 v[4:5], s[6:7]
	s_and_saveexec_b64 s[10:11], vcc
	s_cbranch_execz .LBB142_6
; %bb.3:
	v_subrev_u32_e32 v1, s16, v78
	v_cmp_lt_u32_e32 vcc, 1, v1
	s_mov_b64 s[12:13], 0
	s_mov_b64 s[14:15], 0
	v_cndmask_b32_e32 v6, 1, v1, vcc
	s_mov_b32 s5, s4
	s_mov_b32 s6, s4
	;; [unrolled: 1-line block ×3, first 2 shown]
.LBB142_4:                              ; =>This Inner Loop Header: Depth=1
	s_cmp_lg_u32 s14, 3
	s_cselect_b32 s7, s7, 0
	s_cmp_lg_u32 s14, 2
	s_cselect_b32 s6, s6, 0
	;; [unrolled: 2-line block ×4, first 2 shown]
	s_add_u32 s14, s14, 1
	s_addc_u32 s15, s15, 0
	v_cmp_eq_u32_e32 vcc, s14, v6
	v_mov_b64_e32 v[2:3], s[4:5]
	s_or_b64 s[12:13], vcc, s[12:13]
	v_mov_b64_e32 v[4:5], s[6:7]
	s_andn2_b64 exec, exec, s[12:13]
	s_cbranch_execnz .LBB142_4
; %bb.5:
	s_or_b64 exec, exec, s[12:13]
	v_mov_b32_e32 v78, s16
.LBB142_6:
	s_or_b64 exec, exec, s[10:11]
.LBB142_7:
	s_or_b64 exec, exec, s[2:3]
	s_lshl_b32 s2, s8, 2
	s_abs_i32 s3, s2
	v_cvt_f32_u32_e32 v1, s3
	s_sub_i32 s6, 0, s3
	s_abs_i32 s5, s23
	s_ashr_i32 s4, s23, 31
	v_rcp_iflag_f32_e32 v1, v1
	s_nop 0
	v_mul_f32_e32 v1, 0x4f7ffffe, v1
	v_cvt_u32_f32_e32 v1, v1
	s_nop 0
	v_readfirstlane_b32 s7, v1
	s_mul_i32 s6, s6, s7
	s_mul_hi_u32 s6, s7, s6
	s_add_i32 s7, s7, s6
	s_mul_hi_u32 s6, s5, s7
	s_mul_i32 s6, s6, s3
	s_sub_i32 s5, s5, s6
	s_sub_i32 s6, s5, s3
	s_cmp_ge_u32 s5, s3
	s_cselect_b32 s5, s6, s5
	s_sub_i32 s6, s5, s3
	s_cmp_ge_u32 s5, s3
	s_cselect_b32 s3, s6, s5
	s_xor_b32 s3, s3, s4
	s_sub_i32 s3, s3, s4
	s_add_i32 s2, s2, s23
	s_sub_i32 s2, s2, s3
	s_cmp_eq_u32 s3, 0
	s_cselect_b32 s33, s23, s2
	v_cmp_gt_u32_e32 vcc, s33, v78
	s_and_b64 exec, exec, vcc
	s_cbranch_execz .LBB142_80
; %bb.8:
	s_load_dwordx8 s[12:19], s[0:1], 0x10
	s_min_u32 s40, s22, 0x1800
	s_cmp_lg_u32 s20, 0
	s_load_dwordx2 s[24:25], s[0:1], 0x30
	s_cselect_b64 s[2:3], -1, 0
	s_cmp_lg_u32 s22, 0
	s_mul_i32 s0, s9, s8
	s_cselect_b64 s[4:5], -1, 0
	s_lshl_b32 s41, s8, 8
	s_add_i32 s42, s20, -8
	s_add_i32 s43, s23, -1
	s_lshl_b32 s44, s0, 2
	s_waitcnt lgkmcnt(0)
	s_cmp_lg_u64 s[18:19], 0
	s_cselect_b64 s[28:29], -1, 0
	s_abs_i32 s6, s13
	v_cvt_f32_u32_e32 v1, s12
	v_cvt_f32_u32_e32 v6, s6
	s_sub_i32 s7, 0, s12
	s_add_i32 s13, s23, -4
	v_rcp_iflag_f32_e32 v1, v1
	v_rcp_iflag_f32_e32 v6, v6
	v_and_b32_e32 v0, 0x3ff, v0
	v_lshlrev_b32_e32 v81, 3, v0
	v_mul_f32_e32 v1, 0x4f7ffffe, v1
	v_mul_f32_e32 v6, 0x4f7ffffe, v6
	v_cvt_u32_f32_e32 v1, v1
	v_cvt_u32_f32_e32 v6, v6
	v_cmp_eq_u32_e64 s[0:1], 31, v0
	v_lshlrev_b32_e32 v0, 4, v0
	v_mul_lo_u32 v8, s7, v1
	s_sub_i32 s7, 0, s6
	v_readfirstlane_b32 s9, v6
	s_mul_i32 s7, s7, s9
	s_mul_hi_u32 s7, s9, s7
	s_add_i32 s9, s9, s7
	s_sub_i32 s7, 1, s6
	s_cmp_lt_u32 s6, 2
	s_cselect_b32 s7, s7, 1
	s_sub_i32 s10, s7, s6
	s_cmp_ge_u32 s7, s6
	s_cselect_b32 s45, s10, s7
	s_lshr_b32 s7, s9, 31
	s_mul_i32 s7, s7, s6
	s_sub_i32 s7, 2, s7
	s_sub_i32 s10, s7, s6
	s_cmp_ge_u32 s7, s6
	s_cselect_b32 s7, s10, s7
	s_sub_i32 s10, s7, s6
	s_cmp_ge_u32 s7, s6
	s_cselect_b32 s46, s10, s7
	s_mul_hi_u32 s7, s9, 3
	s_mul_i32 s7, s7, s6
	s_sub_i32 s7, 3, s7
	s_sub_i32 s10, s7, s6
	s_cmp_ge_u32 s7, s6
	s_cselect_b32 s7, s10, s7
	s_sub_i32 s10, s7, s6
	s_cmp_ge_u32 s7, s6
	s_cselect_b32 s47, s10, s7
	s_lshr_b32 s7, s9, 30
	s_mul_i32 s7, s7, s6
	s_sub_i32 s7, 4, s7
	s_sub_i32 s9, s7, s6
	s_cmp_ge_u32 s7, s6
	s_cselect_b32 s7, s9, s7
	s_sub_i32 s9, s7, s6
	s_cmp_ge_u32 s7, s6
	v_lshl_add_u32 v93, v7, 9, v0
	v_lshl_add_u32 v80, v7, 8, v81
	v_cndmask_b32_e64 v0, 0, 1, s[2:3]
	v_mul_hi_u32 v8, v1, v8
	s_cselect_b32 s48, s9, s7
	s_add_u32 s30, s24, 2
	v_mad_u64_u32 v[82:83], s[6:7], s22, 3, v[80:81]
	v_cmp_ne_u32_e64 s[2:3], 1, v0
	v_cndmask_b32_e64 v0, 0, 1, s[4:5]
	s_mov_b64 s[26:27], 0
	v_add_u32_e32 v92, v1, v8
	v_mov_b32_e32 v1, 0
	s_mul_i32 s45, s45, s12
	s_mul_i32 s46, s46, s12
	;; [unrolled: 1-line block ×4, first 2 shown]
	s_addc_u32 s31, s25, 0
	s_lshl_b32 s49, s40, 3
	s_lshl_b32 s50, s8, 9
	s_mul_i32 s51, s40, 6
	s_lshl_b32 s52, s40, 2
	s_lshl_b32 s53, s40, 1
	v_lshl_add_u32 v94, s22, 1, v80
	v_lshl_add_u32 v83, s22, 2, v80
	v_add_u32_e32 v95, s22, v80
	v_cmp_ne_u32_e64 s[4:5], 1, v0
	s_branch .LBB142_12
.LBB142_9:                              ;   in Loop: Header=BB142_12 Depth=1
	s_or_b64 exec, exec, s[10:11]
	v_mov_b32_e32 v78, s13
.LBB142_10:                             ;   in Loop: Header=BB142_12 Depth=1
	s_or_b64 exec, exec, s[8:9]
.LBB142_11:                             ;   in Loop: Header=BB142_12 Depth=1
	s_or_b64 exec, exec, s[34:35]
	v_cmp_le_u32_e32 vcc, s33, v78
	s_or_b64 s[26:27], vcc, s[26:27]
	s_andn2_b64 exec, exec, s[26:27]
	s_cbranch_execz .LBB142_80
.LBB142_12:                             ; =>This Loop Header: Depth=1
                                        ;     Child Loop BB142_17 Depth 2
                                        ;       Child Loop BB142_22 Depth 3
                                        ;     Child Loop BB142_59 Depth 2
	s_mov_b32 s36, 0
	s_and_b64 vcc, exec, s[2:3]
	v_mov_b32_e32 v114, v1
	v_mov_b32_e32 v113, v1
	;; [unrolled: 1-line block ×20, first 2 shown]
	s_cbranch_vccnz .LBB142_29
; %bb.13:                               ;   in Loop: Header=BB142_12 Depth=1
	v_add_u32_e32 v6, 1, v78
	v_add_u32_e32 v8, 2, v78
	;; [unrolled: 1-line block ×3, first 2 shown]
	v_min_u32_e32 v0, s43, v78
	v_min_u32_e32 v6, s43, v6
	;; [unrolled: 1-line block ×4, first 2 shown]
	v_mul_lo_u32 v0, v0, s21
	v_mul_lo_u32 v6, v6, s21
	v_mov_b32_e32 v7, v1
	v_mul_lo_u32 v8, v8, s21
	v_mov_b32_e32 v9, v1
	;; [unrolled: 2-line block ×3, first 2 shown]
	v_cmp_gt_u32_e64 s[6:7], s23, v78
	v_mov_b32_e32 v106, 0
	v_lshlrev_b64 v[84:85], 1, v[0:1]
	v_lshlrev_b64 v[86:87], 1, v[6:7]
	;; [unrolled: 1-line block ×4, first 2 shown]
	v_mov_b32_e32 v105, 0
	v_mov_b32_e32 v104, 0
	v_mov_b32_e32 v103, 0
	v_mov_b32_e32 v102, 0
	v_mov_b32_e32 v101, 0
	v_mov_b32_e32 v100, 0
	v_mov_b32_e32 v99, 0
	v_mov_b32_e32 v98, 0
	v_mov_b32_e32 v97, 0
	v_mov_b32_e32 v96, 0
	v_mov_b32_e32 v79, 0
	v_mov_b32_e32 v107, 0
	v_mov_b32_e32 v108, 0
	v_mov_b32_e32 v109, 0
	v_mov_b32_e32 v110, 0
	v_mov_b32_e32 v111, 0
	v_mov_b32_e32 v112, 0
	v_mov_b32_e32 v113, 0
	v_mov_b32_e32 v114, 0
	s_mov_b32 s37, 0
	s_branch .LBB142_17
.LBB142_14:                             ;   in Loop: Header=BB142_17 Depth=2
	s_or_b64 exec, exec, s[34:35]
.LBB142_15:                             ;   in Loop: Header=BB142_17 Depth=2
	s_or_b64 exec, exec, s[10:11]
	s_waitcnt vmcnt(7) lgkmcnt(4)
	;;#ASMSTART
	v_dot2c_f32_f16 v114, v74, v54
	;;#ASMEND
	s_waitcnt vmcnt(6)
	;;#ASMSTART
	v_dot2c_f32_f16 v113, v74, v50
	;;#ASMEND
	s_waitcnt vmcnt(5)
	;; [unrolled: 4-line block ×3, first 2 shown]
	;;#ASMSTART
	v_dot2c_f32_f16 v111, v74, v38
	;;#ASMEND
	s_waitcnt lgkmcnt(3)
	;;#ASMSTART
	v_dot2c_f32_f16 v110, v70, v54
	;;#ASMEND
	;;#ASMSTART
	v_dot2c_f32_f16 v109, v70, v50
	;;#ASMEND
	;;#ASMSTART
	v_dot2c_f32_f16 v108, v70, v46
	;;#ASMEND
	;;#ASMSTART
	v_dot2c_f32_f16 v107, v70, v38
	;;#ASMEND
	s_waitcnt lgkmcnt(2)
	;;#ASMSTART
	v_dot2c_f32_f16 v106, v66, v54
	;;#ASMEND
	;;#ASMSTART
	v_dot2c_f32_f16 v105, v66, v50
	;;#ASMEND
	;;#ASMSTART
	v_dot2c_f32_f16 v104, v66, v46
	;;#ASMEND
	;; [unrolled: 13-line block ×4, first 2 shown]
	;;#ASMSTART
	v_dot2c_f32_f16 v79, v58, v38
	;;#ASMEND
	;;#ASMSTART
	v_dot2c_f32_f16 v114, v75, v55
	;;#ASMEND
	;;#ASMSTART
	v_dot2c_f32_f16 v113, v75, v51
	;;#ASMEND
	;;#ASMSTART
	v_dot2c_f32_f16 v112, v75, v47
	;;#ASMEND
	;;#ASMSTART
	v_dot2c_f32_f16 v111, v75, v39
	;;#ASMEND
	;;#ASMSTART
	v_dot2c_f32_f16 v110, v71, v55
	;;#ASMEND
	;;#ASMSTART
	v_dot2c_f32_f16 v109, v71, v51
	;;#ASMEND
	;;#ASMSTART
	v_dot2c_f32_f16 v108, v71, v47
	;;#ASMEND
	;;#ASMSTART
	v_dot2c_f32_f16 v107, v71, v39
	;;#ASMEND
	;;#ASMSTART
	v_dot2c_f32_f16 v106, v67, v55
	;;#ASMEND
	;;#ASMSTART
	v_dot2c_f32_f16 v105, v67, v51
	;;#ASMEND
	;;#ASMSTART
	v_dot2c_f32_f16 v104, v67, v47
	;;#ASMEND
	;;#ASMSTART
	v_dot2c_f32_f16 v103, v67, v39
	;;#ASMEND
	;;#ASMSTART
	v_dot2c_f32_f16 v102, v63, v55
	;;#ASMEND
	;;#ASMSTART
	v_dot2c_f32_f16 v101, v63, v51
	;;#ASMEND
	;;#ASMSTART
	v_dot2c_f32_f16 v100, v63, v47
	;;#ASMEND
	;;#ASMSTART
	v_dot2c_f32_f16 v99, v63, v39
	;;#ASMEND
	s_nop 0
	;;#ASMSTART
	v_dot2c_f32_f16 v98, v59, v55
	;;#ASMEND
	;;#ASMSTART
	v_dot2c_f32_f16 v97, v59, v51
	;;#ASMEND
	;;#ASMSTART
	v_dot2c_f32_f16 v96, v59, v47
	;;#ASMEND
	;;#ASMSTART
	v_dot2c_f32_f16 v79, v59, v39
	;;#ASMEND
	;;#ASMSTART
	v_dot2c_f32_f16 v114, v76, v56
	;;#ASMEND
	;;#ASMSTART
	v_dot2c_f32_f16 v113, v76, v52
	;;#ASMEND
	;;#ASMSTART
	v_dot2c_f32_f16 v112, v76, v48
	;;#ASMEND
	;;#ASMSTART
	v_dot2c_f32_f16 v111, v76, v40
	;;#ASMEND
	;;#ASMSTART
	v_dot2c_f32_f16 v110, v72, v56
	;;#ASMEND
	;;#ASMSTART
	v_dot2c_f32_f16 v109, v72, v52
	;;#ASMEND
	;;#ASMSTART
	v_dot2c_f32_f16 v108, v72, v48
	;;#ASMEND
	;;#ASMSTART
	v_dot2c_f32_f16 v107, v72, v40
	;;#ASMEND
	;;#ASMSTART
	v_dot2c_f32_f16 v106, v68, v56
	;;#ASMEND
	;;#ASMSTART
	v_dot2c_f32_f16 v105, v68, v52
	;;#ASMEND
	;;#ASMSTART
	v_dot2c_f32_f16 v104, v68, v48
	;;#ASMEND
	;;#ASMSTART
	v_dot2c_f32_f16 v103, v68, v40
	;;#ASMEND
	;;#ASMSTART
	v_dot2c_f32_f16 v102, v64, v56
	;;#ASMEND
	;;#ASMSTART
	v_dot2c_f32_f16 v101, v64, v52
	;;#ASMEND
	;;#ASMSTART
	v_dot2c_f32_f16 v100, v64, v48
	;;#ASMEND
	;;#ASMSTART
	v_dot2c_f32_f16 v99, v64, v40
	;;#ASMEND
	s_nop 0
	;;#ASMSTART
	v_dot2c_f32_f16 v98, v60, v56
	;;#ASMEND
	;;#ASMSTART
	v_dot2c_f32_f16 v97, v60, v52
	;;#ASMEND
	;;#ASMSTART
	v_dot2c_f32_f16 v96, v60, v48
	;;#ASMEND
	;; [unrolled: 61-line block ×3, first 2 shown]
	;;#ASMSTART
	v_dot2c_f32_f16 v79, v61, v41
	;;#ASMEND
	s_waitcnt vmcnt(3)
	;;#ASMSTART
	v_dot2c_f32_f16 v114, v42, v18
	;;#ASMEND
	s_waitcnt vmcnt(2)
	;; [unrolled: 4-line block ×4, first 2 shown]
	;;#ASMSTART
	v_dot2c_f32_f16 v111, v42, v6
	;;#ASMEND
	;;#ASMSTART
	v_dot2c_f32_f16 v110, v34, v18
	;;#ASMEND
	;;#ASMSTART
	v_dot2c_f32_f16 v109, v34, v14
	;;#ASMEND
	;;#ASMSTART
	v_dot2c_f32_f16 v108, v34, v10
	;;#ASMEND
	;;#ASMSTART
	v_dot2c_f32_f16 v107, v34, v6
	;;#ASMEND
	;;#ASMSTART
	v_dot2c_f32_f16 v106, v30, v18
	;;#ASMEND
	;;#ASMSTART
	v_dot2c_f32_f16 v105, v30, v14
	;;#ASMEND
	;;#ASMSTART
	v_dot2c_f32_f16 v104, v30, v10
	;;#ASMEND
	;;#ASMSTART
	v_dot2c_f32_f16 v103, v30, v6
	;;#ASMEND
	;;#ASMSTART
	v_dot2c_f32_f16 v102, v26, v18
	;;#ASMEND
	;;#ASMSTART
	v_dot2c_f32_f16 v101, v26, v14
	;;#ASMEND
	;;#ASMSTART
	v_dot2c_f32_f16 v100, v26, v10
	;;#ASMEND
	;;#ASMSTART
	v_dot2c_f32_f16 v99, v26, v6
	;;#ASMEND
	;;#ASMSTART
	v_dot2c_f32_f16 v98, v22, v18
	;;#ASMEND
	;;#ASMSTART
	v_dot2c_f32_f16 v97, v22, v14
	;;#ASMEND
	;;#ASMSTART
	v_dot2c_f32_f16 v96, v22, v10
	;;#ASMEND
	;;#ASMSTART
	v_dot2c_f32_f16 v79, v22, v6
	;;#ASMEND
	;;#ASMSTART
	v_dot2c_f32_f16 v114, v43, v19
	;;#ASMEND
	;;#ASMSTART
	v_dot2c_f32_f16 v113, v43, v15
	;;#ASMEND
	;;#ASMSTART
	v_dot2c_f32_f16 v112, v43, v11
	;;#ASMEND
	s_nop 0
	;;#ASMSTART
	v_dot2c_f32_f16 v111, v43, v7
	;;#ASMEND
	;;#ASMSTART
	v_dot2c_f32_f16 v110, v35, v19
	;;#ASMEND
	;;#ASMSTART
	v_dot2c_f32_f16 v109, v35, v15
	;;#ASMEND
	;;#ASMSTART
	v_dot2c_f32_f16 v108, v35, v11
	;;#ASMEND
	;;#ASMSTART
	v_dot2c_f32_f16 v107, v35, v7
	;;#ASMEND
	;;#ASMSTART
	v_dot2c_f32_f16 v106, v31, v19
	;;#ASMEND
	;;#ASMSTART
	v_dot2c_f32_f16 v105, v31, v15
	;;#ASMEND
	;;#ASMSTART
	v_dot2c_f32_f16 v104, v31, v11
	;;#ASMEND
	;;#ASMSTART
	v_dot2c_f32_f16 v103, v31, v7
	;;#ASMEND
	;;#ASMSTART
	v_dot2c_f32_f16 v102, v27, v19
	;;#ASMEND
	;;#ASMSTART
	v_dot2c_f32_f16 v101, v27, v15
	;;#ASMEND
	;;#ASMSTART
	v_dot2c_f32_f16 v100, v27, v11
	;;#ASMEND
	;;#ASMSTART
	v_dot2c_f32_f16 v99, v27, v7
	;;#ASMEND
	;;#ASMSTART
	v_dot2c_f32_f16 v98, v23, v19
	;;#ASMEND
	;;#ASMSTART
	v_dot2c_f32_f16 v97, v23, v15
	;;#ASMEND
	;;#ASMSTART
	v_dot2c_f32_f16 v96, v23, v11
	;;#ASMEND
	;;#ASMSTART
	v_dot2c_f32_f16 v79, v23, v7
	;;#ASMEND
	;;#ASMSTART
	v_dot2c_f32_f16 v114, v44, v20
	;;#ASMEND
	;;#ASMSTART
	v_dot2c_f32_f16 v113, v44, v16
	;;#ASMEND
	;;#ASMSTART
	v_dot2c_f32_f16 v112, v44, v12
	;;#ASMEND
	s_nop 0
	;; [unrolled: 61-line block ×3, first 2 shown]
	;;#ASMSTART
	v_dot2c_f32_f16 v111, v45, v9
	;;#ASMEND
	;;#ASMSTART
	v_dot2c_f32_f16 v110, v37, v21
	;;#ASMEND
	;; [unrolled: 3-line block ×17, first 2 shown]
.LBB142_16:                             ;   in Loop: Header=BB142_17 Depth=2
	s_or_b64 exec, exec, s[8:9]
	s_addk_i32 s37, 0x200
	s_cmp_ge_u32 s37, s20
	s_cbranch_scc1 .LBB142_29
.LBB142_17:                             ;   Parent Loop BB142_12 Depth=1
                                        ; =>  This Loop Header: Depth=2
                                        ;       Child Loop BB142_22 Depth 3
	s_cmp_eq_u32 s37, 0
	s_cselect_b64 s[8:9], -1, 0
	s_add_i32 s10, s36, s40
	s_cmp_eq_u32 s37, s10
	s_cselect_b64 s[34:35], -1, 0
	s_or_b64 s[34:35], s[8:9], s[34:35]
	s_andn2_b64 vcc, exec, s[34:35]
	s_cbranch_vccz .LBB142_19
; %bb.18:                               ;   in Loop: Header=BB142_17 Depth=2
	s_and_saveexec_b64 s[8:9], s[6:7]
	s_cbranch_execz .LBB142_16
	s_branch .LBB142_26
.LBB142_19:                             ;   in Loop: Header=BB142_17 Depth=2
	s_and_b64 s[8:9], s[8:9], exec
	s_cselect_b32 s36, s36, s10
	s_and_b64 vcc, exec, s[4:5]
	s_barrier
	s_cbranch_vccnz .LBB142_25
; %bb.20:                               ;   in Loop: Header=BB142_17 Depth=2
	v_add_u32_e32 v6, s36, v94
	v_add_u32_e32 v7, s36, v82
	v_add_u32_e32 v8, s36, v83
	v_add_u32_e32 v9, s36, v95
	v_add_u32_e32 v10, s36, v80
	s_mov_b32 s38, 0
	s_mov_b64 s[10:11], 0
	v_mov_b32_e32 v11, v93
                                        ; implicit-def: $sgpr34_sgpr35
	s_branch .LBB142_22
.LBB142_21:                             ;   in Loop: Header=BB142_22 Depth=3
	s_or_b64 exec, exec, s[8:9]
	s_and_b64 s[8:9], exec, s[34:35]
	s_or_b64 s[10:11], s[8:9], s[10:11]
	s_andn2_b64 exec, exec, s[10:11]
	s_cbranch_execz .LBB142_24
.LBB142_22:                             ;   Parent Loop BB142_12 Depth=1
                                        ;     Parent Loop BB142_17 Depth=2
                                        ; =>    This Inner Loop Header: Depth=3
	v_add_u32_e32 v12, s38, v80
	v_add_u32_e32 v0, s38, v10
	v_cmp_gt_u32_e32 vcc, s22, v0
	v_cmp_gt_u32_e64 s[8:9], s40, v12
	s_and_b64 s[54:55], s[8:9], vcc
	s_or_b64 s[34:35], s[34:35], exec
	s_and_saveexec_b64 s[8:9], s[54:55]
	s_cbranch_execz .LBB142_21
; %bb.23:                               ;   in Loop: Header=BB142_22 Depth=3
	v_lshl_add_u64 v[12:13], v[0:1], 1, s[16:17]
	v_add_u32_e32 v0, s38, v9
	v_lshl_add_u64 v[16:17], v[0:1], 1, s[16:17]
	v_add_u32_e32 v0, s38, v6
	v_lshl_add_u64 v[20:21], v[0:1], 1, s[16:17]
	v_add_u32_e32 v0, s38, v7
	v_lshl_add_u64 v[24:25], v[0:1], 1, s[16:17]
	global_load_dwordx4 v[12:15], v[12:13], off
	s_nop 0
	global_load_dwordx4 v[16:19], v[16:17], off
	s_nop 0
	;; [unrolled: 2-line block ×3, first 2 shown]
	global_load_dwordx4 v[24:27], v[24:25], off
	v_add_u32_e32 v0, s38, v8
	v_lshl_add_u64 v[28:29], v[0:1], 1, s[16:17]
	global_load_dwordx4 v[28:31], v[28:29], off
	s_add_i32 s38, s38, s41
	s_cmp_ge_u32 s38, s40
	s_cselect_b64 s[54:55], -1, 0
	s_andn2_b64 s[34:35], s[34:35], exec
	s_and_b64 s[54:55], s[54:55], exec
	v_add_u32_e32 v0, s53, v11
	v_add_u32_e32 v32, s52, v11
	;; [unrolled: 1-line block ×4, first 2 shown]
	s_or_b64 s[34:35], s[34:35], s[54:55]
	s_waitcnt vmcnt(4)
	ds_write_b128 v11, v[12:15]
	v_add_u32_e32 v11, s50, v11
	s_waitcnt vmcnt(3)
	ds_write2_b64 v0, v[16:17], v[18:19] offset1:1
	s_waitcnt vmcnt(2)
	ds_write2_b32 v32, v20, v21 offset1:1
	ds_write2_b32 v32, v22, v23 offset0:2 offset1:3
	s_waitcnt vmcnt(1)
	ds_write2_b64 v33, v[24:25], v[26:27] offset1:1
	s_waitcnt vmcnt(0)
	ds_write2_b64 v34, v[28:29], v[30:31] offset1:1
	s_branch .LBB142_21
.LBB142_24:                             ;   in Loop: Header=BB142_17 Depth=2
	s_or_b64 exec, exec, s[10:11]
.LBB142_25:                             ;   in Loop: Header=BB142_17 Depth=2
	s_waitcnt lgkmcnt(0)
	s_barrier
	s_and_saveexec_b64 s[8:9], s[6:7]
	s_cbranch_execz .LBB142_16
.LBB142_26:                             ;   in Loop: Header=BB142_17 Depth=2
	v_add_u32_e32 v115, s37, v81
	v_min_u32_e32 v0, s42, v115
	v_lshl_add_u64 v[6:7], v[0:1], 1, s[14:15]
	v_lshl_add_u64 v[8:9], v[6:7], 0, v[84:85]
	v_add_u32_e32 v116, 0x100, v115
	v_lshl_add_u64 v[10:11], v[6:7], 0, v[86:87]
	global_load_dwordx4 v[54:57], v[8:9], off nt
	global_load_dwordx4 v[50:53], v[10:11], off nt
	v_lshl_add_u64 v[8:9], v[6:7], 0, v[88:89]
	v_lshl_add_u64 v[6:7], v[6:7], 0, v[90:91]
	v_min_u32_e32 v0, s42, v116
	global_load_dwordx4 v[46:49], v[8:9], off nt
	global_load_dwordx4 v[38:41], v[6:7], off nt
	v_lshl_add_u64 v[6:7], v[0:1], 1, s[14:15]
	v_lshl_add_u64 v[8:9], v[6:7], 0, v[84:85]
	;; [unrolled: 1-line block ×4, first 2 shown]
	global_load_dwordx4 v[18:21], v[8:9], off nt
	global_load_dwordx4 v[14:17], v[10:11], off nt
	v_lshl_add_u64 v[24:25], v[6:7], 0, v[90:91]
	global_load_dwordx4 v[10:13], v[22:23], off nt
	global_load_dwordx4 v[6:9], v[24:25], off nt
	v_cmp_gt_u32_e32 vcc, s20, v115
	v_mov_b32_e32 v74, 0
	v_mov_b32_e32 v75, 0
	;; [unrolled: 1-line block ×8, first 2 shown]
	s_waitcnt vmcnt(26)
	v_mov_b32_e32 v66, 0
	v_mov_b32_e32 v67, 0
	;; [unrolled: 1-line block ×4, first 2 shown]
	s_waitcnt vmcnt(22)
	v_mov_b32_e32 v62, 0
	v_mov_b32_e32 v63, 0
	;; [unrolled: 1-line block ×4, first 2 shown]
	s_waitcnt vmcnt(20)
	v_mov_b32_e32 v58, 0
	s_waitcnt vmcnt(18)
	v_mov_b32_e32 v59, 0
	v_mov_b32_e32 v60, 0
	v_mov_b32_e32 v61, 0
	v_mov_b32_e32 v42, 0
	v_mov_b32_e32 v43, 0
	v_mov_b32_e32 v44, 0
	v_mov_b32_e32 v45, 0
	v_mov_b32_e32 v34, 0
	v_mov_b32_e32 v35, 0
	v_mov_b32_e32 v36, 0
	v_mov_b32_e32 v37, 0
	v_mov_b32_e32 v30, 0
	v_mov_b32_e32 v31, 0
	v_mov_b32_e32 v32, 0
	v_mov_b32_e32 v33, 0
	v_mov_b32_e32 v26, 0
	v_mov_b32_e32 v27, 0
	v_mov_b32_e32 v28, 0
	v_mov_b32_e32 v29, 0
	v_mov_b32_e32 v22, 0
	v_mov_b32_e32 v23, 0
	v_mov_b32_e32 v24, 0
	v_mov_b32_e32 v25, 0
	s_and_saveexec_b64 s[10:11], vcc
	s_cbranch_execz .LBB142_15
; %bb.27:                               ;   in Loop: Header=BB142_17 Depth=2
	v_subrev_u32_e32 v0, s36, v115
	v_lshlrev_b32_e32 v119, 1, v0
	v_add_u32_e32 v118, s53, v119
	v_add_u32_e32 v117, s53, v118
	;; [unrolled: 1-line block ×4, first 2 shown]
	ds_read_b128 v[74:77], v119
	ds_read_b128 v[70:73], v118
	;; [unrolled: 1-line block ×5, first 2 shown]
	v_cmp_gt_u32_e32 vcc, s20, v116
	v_mov_b32_e32 v25, 0
	v_mov_b32_e32 v24, 0
	;; [unrolled: 1-line block ×20, first 2 shown]
	s_and_saveexec_b64 s[34:35], vcc
	s_cbranch_execz .LBB142_14
; %bb.28:                               ;   in Loop: Header=BB142_17 Depth=2
	ds_read_b128 v[42:45], v119 offset:512
	ds_read_b128 v[34:37], v118 offset:512
	ds_read_b128 v[30:33], v117 offset:512
	ds_read_b128 v[26:29], v115 offset:512
	ds_read2_b64 v[22:25], v0 offset0:64 offset1:65
	s_branch .LBB142_14
.LBB142_29:                             ;   in Loop: Header=BB142_12 Depth=1
	v_cmp_le_u32_e32 vcc, s23, v78
	s_and_saveexec_b64 s[6:7], vcc
	s_xor_b64 s[6:7], exec, s[6:7]
; %bb.30:                               ;   in Loop: Header=BB142_12 Depth=1
	v_add_u32_e32 v78, s44, v78
                                        ; implicit-def: $vgpr114
                                        ; implicit-def: $vgpr113
                                        ; implicit-def: $vgpr112
                                        ; implicit-def: $vgpr111
                                        ; implicit-def: $vgpr110
                                        ; implicit-def: $vgpr109
                                        ; implicit-def: $vgpr108
                                        ; implicit-def: $vgpr107
                                        ; implicit-def: $vgpr79
                                        ; implicit-def: $vgpr96
                                        ; implicit-def: $vgpr97
                                        ; implicit-def: $vgpr98
                                        ; implicit-def: $vgpr99
                                        ; implicit-def: $vgpr100
                                        ; implicit-def: $vgpr101
                                        ; implicit-def: $vgpr102
                                        ; implicit-def: $vgpr103
                                        ; implicit-def: $vgpr104
                                        ; implicit-def: $vgpr105
                                        ; implicit-def: $vgpr106
; %bb.31:                               ;   in Loop: Header=BB142_12 Depth=1
	s_andn2_saveexec_b64 s[34:35], s[6:7]
	s_cbranch_execz .LBB142_11
; %bb.32:                               ;   in Loop: Header=BB142_12 Depth=1
	v_cvt_i32_f32_e32 v0, v114
	v_cvt_i32_f32_e32 v6, v113
	;; [unrolled: 1-line block ×4, first 2 shown]
	v_cvt_f32_i32_dpp v0, v0 row_shr:8 row_mask:0xf bank_mask:0xf bound_ctrl:1
	v_cvt_f32_i32_dpp v6, v6 row_shr:8 row_mask:0xf bank_mask:0xf bound_ctrl:1
	;; [unrolled: 1-line block ×4, first 2 shown]
	v_add_f32_e32 v0, v114, v0
	v_cvt_i32_f32_e32 v9, v0
	v_add_f32_e32 v6, v113, v6
	v_cvt_i32_f32_e32 v10, v6
	v_add_f32_e32 v7, v112, v7
	v_cvt_f32_i32_dpp v9, v9 row_shr:4 row_mask:0xf bank_mask:0xf bound_ctrl:1
	v_cvt_i32_f32_e32 v11, v7
	v_cvt_f32_i32_dpp v10, v10 row_shr:4 row_mask:0xf bank_mask:0xf bound_ctrl:1
	v_add_f32_e32 v8, v111, v8
	v_add_f32_e32 v0, v0, v9
	v_cvt_i32_f32_e32 v9, v0
	v_add_f32_e32 v6, v6, v10
	v_cvt_i32_f32_e32 v10, v6
	v_cvt_f32_i32_dpp v11, v11 row_shr:4 row_mask:0xf bank_mask:0xf bound_ctrl:1
	v_cvt_f32_i32_dpp v9, v9 row_shr:2 row_mask:0xf bank_mask:0xf bound_ctrl:1
	v_cvt_i32_f32_e32 v12, v8
	v_cvt_f32_i32_dpp v10, v10 row_shr:2 row_mask:0xf bank_mask:0xf bound_ctrl:1
	v_add_f32_e32 v7, v7, v11
	v_add_f32_e32 v0, v0, v9
	v_cvt_i32_f32_e32 v9, v0
	v_add_f32_e32 v6, v6, v10
	v_cvt_i32_f32_e32 v10, v6
	v_cvt_i32_f32_e32 v11, v7
	v_cvt_f32_i32_dpp v9, v9 row_shr:1 row_mask:0xf bank_mask:0xf bound_ctrl:1
	v_cvt_f32_i32_dpp v12, v12 row_shr:4 row_mask:0xf bank_mask:0xf bound_ctrl:1
	;; [unrolled: 1-line block ×4, first 2 shown]
	v_add_f32_e32 v0, v0, v9
	v_cvt_i32_f32_e32 v9, v0
	v_add_f32_e32 v6, v6, v10
	v_cvt_i32_f32_e32 v10, v6
	v_add_f32_e32 v11, v7, v11
	v_cvt_f32_i32_dpp v9, v9 row_bcast:15 row_mask:0xf bank_mask:0xf bound_ctrl:1
	v_cvt_i32_f32_e32 v7, v11
	v_add_f32_e32 v8, v8, v12
	v_cvt_f32_i32_dpp v12, v10 row_bcast:15 row_mask:0xf bank_mask:0xf bound_ctrl:1
	v_add_f32_e32 v10, v0, v9
	v_cvt_i32_f32_e32 v0, v10
	v_cvt_f32_i32_dpp v9, v7 row_shr:1 row_mask:0xf bank_mask:0xf bound_ctrl:1
	v_add_f32_e32 v7, v6, v12
	v_cvt_i32_f32_e32 v6, v7
	v_mov_b32_dpp v13, v0 row_bcast:31 row_mask:0xf bank_mask:0xf bound_ctrl:1
	v_cvt_i32_f32_e32 v0, v8
	v_add_f32_e32 v9, v11, v9
	v_cvt_i32_f32_e32 v11, v110
	v_mov_b32_dpp v12, v6 row_bcast:31 row_mask:0xf bank_mask:0xf bound_ctrl:1
	v_cvt_f32_i32_dpp v0, v0 row_shr:2 row_mask:0xf bank_mask:0xf bound_ctrl:1
	v_cvt_i32_f32_e32 v14, v9
	v_cvt_f32_i32_dpp v6, v11 row_shr:8 row_mask:0xf bank_mask:0xf bound_ctrl:1
	v_add_f32_e32 v0, v8, v0
	v_cvt_f32_i32_dpp v11, v14 row_bcast:15 row_mask:0xf bank_mask:0xf bound_ctrl:1
	v_add_f32_e32 v6, v110, v6
	v_cvt_i32_f32_e32 v8, v0
	v_cvt_i32_f32_e32 v14, v6
	v_add_f32_e32 v9, v9, v11
	v_cvt_i32_f32_e32 v11, v109
	v_cvt_f32_i32_dpp v8, v8 row_shr:1 row_mask:0xf bank_mask:0xf bound_ctrl:1
	v_cvt_f32_i32_dpp v14, v14 row_shr:4 row_mask:0xf bank_mask:0xf bound_ctrl:1
	v_cvt_i32_f32_e32 v15, v9
	v_add_f32_e32 v0, v0, v8
	v_cvt_f32_i32_dpp v8, v11 row_shr:8 row_mask:0xf bank_mask:0xf bound_ctrl:1
	v_add_f32_e32 v6, v6, v14
	v_cvt_i32_f32_e32 v11, v6
	v_cvt_i32_f32_e32 v14, v0
	v_add_f32_e32 v8, v109, v8
	v_cvt_i32_f32_e32 v16, v8
	v_cvt_f32_i32_dpp v11, v11 row_shr:2 row_mask:0xf bank_mask:0xf bound_ctrl:1
	v_cvt_f32_i32_dpp v14, v14 row_bcast:15 row_mask:0xf bank_mask:0xf bound_ctrl:1
	v_mov_b32_dpp v15, v15 row_bcast:31 row_mask:0xf bank_mask:0xf bound_ctrl:1
	v_cvt_f32_i32_dpp v16, v16 row_shr:4 row_mask:0xf bank_mask:0xf bound_ctrl:1
	v_add_f32_e32 v6, v6, v11
	v_cvt_i32_f32_e32 v17, v6
	v_add_f32_e32 v11, v0, v14
	v_add_f32_e32 v0, v8, v16
	v_cvt_i32_f32_e32 v8, v0
	v_cvt_f32_i32_dpp v14, v17 row_shr:1 row_mask:0xf bank_mask:0xf bound_ctrl:1
	v_cvt_i32_f32_e32 v16, v108
	v_cvt_i32_f32_e32 v17, v11
	v_cvt_f32_i32_dpp v8, v8 row_shr:2 row_mask:0xf bank_mask:0xf bound_ctrl:1
	v_add_f32_e32 v6, v6, v14
	v_cvt_f32_i32_dpp v14, v16 row_shr:8 row_mask:0xf bank_mask:0xf bound_ctrl:1
	v_cvt_i32_f32_e32 v16, v6
	v_add_f32_e32 v0, v0, v8
	v_cvt_i32_f32_e32 v8, v0
	v_add_f32_e32 v19, v108, v14
	v_cvt_i32_f32_e32 v14, v19
	v_cvt_f32_i32_dpp v16, v16 row_bcast:15 row_mask:0xf bank_mask:0xf bound_ctrl:1
	v_cvt_f32_i32_dpp v8, v8 row_shr:1 row_mask:0xf bank_mask:0xf bound_ctrl:1
	v_mov_b32_dpp v18, v17 row_bcast:31 row_mask:0xf bank_mask:0xf bound_ctrl:1
	v_cvt_f32_i32_dpp v17, v14 row_shr:4 row_mask:0xf bank_mask:0xf bound_ctrl:1
	v_add_f32_e32 v14, v6, v16
	v_cvt_i32_f32_e32 v6, v107
	v_add_f32_e32 v0, v0, v8
	v_add_f32_e32 v8, v19, v17
	v_cvt_i32_f32_e32 v16, v8
	v_cvt_f32_i32_dpp v6, v6 row_shr:8 row_mask:0xf bank_mask:0xf bound_ctrl:1
	v_cvt_i32_f32_e32 v17, v0
	v_cvt_i32_f32_e32 v19, v14
	v_cvt_f32_i32_dpp v16, v16 row_shr:2 row_mask:0xf bank_mask:0xf bound_ctrl:1
	v_add_f32_e32 v6, v107, v6
	v_cvt_i32_f32_e32 v20, v6
	v_cvt_f32_i32_dpp v17, v17 row_bcast:15 row_mask:0xf bank_mask:0xf bound_ctrl:1
	v_add_f32_e32 v8, v8, v16
	v_cvt_i32_f32_e32 v21, v8
	v_cvt_f32_i32_dpp v20, v20 row_shr:4 row_mask:0xf bank_mask:0xf bound_ctrl:1
	v_add_f32_e32 v16, v0, v17
	v_cvt_i32_f32_e32 v17, v16
	v_cvt_f32_i32_dpp v0, v21 row_shr:1 row_mask:0xf bank_mask:0xf bound_ctrl:1
	v_add_f32_e32 v6, v6, v20
	v_cvt_i32_f32_e32 v20, v6
	v_mov_b32_dpp v21, v17 row_bcast:31 row_mask:0xf bank_mask:0xf bound_ctrl:1
	v_add_f32_e32 v0, v8, v0
	v_cvt_i32_f32_e32 v8, v106
	v_cvt_f32_i32_dpp v20, v20 row_shr:2 row_mask:0xf bank_mask:0xf bound_ctrl:1
	v_cvt_i32_f32_e32 v22, v0
	v_mov_b32_dpp v19, v19 row_bcast:31 row_mask:0xf bank_mask:0xf bound_ctrl:1
	v_cvt_f32_i32_dpp v8, v8 row_shr:8 row_mask:0xf bank_mask:0xf bound_ctrl:1
	v_add_f32_e32 v6, v6, v20
	v_cvt_f32_i32_dpp v17, v22 row_bcast:15 row_mask:0xf bank_mask:0xf bound_ctrl:1
	v_cvt_i32_f32_e32 v20, v6
	v_add_f32_e32 v8, v106, v8
	v_cvt_i32_f32_e32 v22, v8
	v_add_f32_e32 v17, v0, v17
	v_cvt_f32_i32_dpp v0, v20 row_shr:1 row_mask:0xf bank_mask:0xf bound_ctrl:1
	v_cvt_i32_f32_e32 v20, v105
	v_cvt_f32_i32_dpp v22, v22 row_shr:4 row_mask:0xf bank_mask:0xf bound_ctrl:1
	v_cvt_i32_f32_e32 v23, v17
	v_add_f32_e32 v0, v6, v0
	v_cvt_f32_i32_dpp v6, v20 row_shr:8 row_mask:0xf bank_mask:0xf bound_ctrl:1
	v_add_f32_e32 v8, v8, v22
	v_cvt_i32_f32_e32 v20, v8
	v_cvt_i32_f32_e32 v22, v0
	v_add_f32_e32 v6, v105, v6
	v_cvt_i32_f32_e32 v24, v6
	v_cvt_f32_i32_dpp v20, v20 row_shr:2 row_mask:0xf bank_mask:0xf bound_ctrl:1
	v_cvt_f32_i32_dpp v22, v22 row_bcast:15 row_mask:0xf bank_mask:0xf bound_ctrl:1
	v_mov_b32_dpp v23, v23 row_bcast:31 row_mask:0xf bank_mask:0xf bound_ctrl:1
	v_cvt_f32_i32_dpp v24, v24 row_shr:4 row_mask:0xf bank_mask:0xf bound_ctrl:1
	v_add_f32_e32 v8, v8, v20
	v_add_f32_e32 v20, v0, v22
	v_cvt_i32_f32_e32 v25, v8
	v_add_f32_e32 v0, v6, v24
	v_cvt_i32_f32_e32 v6, v0
	v_cvt_i32_f32_e32 v24, v104
	v_cvt_f32_i32_dpp v22, v25 row_shr:1 row_mask:0xf bank_mask:0xf bound_ctrl:1
	v_cvt_i32_f32_e32 v25, v20
	v_cvt_f32_i32_dpp v6, v6 row_shr:2 row_mask:0xf bank_mask:0xf bound_ctrl:1
	v_add_f32_e32 v8, v8, v22
	v_cvt_f32_i32_dpp v22, v24 row_shr:8 row_mask:0xf bank_mask:0xf bound_ctrl:1
	v_add_f32_e32 v0, v0, v6
	v_cvt_i32_f32_e32 v6, v0
	v_cvt_i32_f32_e32 v24, v8
	v_add_f32_e32 v26, v104, v22
	v_cvt_i32_f32_e32 v22, v26
	v_cvt_f32_i32_dpp v6, v6 row_shr:1 row_mask:0xf bank_mask:0xf bound_ctrl:1
	v_cvt_f32_i32_dpp v24, v24 row_bcast:15 row_mask:0xf bank_mask:0xf bound_ctrl:1
	v_mov_b32_dpp v25, v25 row_bcast:31 row_mask:0xf bank_mask:0xf bound_ctrl:1
	v_cvt_f32_i32_dpp v27, v22 row_shr:4 row_mask:0xf bank_mask:0xf bound_ctrl:1
	v_add_f32_e32 v0, v0, v6
	v_cvt_i32_f32_e32 v6, v103
	v_add_f32_e32 v22, v8, v24
	v_add_f32_e32 v8, v26, v27
	v_cvt_i32_f32_e32 v24, v8
	v_cvt_f32_i32_dpp v6, v6 row_shr:8 row_mask:0xf bank_mask:0xf bound_ctrl:1
	v_cvt_i32_f32_e32 v26, v0
	v_cvt_i32_f32_e32 v27, v22
	v_cvt_f32_i32_dpp v24, v24 row_shr:2 row_mask:0xf bank_mask:0xf bound_ctrl:1
	v_add_f32_e32 v6, v103, v6
	v_cvt_i32_f32_e32 v29, v6
	v_cvt_f32_i32_dpp v26, v26 row_bcast:15 row_mask:0xf bank_mask:0xf bound_ctrl:1
	v_add_f32_e32 v8, v8, v24
	v_mov_b32_dpp v28, v27 row_bcast:31 row_mask:0xf bank_mask:0xf bound_ctrl:1
	v_cvt_f32_i32_dpp v27, v29 row_shr:4 row_mask:0xf bank_mask:0xf bound_ctrl:1
	v_cvt_i32_f32_e32 v30, v8
	v_add_f32_e32 v24, v0, v26
	v_cvt_i32_f32_e32 v26, v102
	v_add_f32_e32 v6, v6, v27
	v_cvt_f32_i32_dpp v0, v30 row_shr:1 row_mask:0xf bank_mask:0xf bound_ctrl:1
	v_cvt_i32_f32_e32 v27, v6
	v_cvt_f32_i32_dpp v26, v26 row_shr:8 row_mask:0xf bank_mask:0xf bound_ctrl:1
	v_cvt_i32_f32_e32 v29, v24
	v_add_f32_e32 v0, v8, v0
	v_cvt_f32_i32_dpp v8, v27 row_shr:2 row_mask:0xf bank_mask:0xf bound_ctrl:1
	v_add_f32_e32 v30, v102, v26
	v_cvt_i32_f32_e32 v27, v0
	v_cvt_i32_f32_e32 v26, v30
	v_add_f32_e32 v6, v6, v8
	v_cvt_i32_f32_e32 v8, v6
	v_cvt_f32_i32_dpp v27, v27 row_bcast:15 row_mask:0xf bank_mask:0xf bound_ctrl:1
	v_cvt_f32_i32_dpp v31, v26 row_shr:4 row_mask:0xf bank_mask:0xf bound_ctrl:1
	v_mov_b32_dpp v29, v29 row_bcast:31 row_mask:0xf bank_mask:0xf bound_ctrl:1
	v_cvt_f32_i32_dpp v8, v8 row_shr:1 row_mask:0xf bank_mask:0xf bound_ctrl:1
	v_add_f32_e32 v26, v0, v27
	v_add_f32_e32 v0, v30, v31
	v_cvt_i32_f32_e32 v27, v0
	v_add_f32_e32 v6, v6, v8
	v_cvt_i32_f32_e32 v8, v101
	v_cvt_i32_f32_e32 v30, v6
	v_cvt_f32_i32_dpp v27, v27 row_shr:2 row_mask:0xf bank_mask:0xf bound_ctrl:1
	v_cvt_i32_f32_e32 v31, v26
	v_cvt_f32_i32_dpp v8, v8 row_shr:8 row_mask:0xf bank_mask:0xf bound_ctrl:1
	v_cvt_f32_i32_dpp v32, v30 row_bcast:15 row_mask:0xf bank_mask:0xf bound_ctrl:1
	v_add_f32_e32 v0, v0, v27
	v_cvt_i32_f32_e32 v27, v0
	v_add_f32_e32 v8, v101, v8
	v_cvt_i32_f32_e32 v33, v8
	v_mov_b32_dpp v30, v31 row_bcast:31 row_mask:0xf bank_mask:0xf bound_ctrl:1
	v_cvt_f32_i32_dpp v31, v27 row_shr:1 row_mask:0xf bank_mask:0xf bound_ctrl:1
	v_add_f32_e32 v27, v6, v32
	v_cvt_f32_i32_dpp v6, v33 row_shr:4 row_mask:0xf bank_mask:0xf bound_ctrl:1
	v_cvt_i32_f32_e32 v32, v27
	v_add_f32_e32 v0, v0, v31
	v_cvt_i32_f32_e32 v31, v100
	v_add_f32_e32 v6, v8, v6
	v_cvt_i32_f32_e32 v8, v6
	v_cvt_i32_f32_e32 v33, v0
	v_cvt_f32_i32_dpp v31, v31 row_shr:8 row_mask:0xf bank_mask:0xf bound_ctrl:1
	v_mov_b32_dpp v32, v32 row_bcast:31 row_mask:0xf bank_mask:0xf bound_ctrl:1
	v_cvt_f32_i32_dpp v8, v8 row_shr:2 row_mask:0xf bank_mask:0xf bound_ctrl:1
	v_cvt_f32_i32_dpp v33, v33 row_bcast:15 row_mask:0xf bank_mask:0xf bound_ctrl:1
	v_add_f32_e32 v34, v100, v31
	v_cvt_i32_f32_e32 v31, v34
	v_add_f32_e32 v6, v6, v8
	v_cvt_i32_f32_e32 v8, v99
	v_cvt_i32_f32_e32 v35, v6
	v_cvt_f32_i32_dpp v36, v31 row_shr:4 row_mask:0xf bank_mask:0xf bound_ctrl:1
	v_add_f32_e32 v31, v0, v33
	v_cvt_f32_i32_dpp v0, v8 row_shr:8 row_mask:0xf bank_mask:0xf bound_ctrl:1
	v_cvt_f32_i32_dpp v8, v35 row_shr:1 row_mask:0xf bank_mask:0xf bound_ctrl:1
	v_add_f32_e32 v33, v34, v36
	v_cvt_i32_f32_e32 v34, v33
	v_add_f32_e32 v0, v99, v0
	v_cvt_i32_f32_e32 v35, v0
	v_add_f32_e32 v6, v6, v8
	v_cvt_f32_i32_dpp v34, v34 row_shr:2 row_mask:0xf bank_mask:0xf bound_ctrl:1
	v_cvt_i32_f32_e32 v36, v31
	v_cvt_f32_i32_dpp v8, v35 row_shr:4 row_mask:0xf bank_mask:0xf bound_ctrl:1
	v_cvt_i32_f32_e32 v35, v6
	v_add_f32_e32 v34, v33, v34
	v_cvt_i32_f32_e32 v33, v34
	v_add_f32_e32 v0, v0, v8
	v_cvt_i32_f32_e32 v8, v0
	v_cvt_f32_i32_dpp v35, v35 row_bcast:15 row_mask:0xf bank_mask:0xf bound_ctrl:1
	v_cvt_f32_i32_dpp v37, v33 row_shr:1 row_mask:0xf bank_mask:0xf bound_ctrl:1
	v_mov_b32_dpp v38, v36 row_bcast:31 row_mask:0xf bank_mask:0xf bound_ctrl:1
	v_cvt_f32_i32_dpp v8, v8 row_shr:2 row_mask:0xf bank_mask:0xf bound_ctrl:1
	v_add_f32_e32 v33, v6, v35
	v_add_f32_e32 v6, v34, v37
	v_cvt_i32_f32_e32 v34, v98
	v_add_f32_e32 v0, v0, v8
	v_cvt_i32_f32_e32 v8, v0
	v_cvt_i32_f32_e32 v35, v6
	v_cvt_f32_i32_dpp v34, v34 row_shr:8 row_mask:0xf bank_mask:0xf bound_ctrl:1
	v_cvt_i32_f32_e32 v36, v33
	v_cvt_f32_i32_dpp v8, v8 row_shr:1 row_mask:0xf bank_mask:0xf bound_ctrl:1
	v_cvt_f32_i32_dpp v35, v35 row_bcast:15 row_mask:0xf bank_mask:0xf bound_ctrl:1
	v_add_f32_e32 v37, v98, v34
	v_cvt_i32_f32_e32 v34, v37
	v_add_f32_e32 v0, v0, v8
	v_cvt_i32_f32_e32 v8, v0
	v_mov_b32_dpp v40, v36 row_bcast:31 row_mask:0xf bank_mask:0xf bound_ctrl:1
	v_cvt_f32_i32_dpp v36, v34 row_shr:4 row_mask:0xf bank_mask:0xf bound_ctrl:1
	v_add_f32_e32 v34, v6, v35
	v_cvt_f32_i32_dpp v6, v8 row_bcast:15 row_mask:0xf bank_mask:0xf bound_ctrl:1
	v_cvt_i32_f32_e32 v8, v97
	v_add_f32_e32 v36, v37, v36
	v_cvt_i32_f32_e32 v37, v36
	v_add_f32_e32 v35, v0, v6
	v_cvt_f32_i32_dpp v8, v8 row_shr:8 row_mask:0xf bank_mask:0xf bound_ctrl:1
	v_cvt_i32_f32_e32 v39, v34
	v_cvt_f32_i32_dpp v0, v37 row_shr:2 row_mask:0xf bank_mask:0xf bound_ctrl:1
	v_cvt_i32_f32_e32 v6, v35
	v_add_f32_e32 v8, v97, v8
	v_cvt_i32_f32_e32 v37, v8
	v_add_f32_e32 v0, v36, v0
	v_cvt_i32_f32_e32 v36, v0
	v_mov_b32_dpp v42, v39 row_bcast:31 row_mask:0xf bank_mask:0xf bound_ctrl:1
	v_cvt_f32_i32_dpp v39, v37 row_shr:4 row_mask:0xf bank_mask:0xf bound_ctrl:1
	v_mov_b32_dpp v37, v6 row_bcast:31 row_mask:0xf bank_mask:0xf bound_ctrl:1
	v_cvt_f32_i32_dpp v6, v36 row_shr:1 row_mask:0xf bank_mask:0xf bound_ctrl:1
	v_cvt_i32_f32_e32 v36, v96
	v_add_f32_e32 v8, v8, v39
	v_cvt_i32_f32_e32 v39, v79
	v_add_f32_e32 v0, v0, v6
	v_cvt_f32_i32_dpp v36, v36 row_shr:8 row_mask:0xf bank_mask:0xf bound_ctrl:1
	v_cvt_i32_f32_e32 v41, v8
	v_cvt_f32_i32_dpp v6, v39 row_shr:8 row_mask:0xf bank_mask:0xf bound_ctrl:1
	v_cvt_i32_f32_e32 v44, v0
	v_add_f32_e32 v36, v96, v36
	v_cvt_f32_i32_dpp v39, v41 row_shr:2 row_mask:0xf bank_mask:0xf bound_ctrl:1
	v_add_f32_e32 v6, v79, v6
	v_cvt_i32_f32_e32 v41, v36
	v_cvt_i32_f32_e32 v43, v6
	v_add_f32_e32 v8, v8, v39
	v_cvt_f32_i32_dpp v44, v44 row_bcast:15 row_mask:0xf bank_mask:0xf bound_ctrl:1
	v_cvt_f32_i32_dpp v41, v41 row_shr:4 row_mask:0xf bank_mask:0xf bound_ctrl:1
	v_cvt_f32_i32_dpp v39, v43 row_shr:4 row_mask:0xf bank_mask:0xf bound_ctrl:1
	v_cvt_i32_f32_e32 v43, v8
	v_add_f32_e32 v45, v0, v44
	v_add_f32_e32 v36, v36, v41
	;; [unrolled: 1-line block ×3, first 2 shown]
	v_cvt_i32_f32_e32 v41, v36
	v_cvt_i32_f32_e32 v39, v6
	v_cvt_f32_i32_dpp v43, v43 row_shr:1 row_mask:0xf bank_mask:0xf bound_ctrl:1
	v_cvt_f32_i32_dpp v41, v41 row_shr:2 row_mask:0xf bank_mask:0xf bound_ctrl:1
	;; [unrolled: 1-line block ×3, first 2 shown]
	v_add_f32_e32 v8, v8, v43
	v_cvt_i32_f32_e32 v43, v8
	v_add_f32_e32 v36, v36, v41
	v_add_f32_e32 v6, v6, v39
	v_cvt_i32_f32_e32 v41, v36
	v_cvt_i32_f32_e32 v39, v6
	s_nop 0
	v_cvt_f32_i32_dpp v41, v41 row_shr:1 row_mask:0xf bank_mask:0xf bound_ctrl:1
	v_cvt_f32_i32_dpp v0, v39 row_shr:1 row_mask:0xf bank_mask:0xf bound_ctrl:1
	v_cvt_f32_i32_dpp v39, v43 row_bcast:15 row_mask:0xf bank_mask:0xf bound_ctrl:1
	v_cvt_i32_f32_e32 v43, v45
	v_add_f32_e32 v36, v36, v41
	v_add_f32_e32 v0, v6, v0
	v_cvt_i32_f32_e32 v41, v36
	v_cvt_i32_f32_e32 v6, v0
	v_add_f32_e32 v44, v8, v39
	v_cvt_i32_f32_e32 v8, v44
	v_cvt_f32_i32_dpp v41, v41 row_bcast:15 row_mask:0xf bank_mask:0xf bound_ctrl:1
	v_cvt_f32_i32_dpp v6, v6 row_bcast:15 row_mask:0xf bank_mask:0xf bound_ctrl:1
	v_mov_b32_dpp v47, v43 row_bcast:31 row_mask:0xf bank_mask:0xf bound_ctrl:1
	v_mov_b32_dpp v46, v8 row_bcast:31 row_mask:0xf bank_mask:0xf bound_ctrl:1
	v_add_f32_e32 v41, v36, v41
	v_add_f32_e32 v36, v0, v6
	v_cvt_i32_f32_e32 v39, v41
	v_cvt_i32_f32_e32 v0, v36
	s_nop 0
	v_mov_b32_dpp v43, v39 row_bcast:31 row_mask:0xf bank_mask:0xf bound_ctrl:1
	v_mov_b32_dpp v39, v0 row_bcast:31 row_mask:0xf bank_mask:0xf bound_ctrl:1
	s_and_saveexec_b64 s[36:37], s[0:1]
	s_cbranch_execz .LBB142_56
; %bb.33:                               ;   in Loop: Header=BB142_12 Depth=1
	s_andn2_b64 vcc, exec, s[28:29]
	s_waitcnt vmcnt(19)
	v_mov_b32_e32 v67, 0
	v_add_u32_e32 v8, 2, v78
	v_add_u32_e32 v6, 3, v78
	s_waitcnt vmcnt(18)
	v_mov_b32_e32 v66, 0
	s_waitcnt vmcnt(17)
	v_mov_b32_e32 v65, 0
	;; [unrolled: 2-line block ×19, first 2 shown]
	s_cbranch_vccnz .LBB142_35
; %bb.34:                               ;   in Loop: Header=BB142_12 Depth=1
	v_mul_hi_u32 v0, v78, v92
	v_mul_lo_u32 v0, v0, s12
	v_sub_u32_e32 v0, v78, v0
	v_add_u32_e32 v50, 1, v78
	v_subrev_u32_e32 v48, s12, v0
	v_cmp_le_u32_e32 vcc, s12, v0
	v_mul_hi_u32 v51, v50, v92
	v_mul_lo_u32 v51, v51, s12
	v_cndmask_b32_e32 v0, v0, v48, vcc
	v_subrev_u32_e32 v48, s12, v0
	v_cmp_le_u32_e32 vcc, s12, v0
	v_sub_u32_e32 v50, v50, v51
	v_subrev_u32_e32 v51, s12, v50
	v_cndmask_b32_e32 v0, v0, v48, vcc
	v_cmp_le_u32_e32 vcc, s12, v50
	v_add_u32_e32 v58, s45, v0
	v_mov_b32_e32 v59, v1
	v_cndmask_b32_e32 v50, v50, v51, vcc
	v_subrev_u32_e32 v51, s12, v50
	v_cmp_le_u32_e32 vcc, s12, v50
	v_lshl_add_u64 v[72:73], v[58:59], 1, s[18:19]
	v_lshl_add_u64 v[48:49], v[0:1], 1, s[18:19]
	v_cndmask_b32_e32 v50, v50, v51, vcc
	v_mov_b32_e32 v51, v1
	v_lshl_add_u64 v[52:53], v[50:51], 1, s[18:19]
	v_mul_hi_u32 v51, v8, v92
	v_mul_lo_u32 v51, v51, s12
	v_sub_u32_e32 v51, v8, v51
	v_subrev_u32_e32 v54, s12, v51
	v_cmp_le_u32_e32 vcc, s12, v51
	v_add_u32_e32 v58, s45, v50
	v_lshl_add_u64 v[74:75], v[58:59], 1, s[18:19]
	v_cndmask_b32_e32 v51, v51, v54, vcc
	v_subrev_u32_e32 v54, s12, v51
	v_cmp_le_u32_e32 vcc, s12, v51
	v_mov_b32_e32 v69, v1
	v_mov_b32_e32 v71, v1
	v_cndmask_b32_e32 v68, v51, v54, vcc
	v_mul_hi_u32 v51, v6, v92
	v_mul_lo_u32 v51, v51, s12
	v_sub_u32_e32 v51, v6, v51
	v_subrev_u32_e32 v56, s12, v51
	v_cmp_le_u32_e32 vcc, s12, v51
	v_add_u32_e32 v58, s45, v68
	v_lshl_add_u64 v[76:77], v[58:59], 1, s[18:19]
	v_cndmask_b32_e32 v51, v51, v56, vcc
	v_subrev_u32_e32 v56, s12, v51
	v_cmp_le_u32_e32 vcc, s12, v51
	v_lshl_add_u64 v[54:55], v[68:69], 1, s[18:19]
	s_nop 0
	v_cndmask_b32_e32 v70, v51, v56, vcc
	v_add_u32_e32 v58, s45, v70
	v_lshl_add_u64 v[56:57], v[70:71], 1, s[18:19]
	v_lshl_add_u64 v[84:85], v[58:59], 1, s[18:19]
	global_load_ushort v67, v[48:49], off
	global_load_ushort v66, v[52:53], off
	;; [unrolled: 1-line block ×8, first 2 shown]
	v_add_u32_e32 v52, s46, v50
	v_mov_b32_e32 v53, v1
	v_lshl_add_u64 v[72:73], v[52:53], 1, s[18:19]
	v_add_u32_e32 v52, s46, v68
	v_lshl_add_u64 v[74:75], v[52:53], 1, s[18:19]
	v_add_u32_e32 v52, s46, v70
	;; [unrolled: 2-line block ×4, first 2 shown]
	v_add_u32_e32 v48, s46, v0
	v_mov_b32_e32 v49, v1
	v_lshl_add_u64 v[86:87], v[52:53], 1, s[18:19]
	v_add_u32_e32 v52, s47, v68
	v_lshl_add_u64 v[48:49], v[48:49], 1, s[18:19]
	v_lshl_add_u64 v[88:89], v[52:53], 1, s[18:19]
	v_add_u32_e32 v52, s47, v70
	v_lshl_add_u64 v[90:91], v[52:53], 1, s[18:19]
	global_load_ushort v61, v[48:49], off
	global_load_ushort v59, v[72:73], off
	;; [unrolled: 1-line block ×8, first 2 shown]
	v_add_u32_e32 v0, s48, v0
	v_lshl_add_u64 v[72:73], v[0:1], 1, s[18:19]
	v_add_u32_e32 v0, s48, v50
	v_lshl_add_u64 v[74:75], v[0:1], 1, s[18:19]
	v_add_u32_e32 v0, s48, v68
	v_lshl_add_u64 v[68:69], v[0:1], 1, s[18:19]
	v_add_u32_e32 v0, s48, v70
	v_lshl_add_u64 v[70:71], v[0:1], 1, s[18:19]
	global_load_ushort v52, v[72:73], off
	global_load_ushort v50, v[74:75], off
	;; [unrolled: 1-line block ×4, first 2 shown]
.LBB142_35:                             ;   in Loop: Header=BB142_12 Depth=1
	v_cmp_ne_u32_e32 vcc, 0, v2
	s_and_saveexec_b64 s[6:7], vcc
	s_cbranch_execnz .LBB142_61
; %bb.36:                               ;   in Loop: Header=BB142_12 Depth=1
	s_or_b64 exec, exec, s[6:7]
	v_cmp_ne_u32_e64 s[6:7], 0, v3
	s_and_saveexec_b64 s[8:9], s[6:7]
	s_cbranch_execnz .LBB142_62
.LBB142_37:                             ;   in Loop: Header=BB142_12 Depth=1
	s_or_b64 exec, exec, s[8:9]
	v_cmp_ne_u32_e64 s[8:9], 0, v4
	s_and_saveexec_b64 s[10:11], s[8:9]
	s_cbranch_execnz .LBB142_63
.LBB142_38:                             ;   in Loop: Header=BB142_12 Depth=1
	s_or_b64 exec, exec, s[10:11]
	v_cmp_ne_u32_e64 s[10:11], 0, v5
	s_and_saveexec_b64 s[38:39], s[10:11]
	s_cbranch_execnz .LBB142_64
.LBB142_39:                             ;   in Loop: Header=BB142_12 Depth=1
	s_or_b64 exec, exec, s[38:39]
	v_add_u32_e32 v0, s23, v78
	s_and_saveexec_b64 s[38:39], vcc
	s_cbranch_execnz .LBB142_65
.LBB142_40:                             ;   in Loop: Header=BB142_12 Depth=1
	s_or_b64 exec, exec, s[38:39]
	s_and_saveexec_b64 s[38:39], s[6:7]
	s_cbranch_execnz .LBB142_66
.LBB142_41:                             ;   in Loop: Header=BB142_12 Depth=1
	s_or_b64 exec, exec, s[38:39]
	s_and_saveexec_b64 s[38:39], s[8:9]
	s_cbranch_execnz .LBB142_67
.LBB142_42:                             ;   in Loop: Header=BB142_12 Depth=1
	s_or_b64 exec, exec, s[38:39]
	s_and_saveexec_b64 s[38:39], s[10:11]
	s_cbranch_execnz .LBB142_68
.LBB142_43:                             ;   in Loop: Header=BB142_12 Depth=1
	s_or_b64 exec, exec, s[38:39]
	v_add_u32_e32 v0, s23, v0
	s_and_saveexec_b64 s[38:39], vcc
	s_cbranch_execnz .LBB142_69
.LBB142_44:                             ;   in Loop: Header=BB142_12 Depth=1
	s_or_b64 exec, exec, s[38:39]
	s_and_saveexec_b64 s[38:39], s[6:7]
	s_cbranch_execnz .LBB142_70
.LBB142_45:                             ;   in Loop: Header=BB142_12 Depth=1
	s_or_b64 exec, exec, s[38:39]
	s_and_saveexec_b64 s[38:39], s[8:9]
	s_cbranch_execnz .LBB142_71
.LBB142_46:                             ;   in Loop: Header=BB142_12 Depth=1
	s_or_b64 exec, exec, s[38:39]
	s_and_saveexec_b64 s[38:39], s[10:11]
	s_cbranch_execnz .LBB142_72
.LBB142_47:                             ;   in Loop: Header=BB142_12 Depth=1
	s_or_b64 exec, exec, s[38:39]
	v_add_u32_e32 v0, s23, v0
	s_and_saveexec_b64 s[38:39], vcc
	s_cbranch_execnz .LBB142_73
.LBB142_48:                             ;   in Loop: Header=BB142_12 Depth=1
	s_or_b64 exec, exec, s[38:39]
	s_and_saveexec_b64 s[38:39], s[6:7]
	s_cbranch_execnz .LBB142_74
.LBB142_49:                             ;   in Loop: Header=BB142_12 Depth=1
	s_or_b64 exec, exec, s[38:39]
	s_and_saveexec_b64 s[38:39], s[8:9]
	s_cbranch_execnz .LBB142_75
.LBB142_50:                             ;   in Loop: Header=BB142_12 Depth=1
	s_or_b64 exec, exec, s[38:39]
	s_and_saveexec_b64 s[38:39], s[10:11]
	s_cbranch_execnz .LBB142_76
.LBB142_51:                             ;   in Loop: Header=BB142_12 Depth=1
	s_or_b64 exec, exec, s[38:39]
	v_add_u32_e32 v0, s23, v0
	s_and_saveexec_b64 s[38:39], vcc
	s_cbranch_execnz .LBB142_77
.LBB142_52:                             ;   in Loop: Header=BB142_12 Depth=1
	s_or_b64 exec, exec, s[38:39]
	s_and_saveexec_b64 s[38:39], s[6:7]
	s_cbranch_execnz .LBB142_78
.LBB142_53:                             ;   in Loop: Header=BB142_12 Depth=1
	s_or_b64 exec, exec, s[38:39]
	s_and_saveexec_b64 s[6:7], s[8:9]
	s_cbranch_execnz .LBB142_79
.LBB142_54:                             ;   in Loop: Header=BB142_12 Depth=1
	s_or_b64 exec, exec, s[6:7]
	s_and_b64 exec, exec, s[10:11]
	s_cbranch_execz .LBB142_56
.LBB142_55:                             ;   in Loop: Header=BB142_12 Depth=1
	v_cvt_f32_i32_e32 v6, v39
	s_waitcnt vmcnt(0)
	v_cvt_f32_f16_e32 v7, v48
	v_add_u32_e32 v0, 3, v0
	v_add_f32_e32 v6, v36, v6
	v_add_f32_e32 v6, v6, v7
	v_cvt_f16_f32_e32 v8, v6
	v_lshl_add_u64 v[6:7], v[0:1], 1, s[24:25]
	global_store_short v[6:7], v8, off
.LBB142_56:                             ;   in Loop: Header=BB142_12 Depth=1
	s_or_b64 exec, exec, s[36:37]
	v_add_u32_e32 v78, s44, v78
	v_add_u32_e32 v0, 4, v78
	v_cmp_gt_u32_e32 vcc, s23, v78
	v_cmp_le_u32_e64 s[6:7], s23, v0
	s_and_b64 s[6:7], vcc, s[6:7]
	s_and_saveexec_b64 s[8:9], s[6:7]
	s_cbranch_execz .LBB142_10
; %bb.57:                               ;   in Loop: Header=BB142_12 Depth=1
	v_cmp_ne_u32_e32 vcc, s13, v78
	s_and_saveexec_b64 s[10:11], vcc
	s_cbranch_execz .LBB142_9
; %bb.58:                               ;   in Loop: Header=BB142_12 Depth=1
	v_subrev_u32_e32 v0, s13, v78
	v_cmp_lt_u32_e32 vcc, 1, v0
	s_mov_b64 s[36:37], 0
	s_mov_b64 s[38:39], 0
	v_cndmask_b32_e32 v0, 1, v0, vcc
.LBB142_59:                             ;   Parent Loop BB142_12 Depth=1
                                        ; =>  This Inner Loop Header: Depth=2
	s_cmp_lg_u32 s38, 3
	s_cselect_b64 vcc, -1, 0
	s_cmp_lg_u32 s38, 2
	v_cndmask_b32_e32 v5, 0, v5, vcc
	s_cselect_b64 vcc, -1, 0
	s_cmp_lg_u32 s38, 1
	v_cndmask_b32_e32 v4, 0, v4, vcc
	;; [unrolled: 3-line block ×3, first 2 shown]
	s_cselect_b64 vcc, -1, 0
	s_add_u32 s38, s38, 1
	s_addc_u32 s39, s39, 0
	v_cmp_eq_u32_e64 s[6:7], s38, v0
	s_or_b64 s[36:37], s[6:7], s[36:37]
	v_cndmask_b32_e32 v2, 0, v2, vcc
	s_andn2_b64 exec, exec, s[36:37]
	s_cbranch_execnz .LBB142_59
; %bb.60:                               ;   in Loop: Header=BB142_12 Depth=1
	s_or_b64 exec, exec, s[36:37]
	s_branch .LBB142_9
.LBB142_61:                             ;   in Loop: Header=BB142_12 Depth=1
	v_cvt_f32_i32_e32 v0, v13
	s_waitcnt vmcnt(19)
	v_cvt_f32_f16_e32 v13, v67
	v_mov_b32_e32 v79, v1
	v_lshl_add_u64 v[68:69], v[78:79], 1, s[24:25]
	v_add_f32_e32 v0, v10, v0
	v_add_f32_e32 v0, v0, v13
	v_cvt_f16_f32_e32 v0, v0
	global_store_short v[68:69], v0, off
	s_or_b64 exec, exec, s[6:7]
	v_cmp_ne_u32_e64 s[6:7], 0, v3
	s_and_saveexec_b64 s[8:9], s[6:7]
	s_cbranch_execz .LBB142_37
.LBB142_62:                             ;   in Loop: Header=BB142_12 Depth=1
	v_cvt_f32_i32_e32 v0, v12
	s_waitcnt vmcnt(18)
	v_cvt_f32_f16_e32 v10, v66
	v_mov_b32_e32 v79, v1
	v_lshl_add_u64 v[12:13], v[78:79], 1, s[30:31]
	v_add_f32_e32 v0, v7, v0
	v_add_f32_e32 v0, v0, v10
	v_cvt_f16_f32_e32 v0, v0
	global_store_short v[12:13], v0, off
	s_or_b64 exec, exec, s[8:9]
	v_cmp_ne_u32_e64 s[8:9], 0, v4
	s_and_saveexec_b64 s[10:11], s[8:9]
	s_cbranch_execz .LBB142_38
.LBB142_63:                             ;   in Loop: Header=BB142_12 Depth=1
	v_cvt_f32_i32_e32 v0, v15
	s_waitcnt vmcnt(17)
	v_cvt_f32_f16_e32 v7, v65
	v_add_f32_e32 v0, v9, v0
	v_add_f32_e32 v0, v0, v7
	v_cvt_f16_f32_e32 v0, v0
	v_mov_b32_e32 v9, v1
	v_lshl_add_u64 v[8:9], v[8:9], 1, s[24:25]
	global_store_short v[8:9], v0, off
	s_or_b64 exec, exec, s[10:11]
	v_cmp_ne_u32_e64 s[10:11], 0, v5
	s_and_saveexec_b64 s[38:39], s[10:11]
	s_cbranch_execz .LBB142_39
.LBB142_64:                             ;   in Loop: Header=BB142_12 Depth=1
	v_cvt_f32_i32_e32 v0, v18
	s_waitcnt vmcnt(16)
	v_cvt_f32_f16_e32 v7, v64
	v_add_f32_e32 v0, v11, v0
	v_add_f32_e32 v0, v0, v7
	v_cvt_f16_f32_e32 v0, v0
	v_mov_b32_e32 v7, v1
	v_lshl_add_u64 v[6:7], v[6:7], 1, s[24:25]
	global_store_short v[6:7], v0, off
	s_or_b64 exec, exec, s[38:39]
	v_add_u32_e32 v0, s23, v78
	s_and_saveexec_b64 s[38:39], vcc
	s_cbranch_execz .LBB142_40
.LBB142_65:                             ;   in Loop: Header=BB142_12 Depth=1
	v_cvt_f32_i32_e32 v6, v19
	s_waitcnt vmcnt(15)
	v_cvt_f32_f16_e32 v7, v63
	v_add_f32_e32 v6, v14, v6
	v_add_f32_e32 v6, v6, v7
	v_cvt_f16_f32_e32 v8, v6
	v_lshl_add_u64 v[6:7], v[0:1], 1, s[24:25]
	global_store_short v[6:7], v8, off
	s_or_b64 exec, exec, s[38:39]
	s_and_saveexec_b64 s[38:39], s[6:7]
	s_cbranch_execz .LBB142_41
.LBB142_66:                             ;   in Loop: Header=BB142_12 Depth=1
	v_cvt_f32_i32_e32 v6, v21
	s_waitcnt vmcnt(14)
	v_cvt_f32_f16_e32 v7, v62
	v_add_f32_e32 v6, v16, v6
	v_add_f32_e32 v6, v6, v7
	v_cvt_f16_f32_e32 v8, v6
	v_add_u32_e32 v6, 1, v0
	v_mov_b32_e32 v7, v1
	v_lshl_add_u64 v[6:7], v[6:7], 1, s[24:25]
	global_store_short v[6:7], v8, off
	s_or_b64 exec, exec, s[38:39]
	s_and_saveexec_b64 s[38:39], s[8:9]
	s_cbranch_execz .LBB142_42
.LBB142_67:                             ;   in Loop: Header=BB142_12 Depth=1
	v_cvt_f32_i32_e32 v6, v23
	s_waitcnt vmcnt(13)
	v_cvt_f32_f16_e32 v7, v60
	v_add_f32_e32 v6, v17, v6
	v_add_f32_e32 v6, v6, v7
	v_cvt_f16_f32_e32 v8, v6
	v_add_u32_e32 v6, 2, v0
	v_mov_b32_e32 v7, v1
	v_lshl_add_u64 v[6:7], v[6:7], 1, s[24:25]
	global_store_short v[6:7], v8, off
	s_or_b64 exec, exec, s[38:39]
	s_and_saveexec_b64 s[38:39], s[10:11]
	s_cbranch_execz .LBB142_43
.LBB142_68:                             ;   in Loop: Header=BB142_12 Depth=1
	v_cvt_f32_i32_e32 v6, v25
	s_waitcnt vmcnt(12)
	v_cvt_f32_f16_e32 v7, v58
	v_add_f32_e32 v6, v20, v6
	v_add_f32_e32 v6, v6, v7
	v_cvt_f16_f32_e32 v8, v6
	v_add_u32_e32 v6, 3, v0
	v_mov_b32_e32 v7, v1
	v_lshl_add_u64 v[6:7], v[6:7], 1, s[24:25]
	global_store_short v[6:7], v8, off
	s_or_b64 exec, exec, s[38:39]
	v_add_u32_e32 v0, s23, v0
	s_and_saveexec_b64 s[38:39], vcc
	s_cbranch_execz .LBB142_44
.LBB142_69:                             ;   in Loop: Header=BB142_12 Depth=1
	v_cvt_f32_i32_e32 v6, v28
	s_waitcnt vmcnt(11)
	v_cvt_f32_f16_e32 v7, v61
	v_add_f32_e32 v6, v22, v6
	v_add_f32_e32 v6, v6, v7
	v_cvt_f16_f32_e32 v8, v6
	v_lshl_add_u64 v[6:7], v[0:1], 1, s[24:25]
	global_store_short v[6:7], v8, off
	s_or_b64 exec, exec, s[38:39]
	s_and_saveexec_b64 s[38:39], s[6:7]
	s_cbranch_execz .LBB142_45
.LBB142_70:                             ;   in Loop: Header=BB142_12 Depth=1
	v_cvt_f32_i32_e32 v6, v29
	s_waitcnt vmcnt(10)
	v_cvt_f32_f16_e32 v7, v59
	v_add_f32_e32 v6, v24, v6
	v_add_f32_e32 v6, v6, v7
	v_cvt_f16_f32_e32 v8, v6
	v_add_u32_e32 v6, 1, v0
	v_mov_b32_e32 v7, v1
	v_lshl_add_u64 v[6:7], v[6:7], 1, s[24:25]
	global_store_short v[6:7], v8, off
	s_or_b64 exec, exec, s[38:39]
	s_and_saveexec_b64 s[38:39], s[8:9]
	s_cbranch_execz .LBB142_46
.LBB142_71:                             ;   in Loop: Header=BB142_12 Depth=1
	v_cvt_f32_i32_e32 v6, v30
	s_waitcnt vmcnt(9)
	v_cvt_f32_f16_e32 v7, v57
	v_add_f32_e32 v6, v26, v6
	v_add_f32_e32 v6, v6, v7
	v_cvt_f16_f32_e32 v8, v6
	v_add_u32_e32 v6, 2, v0
	v_mov_b32_e32 v7, v1
	v_lshl_add_u64 v[6:7], v[6:7], 1, s[24:25]
	global_store_short v[6:7], v8, off
	s_or_b64 exec, exec, s[38:39]
	s_and_saveexec_b64 s[38:39], s[10:11]
	s_cbranch_execz .LBB142_47
.LBB142_72:                             ;   in Loop: Header=BB142_12 Depth=1
	v_cvt_f32_i32_e32 v6, v32
	s_waitcnt vmcnt(8)
	v_cvt_f32_f16_e32 v7, v56
	v_add_f32_e32 v6, v27, v6
	v_add_f32_e32 v6, v6, v7
	v_cvt_f16_f32_e32 v8, v6
	v_add_u32_e32 v6, 3, v0
	v_mov_b32_e32 v7, v1
	v_lshl_add_u64 v[6:7], v[6:7], 1, s[24:25]
	global_store_short v[6:7], v8, off
	s_or_b64 exec, exec, s[38:39]
	v_add_u32_e32 v0, s23, v0
	s_and_saveexec_b64 s[38:39], vcc
	s_cbranch_execz .LBB142_48
.LBB142_73:                             ;   in Loop: Header=BB142_12 Depth=1
	v_cvt_f32_i32_e32 v6, v38
	s_waitcnt vmcnt(7)
	v_cvt_f32_f16_e32 v7, v55
	v_add_f32_e32 v6, v31, v6
	v_add_f32_e32 v6, v6, v7
	v_cvt_f16_f32_e32 v8, v6
	v_lshl_add_u64 v[6:7], v[0:1], 1, s[24:25]
	global_store_short v[6:7], v8, off
	s_or_b64 exec, exec, s[38:39]
	s_and_saveexec_b64 s[38:39], s[6:7]
	s_cbranch_execz .LBB142_49
.LBB142_74:                             ;   in Loop: Header=BB142_12 Depth=1
	v_cvt_f32_i32_e32 v6, v40
	s_waitcnt vmcnt(6)
	v_cvt_f32_f16_e32 v7, v54
	v_add_f32_e32 v6, v33, v6
	v_add_f32_e32 v6, v6, v7
	v_cvt_f16_f32_e32 v8, v6
	v_add_u32_e32 v6, 1, v0
	v_mov_b32_e32 v7, v1
	v_lshl_add_u64 v[6:7], v[6:7], 1, s[24:25]
	global_store_short v[6:7], v8, off
	s_or_b64 exec, exec, s[38:39]
	s_and_saveexec_b64 s[38:39], s[8:9]
	s_cbranch_execz .LBB142_50
.LBB142_75:                             ;   in Loop: Header=BB142_12 Depth=1
	v_cvt_f32_i32_e32 v6, v42
	s_waitcnt vmcnt(5)
	v_cvt_f32_f16_e32 v7, v53
	v_add_f32_e32 v6, v34, v6
	v_add_f32_e32 v6, v6, v7
	v_cvt_f16_f32_e32 v8, v6
	v_add_u32_e32 v6, 2, v0
	v_mov_b32_e32 v7, v1
	v_lshl_add_u64 v[6:7], v[6:7], 1, s[24:25]
	global_store_short v[6:7], v8, off
	s_or_b64 exec, exec, s[38:39]
	s_and_saveexec_b64 s[38:39], s[10:11]
	s_cbranch_execz .LBB142_51
.LBB142_76:                             ;   in Loop: Header=BB142_12 Depth=1
	v_cvt_f32_i32_e32 v6, v37
	s_waitcnt vmcnt(4)
	v_cvt_f32_f16_e32 v7, v51
	v_add_f32_e32 v6, v35, v6
	v_add_f32_e32 v6, v6, v7
	v_cvt_f16_f32_e32 v8, v6
	v_add_u32_e32 v6, 3, v0
	v_mov_b32_e32 v7, v1
	v_lshl_add_u64 v[6:7], v[6:7], 1, s[24:25]
	global_store_short v[6:7], v8, off
	s_or_b64 exec, exec, s[38:39]
	v_add_u32_e32 v0, s23, v0
	s_and_saveexec_b64 s[38:39], vcc
	s_cbranch_execz .LBB142_52
.LBB142_77:                             ;   in Loop: Header=BB142_12 Depth=1
	v_cvt_f32_i32_e32 v6, v47
	s_waitcnt vmcnt(3)
	v_cvt_f32_f16_e32 v7, v52
	v_add_f32_e32 v6, v45, v6
	v_add_f32_e32 v6, v6, v7
	v_cvt_f16_f32_e32 v8, v6
	v_lshl_add_u64 v[6:7], v[0:1], 1, s[24:25]
	global_store_short v[6:7], v8, off
	s_or_b64 exec, exec, s[38:39]
	s_and_saveexec_b64 s[38:39], s[6:7]
	s_cbranch_execz .LBB142_53
.LBB142_78:                             ;   in Loop: Header=BB142_12 Depth=1
	v_cvt_f32_i32_e32 v6, v46
	s_waitcnt vmcnt(2)
	v_cvt_f32_f16_e32 v7, v50
	v_add_f32_e32 v6, v44, v6
	v_add_f32_e32 v6, v6, v7
	v_cvt_f16_f32_e32 v8, v6
	v_add_u32_e32 v6, 1, v0
	v_mov_b32_e32 v7, v1
	v_lshl_add_u64 v[6:7], v[6:7], 1, s[24:25]
	global_store_short v[6:7], v8, off
	s_or_b64 exec, exec, s[38:39]
	s_and_saveexec_b64 s[6:7], s[8:9]
	s_cbranch_execz .LBB142_54
.LBB142_79:                             ;   in Loop: Header=BB142_12 Depth=1
	v_cvt_f32_i32_e32 v6, v43
	s_waitcnt vmcnt(1)
	v_cvt_f32_f16_e32 v7, v49
	v_add_f32_e32 v6, v41, v6
	v_add_f32_e32 v6, v6, v7
	v_cvt_f16_f32_e32 v8, v6
	v_add_u32_e32 v6, 2, v0
	v_mov_b32_e32 v7, v1
	v_lshl_add_u64 v[6:7], v[6:7], 1, s[24:25]
	global_store_short v[6:7], v8, off
	s_or_b64 exec, exec, s[6:7]
	s_and_b64 exec, exec, s[10:11]
	s_cbranch_execnz .LBB142_55
	s_branch .LBB142_56
.LBB142_80:
	s_endpgm
	.section	.rodata,"a",@progbits
	.p2align	6, 0x0
	.amdhsa_kernel _Z16wvSplitK_hf_big_I6__halfLi32ELi4ELi16ELi8ELi2ELi5EEviiiiiiPKT_S3_S3_PS1_ii
		.amdhsa_group_segment_fixed_size 65536
		.amdhsa_private_segment_fixed_size 0
		.amdhsa_kernarg_size 64
		.amdhsa_user_sgpr_count 2
		.amdhsa_user_sgpr_dispatch_ptr 0
		.amdhsa_user_sgpr_queue_ptr 0
		.amdhsa_user_sgpr_kernarg_segment_ptr 1
		.amdhsa_user_sgpr_dispatch_id 0
		.amdhsa_user_sgpr_kernarg_preload_length 0
		.amdhsa_user_sgpr_kernarg_preload_offset 0
		.amdhsa_user_sgpr_private_segment_size 0
		.amdhsa_uses_dynamic_stack 0
		.amdhsa_enable_private_segment 0
		.amdhsa_system_sgpr_workgroup_id_x 1
		.amdhsa_system_sgpr_workgroup_id_y 0
		.amdhsa_system_sgpr_workgroup_id_z 0
		.amdhsa_system_sgpr_workgroup_info 0
		.amdhsa_system_vgpr_workitem_id 1
		.amdhsa_next_free_vgpr 120
		.amdhsa_next_free_sgpr 56
		.amdhsa_accum_offset 120
		.amdhsa_reserve_vcc 1
		.amdhsa_float_round_mode_32 0
		.amdhsa_float_round_mode_16_64 0
		.amdhsa_float_denorm_mode_32 3
		.amdhsa_float_denorm_mode_16_64 3
		.amdhsa_dx10_clamp 1
		.amdhsa_ieee_mode 1
		.amdhsa_fp16_overflow 0
		.amdhsa_tg_split 0
		.amdhsa_exception_fp_ieee_invalid_op 0
		.amdhsa_exception_fp_denorm_src 0
		.amdhsa_exception_fp_ieee_div_zero 0
		.amdhsa_exception_fp_ieee_overflow 0
		.amdhsa_exception_fp_ieee_underflow 0
		.amdhsa_exception_fp_ieee_inexact 0
		.amdhsa_exception_int_div_zero 0
	.end_amdhsa_kernel
	.section	.text._Z16wvSplitK_hf_big_I6__halfLi32ELi4ELi16ELi8ELi2ELi5EEviiiiiiPKT_S3_S3_PS1_ii,"axG",@progbits,_Z16wvSplitK_hf_big_I6__halfLi32ELi4ELi16ELi8ELi2ELi5EEviiiiiiPKT_S3_S3_PS1_ii,comdat
.Lfunc_end142:
	.size	_Z16wvSplitK_hf_big_I6__halfLi32ELi4ELi16ELi8ELi2ELi5EEviiiiiiPKT_S3_S3_PS1_ii, .Lfunc_end142-_Z16wvSplitK_hf_big_I6__halfLi32ELi4ELi16ELi8ELi2ELi5EEviiiiiiPKT_S3_S3_PS1_ii
                                        ; -- End function
	.section	.AMDGPU.csdata,"",@progbits
; Kernel info:
; codeLenInByte = 7748
; NumSgprs: 62
; NumVgprs: 120
; NumAgprs: 0
; TotalNumVgprs: 120
; ScratchSize: 0
; MemoryBound: 0
; FloatMode: 240
; IeeeMode: 1
; LDSByteSize: 65536 bytes/workgroup (compile time only)
; SGPRBlocks: 7
; VGPRBlocks: 14
; NumSGPRsForWavesPerEU: 62
; NumVGPRsForWavesPerEU: 120
; AccumOffset: 120
; Occupancy: 2
; WaveLimiterHint : 0
; COMPUTE_PGM_RSRC2:SCRATCH_EN: 0
; COMPUTE_PGM_RSRC2:USER_SGPR: 2
; COMPUTE_PGM_RSRC2:TRAP_HANDLER: 0
; COMPUTE_PGM_RSRC2:TGID_X_EN: 1
; COMPUTE_PGM_RSRC2:TGID_Y_EN: 0
; COMPUTE_PGM_RSRC2:TGID_Z_EN: 0
; COMPUTE_PGM_RSRC2:TIDIG_COMP_CNT: 1
; COMPUTE_PGM_RSRC3_GFX90A:ACCUM_OFFSET: 29
; COMPUTE_PGM_RSRC3_GFX90A:TG_SPLIT: 0
	.section	.text._Z16wvSplitK_hf_sml_I6__halfLi64ELi1ELi16ELi8ELi4ELi5EEviiiiiiPKT_S3_S3_PS1_ii,"axG",@progbits,_Z16wvSplitK_hf_sml_I6__halfLi64ELi1ELi16ELi8ELi4ELi5EEviiiiiiPKT_S3_S3_PS1_ii,comdat
	.protected	_Z16wvSplitK_hf_sml_I6__halfLi64ELi1ELi16ELi8ELi4ELi5EEviiiiiiPKT_S3_S3_PS1_ii ; -- Begin function _Z16wvSplitK_hf_sml_I6__halfLi64ELi1ELi16ELi8ELi4ELi5EEviiiiiiPKT_S3_S3_PS1_ii
	.globl	_Z16wvSplitK_hf_sml_I6__halfLi64ELi1ELi16ELi8ELi4ELi5EEviiiiiiPKT_S3_S3_PS1_ii
	.p2align	8
	.type	_Z16wvSplitK_hf_sml_I6__halfLi64ELi1ELi16ELi8ELi4ELi5EEviiiiiiPKT_S3_S3_PS1_ii,@function
_Z16wvSplitK_hf_sml_I6__halfLi64ELi1ELi16ELi8ELi4ELi5EEviiiiiiPKT_S3_S3_PS1_ii: ; @_Z16wvSplitK_hf_sml_I6__halfLi64ELi1ELi16ELi8ELi4ELi5EEviiiiiiPKT_S3_S3_PS1_ii
; %bb.0:
	s_load_dwordx4 s[4:7], s[0:1], 0x0
	s_load_dwordx2 s[8:9], s[0:1], 0x10
	s_load_dwordx2 s[10:11], s[0:1], 0x28
	v_and_b32_e32 v2, 0x3ff, v0
	v_bfe_u32 v3, v0, 10, 10
	v_lshlrev_b32_e32 v102, 3, v2
	s_waitcnt lgkmcnt(0)
	s_mul_i32 s3, s6, 5
	v_lshl_add_u32 v4, v3, 9, v102
	s_min_u32 s3, s3, 0x8000
	v_cmp_gt_u32_e32 vcc, s3, v4
	s_and_saveexec_b64 s[12:13], vcc
	s_cbranch_execz .LBB143_3
; %bb.1:
	s_load_dwordx2 s[14:15], s[0:1], 0x20
	v_mov_b32_e32 v7, 0
	v_lshlrev_b32_e32 v6, 10, v3
	v_lshlrev_b32_e32 v8, 4, v2
	v_mov_b32_e32 v9, v7
	v_lshl_add_u64 v[0:1], v[6:7], 0, v[8:9]
	s_waitcnt lgkmcnt(0)
	v_lshl_add_u64 v[0:1], s[14:15], 0, v[0:1]
	v_add_u32_e32 v5, v6, v8
	s_mov_b64 s[14:15], 0
	s_mov_b64 s[16:17], 0x4000
.LBB143_2:                              ; =>This Inner Loop Header: Depth=1
	global_load_dwordx4 v[6:9], v[0:1], off
	v_add_u32_e32 v4, 0x2000, v4
	v_cmp_le_u32_e32 vcc, s3, v4
	v_lshl_add_u64 v[0:1], v[0:1], 0, s[16:17]
	s_or_b64 s[14:15], vcc, s[14:15]
	s_waitcnt vmcnt(0)
	ds_write_b128 v5, v[6:9]
	v_add_u32_e32 v5, 0x4000, v5
	s_andn2_b64 exec, exec, s[14:15]
	s_cbranch_execnz .LBB143_2
.LBB143_3:
	s_or_b64 exec, exec, s[12:13]
	s_load_dwordx2 s[20:21], s[0:1], 0x38
	s_waitcnt lgkmcnt(0)
	s_barrier
	v_cmp_gt_u32_e32 vcc, s20, v3
	s_and_saveexec_b64 s[12:13], vcc
	s_cbranch_execz .LBB143_24
; %bb.4:
	s_mul_i32 s2, s2, s20
	v_add_u32_e32 v80, s2, v3
	v_cmp_gt_u32_e32 vcc, s7, v80
	s_and_b64 exec, exec, vcc
	s_cbranch_execz .LBB143_24
; %bb.5:
	s_cmp_lg_u32 s4, 0
	s_cselect_b64 s[2:3], -1, 0
	s_add_i32 s28, s4, -8
	s_add_i32 s29, s7, -1
	s_cmp_lg_u64 s[10:11], 0
	s_cselect_b64 s[18:19], -1, 0
	s_abs_i32 s22, s9
	v_cvt_f32_u32_e32 v0, s8
	v_cvt_f32_u32_e32 v1, s22
	s_mul_i32 s9, s21, s20
	s_sub_i32 s20, 0, s8
	v_rcp_iflag_f32_e32 v0, v0
	v_rcp_iflag_f32_e32 v1, v1
	s_load_dwordx2 s[12:13], s[0:1], 0x18
	s_load_dwordx2 s[14:15], s[0:1], 0x30
	v_cmp_eq_u32_e64 s[0:1], 63, v2
	v_mul_f32_e32 v0, 0x4f7ffffe, v0
	v_mul_f32_e32 v1, 0x4f7ffffe, v1
	v_cvt_u32_f32_e32 v0, v0
	v_cvt_u32_f32_e32 v1, v1
	s_mov_b64 s[16:17], 0
	v_mov_b32_e32 v83, 0
	v_mul_lo_u32 v3, s20, v0
	s_sub_i32 s20, 0, s22
	v_readfirstlane_b32 s21, v1
	s_mul_i32 s20, s20, s21
	s_mul_hi_u32 s20, s21, s20
	s_add_i32 s21, s21, s20
	s_sub_i32 s20, 1, s22
	s_cmp_lt_u32 s22, 2
	s_cselect_b32 s20, s20, 1
	s_sub_i32 s23, s20, s22
	s_cmp_ge_u32 s20, s22
	s_cselect_b32 s30, s23, s20
	s_lshr_b32 s20, s21, 31
	s_mul_i32 s20, s20, s22
	s_sub_i32 s20, 2, s20
	s_sub_i32 s23, s20, s22
	s_cmp_ge_u32 s20, s22
	s_cselect_b32 s20, s23, s20
	s_sub_i32 s23, s20, s22
	s_cmp_ge_u32 s20, s22
	s_cselect_b32 s31, s23, s20
	s_mul_hi_u32 s20, s21, 3
	s_mul_i32 s20, s20, s22
	s_sub_i32 s20, 3, s20
	s_sub_i32 s23, s20, s22
	s_cmp_ge_u32 s20, s22
	s_cselect_b32 s20, s23, s20
	s_sub_i32 s23, s20, s22
	s_cmp_ge_u32 s20, s22
	s_cselect_b32 s33, s23, s20
	s_lshr_b32 s20, s21, 30
	s_mul_i32 s20, s20, s22
	s_sub_i32 s20, 4, s20
	s_sub_i32 s21, s20, s22
	s_cmp_ge_u32 s20, s22
	s_cselect_b32 s20, s21, s20
	s_sub_i32 s21, s20, s22
	v_mul_hi_u32 v3, v0, v3
	s_cmp_ge_u32 s20, s22
	v_add_u32_e32 v103, v0, v3
	s_cselect_b32 s34, s21, s20
	v_cndmask_b32_e64 v0, 0, 1, s[2:3]
	s_mul_i32 s30, s30, s8
	s_mul_i32 s31, s31, s8
	;; [unrolled: 1-line block ×4, first 2 shown]
	s_lshl_b32 s35, s6, 3
	v_lshlrev_b32_e32 v104, 4, v2
	s_mul_i32 s36, s6, 6
	s_lshl_b32 s37, s6, 2
	s_lshl_b32 s6, s6, 1
	v_cmp_ne_u32_e64 s[2:3], 1, v0
	s_branch .LBB143_8
.LBB143_6:                              ;   in Loop: Header=BB143_8 Depth=1
	v_cvt_f32_i32_e32 v1, v1
	v_cvt_f32_i32_e32 v8, v8
	;; [unrolled: 1-line block ×4, first 2 shown]
	v_add_f32_e32 v0, v0, v1
	s_waitcnt vmcnt(4)
	v_cvt_f32_f16_e32 v1, v14
	v_add_f32_e32 v4, v4, v8
	v_add_f32_e32 v5, v5, v7
	s_waitcnt vmcnt(3)
	v_cvt_f32_f16_e32 v8, v13
	v_add_f32_e32 v0, v0, v1
	v_cvt_f16_f32_e32 v7, v0
	v_cvt_f32_i32_e32 v6, v6
	v_add_f32_e32 v2, v2, v9
	s_waitcnt lgkmcnt(0)
	v_lshl_add_u64 v[0:1], v[80:81], 1, s[14:15]
	global_store_short v[0:1], v7, off
	v_add_f32_e32 v0, v2, v8
	v_add_f32_e32 v3, v3, v6
	v_cvt_f16_f32_e32 v2, v0
	s_waitcnt vmcnt(3)
	v_cvt_f32_f16_e32 v6, v12
	v_add_u32_e32 v82, s7, v80
	v_lshl_add_u64 v[0:1], v[82:83], 1, s[14:15]
	global_store_short v[0:1], v2, off
	v_add_f32_e32 v0, v4, v6
	v_cvt_f16_f32_e32 v2, v0
	v_add_u32_e32 v82, s7, v82
	s_waitcnt vmcnt(3)
	v_cvt_f32_f16_e32 v4, v11
	v_lshl_add_u64 v[0:1], v[82:83], 1, s[14:15]
	global_store_short v[0:1], v2, off
	s_waitcnt vmcnt(3)
	v_cvt_f32_f16_e32 v2, v10
	v_add_f32_e32 v0, v5, v4
	v_cvt_f16_f32_e32 v4, v0
	v_add_u32_e32 v82, s7, v82
	v_add_f32_e32 v2, v3, v2
	v_cvt_f16_f32_e32 v2, v2
	v_lshl_add_u64 v[0:1], v[82:83], 1, s[14:15]
	v_add_u32_e32 v82, s7, v82
	global_store_short v[0:1], v4, off
	v_lshl_add_u64 v[0:1], v[82:83], 1, s[14:15]
	global_store_short v[0:1], v2, off
.LBB143_7:                              ;   in Loop: Header=BB143_8 Depth=1
	s_or_b64 exec, exec, s[20:21]
	v_add_u32_e32 v80, s9, v80
	v_cmp_le_u32_e32 vcc, s7, v80
	s_or_b64 s[16:17], vcc, s[16:17]
	s_andn2_b64 exec, exec, s[16:17]
	s_cbranch_execz .LBB143_24
.LBB143_8:                              ; =>This Loop Header: Depth=1
                                        ;     Child Loop BB143_14 Depth 2
	s_mov_b32 s38, 0
	s_and_b64 vcc, exec, s[2:3]
	v_mov_b32_e32 v108, v83
	v_mov_b32_e32 v107, v83
	;; [unrolled: 1-line block ×5, first 2 shown]
	s_cbranch_vccnz .LBB143_19
; %bb.9:                                ;   in Loop: Header=BB143_8 Depth=1
	v_min_u32_e32 v0, s29, v80
	v_mul_lo_u32 v82, v0, s5
	s_waitcnt lgkmcnt(0)
	v_lshl_add_u64 v[84:85], v[82:83], 1, s[12:13]
	v_mov_b32_e32 v81, 0
	v_mov_b32_e32 v109, v104
	;; [unrolled: 1-line block ×6, first 2 shown]
	s_branch .LBB143_14
.LBB143_10:                             ;   in Loop: Header=BB143_14 Depth=2
	s_or_b64 exec, exec, s[26:27]
.LBB143_11:                             ;   in Loop: Header=BB143_14 Depth=2
	s_or_b64 exec, exec, s[24:25]
.LBB143_12:                             ;   in Loop: Header=BB143_14 Depth=2
	s_or_b64 exec, exec, s[22:23]
.LBB143_13:                             ;   in Loop: Header=BB143_14 Depth=2
	s_or_b64 exec, exec, s[20:21]
	s_waitcnt vmcnt(3) lgkmcnt(1)
	;;#ASMSTART
	v_dot2c_f32_f16 v108, v44, v12
	;;#ASMEND
	;;#ASMSTART
	v_dot2c_f32_f16 v107, v32, v12
	;;#ASMEND
	;;#ASMSTART
	v_dot2c_f32_f16 v106, v90, v12
	;;#ASMEND
	;;#ASMSTART
	v_dot2c_f32_f16 v105, v28, v12
	;;#ASMEND
	s_waitcnt lgkmcnt(0)
	;;#ASMSTART
	v_dot2c_f32_f16 v81, v24, v12
	;;#ASMEND
	s_addk_i32 s38, 0x800
	;;#ASMSTART
	v_dot2c_f32_f16 v108, v45, v13
	;;#ASMEND
	;;#ASMSTART
	v_dot2c_f32_f16 v107, v33, v13
	;;#ASMEND
	;; [unrolled: 3-line block ×5, first 2 shown]
	s_cmp_ge_u32 s38, s4
	;;#ASMSTART
	v_dot2c_f32_f16 v108, v46, v14
	;;#ASMEND
	;;#ASMSTART
	v_dot2c_f32_f16 v107, v34, v14
	;;#ASMEND
	;; [unrolled: 3-line block ×5, first 2 shown]
	v_add_u32_e32 v109, 0x1000, v109
	;;#ASMSTART
	v_dot2c_f32_f16 v108, v47, v15
	;;#ASMEND
	;;#ASMSTART
	v_dot2c_f32_f16 v107, v35, v15
	;;#ASMEND
	;;#ASMSTART
	v_dot2c_f32_f16 v106, v93, v15
	;;#ASMEND
	;;#ASMSTART
	v_dot2c_f32_f16 v105, v31, v15
	;;#ASMEND
	;;#ASMSTART
	v_dot2c_f32_f16 v81, v27, v15
	;;#ASMEND
	s_waitcnt vmcnt(2)
	;;#ASMSTART
	v_dot2c_f32_f16 v108, v72, v8
	;;#ASMEND
	;;#ASMSTART
	v_dot2c_f32_f16 v107, v68, v8
	;;#ASMEND
	;;#ASMSTART
	v_dot2c_f32_f16 v106, v100, v8
	;;#ASMEND
	;;#ASMSTART
	v_dot2c_f32_f16 v105, v56, v8
	;;#ASMEND
	;;#ASMSTART
	v_dot2c_f32_f16 v81, v52, v8
	;;#ASMEND
	s_nop 0
	;;#ASMSTART
	v_dot2c_f32_f16 v108, v73, v9
	;;#ASMEND
	;;#ASMSTART
	v_dot2c_f32_f16 v107, v69, v9
	;;#ASMEND
	;;#ASMSTART
	v_dot2c_f32_f16 v106, v101, v9
	;;#ASMEND
	;;#ASMSTART
	v_dot2c_f32_f16 v105, v57, v9
	;;#ASMEND
	;;#ASMSTART
	v_dot2c_f32_f16 v81, v53, v9
	;;#ASMEND
	s_nop 0
	;;#ASMSTART
	v_dot2c_f32_f16 v108, v74, v10
	;;#ASMEND
	;;#ASMSTART
	v_dot2c_f32_f16 v107, v70, v10
	;;#ASMEND
	;;#ASMSTART
	v_dot2c_f32_f16 v106, v98, v10
	;;#ASMEND
	;;#ASMSTART
	v_dot2c_f32_f16 v105, v58, v10
	;;#ASMEND
	;;#ASMSTART
	v_dot2c_f32_f16 v81, v54, v10
	;;#ASMEND
	s_nop 0
	;;#ASMSTART
	v_dot2c_f32_f16 v108, v75, v11
	;;#ASMEND
	;;#ASMSTART
	v_dot2c_f32_f16 v107, v71, v11
	;;#ASMEND
	;;#ASMSTART
	v_dot2c_f32_f16 v106, v99, v11
	;;#ASMEND
	;;#ASMSTART
	v_dot2c_f32_f16 v105, v59, v11
	;;#ASMEND
	;;#ASMSTART
	v_dot2c_f32_f16 v81, v55, v11
	;;#ASMEND
	s_waitcnt vmcnt(1)
	;;#ASMSTART
	v_dot2c_f32_f16 v108, v76, v4
	;;#ASMEND
	;;#ASMSTART
	v_dot2c_f32_f16 v107, v64, v4
	;;#ASMEND
	;;#ASMSTART
	v_dot2c_f32_f16 v106, v96, v4
	;;#ASMEND
	;;#ASMSTART
	v_dot2c_f32_f16 v105, v48, v4
	;;#ASMEND
	;;#ASMSTART
	v_dot2c_f32_f16 v81, v40, v4
	;;#ASMEND
	s_nop 0
	;;#ASMSTART
	v_dot2c_f32_f16 v108, v77, v5
	;;#ASMEND
	;;#ASMSTART
	v_dot2c_f32_f16 v107, v65, v5
	;;#ASMEND
	;;#ASMSTART
	v_dot2c_f32_f16 v106, v97, v5
	;;#ASMEND
	;;#ASMSTART
	v_dot2c_f32_f16 v105, v49, v5
	;;#ASMEND
	;;#ASMSTART
	v_dot2c_f32_f16 v81, v41, v5
	;;#ASMEND
	s_nop 0
	;;#ASMSTART
	v_dot2c_f32_f16 v108, v78, v6
	;;#ASMEND
	;;#ASMSTART
	v_dot2c_f32_f16 v107, v66, v6
	;;#ASMEND
	;;#ASMSTART
	v_dot2c_f32_f16 v106, v94, v6
	;;#ASMEND
	;;#ASMSTART
	v_dot2c_f32_f16 v105, v50, v6
	;;#ASMEND
	;;#ASMSTART
	v_dot2c_f32_f16 v81, v42, v6
	;;#ASMEND
	s_nop 0
	;; [unrolled: 64-line block ×3, first 2 shown]
	;;#ASMSTART
	v_dot2c_f32_f16 v108, v63, v3
	;;#ASMEND
	;;#ASMSTART
	v_dot2c_f32_f16 v107, v39, v3
	;;#ASMEND
	;; [unrolled: 3-line block ×5, first 2 shown]
	s_cbranch_scc1 .LBB143_19
.LBB143_14:                             ;   Parent Loop BB143_8 Depth=1
                                        ; =>  This Inner Loop Header: Depth=2
	v_add_u32_e32 v20, s38, v102
	v_min_u32_e32 v82, s28, v20
	v_add_u32_e32 v115, 0x200, v20
	v_lshl_add_u64 v[0:1], v[82:83], 1, v[84:85]
	v_min_u32_e32 v82, s28, v115
	v_add_u32_e32 v111, 0x400, v20
	v_lshl_add_u64 v[2:3], v[82:83], 1, v[84:85]
	;; [unrolled: 3-line block ×3, first 2 shown]
	v_min_u32_e32 v82, s28, v110
	global_load_dwordx4 v[12:15], v[0:1], off nt
	global_load_dwordx4 v[8:11], v[2:3], off nt
	v_lshl_add_u64 v[18:19], v[82:83], 1, v[84:85]
	global_load_dwordx4 v[4:7], v[16:17], off nt
	global_load_dwordx4 v[0:3], v[18:19], off nt
	v_cmp_gt_u32_e32 vcc, s4, v20
	v_mov_b32_e32 v44, 0
	v_mov_b32_e32 v45, 0
	;; [unrolled: 1-line block ×80, first 2 shown]
	s_and_saveexec_b64 s[20:21], vcc
	s_cbranch_execz .LBB143_13
; %bb.15:                               ;   in Loop: Header=BB143_14 Depth=2
	v_add_u32_e32 v82, s6, v109
	v_add_u32_e32 v113, s37, v109
	ds_read_b128 v[32:35], v82
	ds_read2_b32 v[90:91], v113 offset1:1
	v_add_u32_e32 v114, s36, v109
	ds_read2_b32 v[92:93], v113 offset0:2 offset1:3
	ds_read_b128 v[28:31], v114
	v_add_u32_e32 v112, s35, v109
	ds_read_b128 v[44:47], v109
	ds_read2_b64 v[24:27], v112 offset1:1
	v_cmp_gt_u32_e32 vcc, s4, v115
	v_mov_b32_e32 v19, 0
	v_mov_b32_e32 v18, 0
	;; [unrolled: 1-line block ×60, first 2 shown]
	s_and_saveexec_b64 s[22:23], vcc
	s_cbranch_execz .LBB143_12
; %bb.16:                               ;   in Loop: Header=BB143_14 Depth=2
	v_add_u32_e32 v16, 0x400, v113
	v_add_u32_e32 v17, 0x408, v113
	ds_read_b128 v[72:75], v109 offset:1024
	ds_read2_b32 v[98:99], v17 offset1:1
	ds_read_b128 v[68:71], v82 offset:1024
	ds_read_b128 v[56:59], v114 offset:1024
	ds_read2_b32 v[100:101], v16 offset1:1
	ds_read2_b64 v[52:55], v112 offset0:128 offset1:129
	v_cmp_gt_u32_e32 vcc, s4, v111
	v_mov_b32_e32 v19, 0
	v_mov_b32_e32 v18, 0
	;; [unrolled: 1-line block ×40, first 2 shown]
	s_and_saveexec_b64 s[24:25], vcc
	s_cbranch_execz .LBB143_11
; %bb.17:                               ;   in Loop: Header=BB143_14 Depth=2
	v_add_u32_e32 v16, 0x800, v113
	v_add_u32_e32 v17, 0x808, v113
	ds_read2_b32 v[96:97], v16 offset1:1
	ds_read2_b32 v[94:95], v17 offset1:1
	ds_read_b128 v[64:67], v82 offset:2048
	ds_read_b128 v[48:51], v114 offset:2048
	v_add_u32_e32 v16, 0x800, v112
	ds_read_b128 v[76:79], v109 offset:2048
	ds_read2_b64 v[40:43], v16 offset1:1
	v_cmp_gt_u32_e32 vcc, s4, v110
	v_mov_b32_e32 v19, 0
	v_mov_b32_e32 v18, 0
	;; [unrolled: 1-line block ×20, first 2 shown]
	s_and_saveexec_b64 s[26:27], vcc
	s_cbranch_execz .LBB143_10
; %bb.18:                               ;   in Loop: Header=BB143_14 Depth=2
	v_add_u32_e32 v16, 0xc00, v113
	v_add_u32_e32 v17, 0xc08, v113
	ds_read2_b32 v[88:89], v16 offset1:1
	ds_read2_b32 v[86:87], v17 offset1:1
	ds_read_b128 v[36:39], v82 offset:3072
	ds_read_b128 v[20:23], v114 offset:3072
	v_add_u32_e32 v16, 0xc00, v112
	ds_read_b128 v[60:63], v109 offset:3072
	ds_read2_b64 v[16:19], v16 offset1:1
	s_branch .LBB143_10
.LBB143_19:                             ;   in Loop: Header=BB143_8 Depth=1
	; sched_barrier mask(0x00000000)
	v_cvt_i32_f32_e32 v0, v108
	v_cvt_i32_f32_e32 v1, v107
	;; [unrolled: 1-line block ×4, first 2 shown]
	v_cvt_f32_i32_dpp v0, v0 row_shr:8 row_mask:0xf bank_mask:0xf bound_ctrl:1
	v_cvt_f32_i32_dpp v1, v1 row_shr:8 row_mask:0xf bank_mask:0xf bound_ctrl:1
	;; [unrolled: 1-line block ×3, first 2 shown]
	v_cvt_i32_f32_e32 v4, v81
	v_add_f32_e32 v0, v108, v0
	v_cvt_i32_f32_e32 v5, v0
	v_add_f32_e32 v1, v107, v1
	;; [unrolled: 2-line block ×3, first 2 shown]
	v_cvt_f32_i32_dpp v5, v5 row_shr:4 row_mask:0xf bank_mask:0xf bound_ctrl:1
	v_cvt_i32_f32_e32 v7, v2
	v_cvt_f32_i32_dpp v6, v6 row_shr:4 row_mask:0xf bank_mask:0xf bound_ctrl:1
	v_cvt_f32_i32_dpp v3, v3 row_shr:8 row_mask:0xf bank_mask:0xf bound_ctrl:1
	v_add_f32_e32 v0, v0, v5
	v_cvt_i32_f32_e32 v5, v0
	v_add_f32_e32 v1, v1, v6
	v_cvt_i32_f32_e32 v6, v1
	v_cvt_f32_i32_dpp v4, v4 row_shr:8 row_mask:0xf bank_mask:0xf bound_ctrl:1
	v_cvt_f32_i32_dpp v5, v5 row_shr:2 row_mask:0xf bank_mask:0xf bound_ctrl:1
	v_cvt_f32_i32_dpp v7, v7 row_shr:4 row_mask:0xf bank_mask:0xf bound_ctrl:1
	v_cvt_f32_i32_dpp v6, v6 row_shr:2 row_mask:0xf bank_mask:0xf bound_ctrl:1
	v_add_f32_e32 v3, v105, v3
	v_add_f32_e32 v0, v0, v5
	v_cvt_i32_f32_e32 v5, v0
	v_add_f32_e32 v4, v81, v4
	v_cvt_i32_f32_e32 v8, v3
	v_cvt_i32_f32_e32 v9, v4
	v_cvt_f32_i32_dpp v5, v5 row_shr:1 row_mask:0xf bank_mask:0xf bound_ctrl:1
	v_add_f32_e32 v2, v2, v7
	v_add_f32_e32 v1, v1, v6
	v_cvt_i32_f32_e32 v7, v2
	v_add_f32_e32 v0, v0, v5
	v_cvt_i32_f32_e32 v5, v0
	v_cvt_i32_f32_e32 v6, v1
	v_cvt_f32_i32_dpp v8, v8 row_shr:4 row_mask:0xf bank_mask:0xf bound_ctrl:1
	v_cvt_f32_i32_dpp v9, v9 row_shr:4 row_mask:0xf bank_mask:0xf bound_ctrl:1
	v_cvt_f32_i32_dpp v5, v5 row_bcast:15 row_mask:0xf bank_mask:0xf bound_ctrl:1
	v_cvt_f32_i32_dpp v7, v7 row_shr:2 row_mask:0xf bank_mask:0xf bound_ctrl:1
	v_cvt_f32_i32_dpp v6, v6 row_shr:1 row_mask:0xf bank_mask:0xf bound_ctrl:1
	v_add_f32_e32 v3, v3, v8
	v_add_f32_e32 v0, v0, v5
	v_cvt_i32_f32_e32 v5, v0
	v_add_f32_e32 v4, v4, v9
	v_add_f32_e32 v2, v2, v7
	;; [unrolled: 1-line block ×3, first 2 shown]
	v_mov_b32_dpp v1, v5 row_bcast:31 row_mask:0xf bank_mask:0xf bound_ctrl:1
	v_cvt_i32_f32_e32 v5, v3
	v_cvt_i32_f32_e32 v8, v4
	;; [unrolled: 1-line block ×4, first 2 shown]
	v_cvt_f32_i32_dpp v5, v5 row_shr:2 row_mask:0xf bank_mask:0xf bound_ctrl:1
	v_cvt_f32_i32_dpp v8, v8 row_shr:2 row_mask:0xf bank_mask:0xf bound_ctrl:1
	;; [unrolled: 1-line block ×3, first 2 shown]
	v_cvt_f32_i32_dpp v9, v10 row_bcast:15 row_mask:0xf bank_mask:0xf bound_ctrl:1
	v_add_f32_e32 v3, v3, v5
	v_add_f32_e32 v4, v4, v8
	;; [unrolled: 1-line block ×3, first 2 shown]
	v_cvt_i32_f32_e32 v2, v3
	v_cvt_i32_f32_e32 v5, v4
	;; [unrolled: 1-line block ×3, first 2 shown]
	v_cvt_f32_i32_dpp v10, v2 row_shr:1 row_mask:0xf bank_mask:0xf bound_ctrl:1
	v_cvt_f32_i32_dpp v5, v5 row_shr:1 row_mask:0xf bank_mask:0xf bound_ctrl:1
	v_add_f32_e32 v2, v6, v9
	v_cvt_f32_i32_dpp v6, v8 row_bcast:15 row_mask:0xf bank_mask:0xf bound_ctrl:1
	v_add_f32_e32 v3, v3, v10
	v_add_f32_e32 v9, v4, v5
	v_cvt_i32_f32_e32 v8, v3
	v_cvt_i32_f32_e32 v5, v9
	v_add_f32_e32 v4, v7, v6
	v_cvt_i32_f32_e32 v10, v2
	v_cvt_f32_i32_dpp v8, v8 row_bcast:15 row_mask:0xf bank_mask:0xf bound_ctrl:1
	v_cvt_f32_i32_dpp v6, v5 row_bcast:15 row_mask:0xf bank_mask:0xf bound_ctrl:1
	v_cvt_i32_f32_e32 v7, v4
	v_add_f32_e32 v5, v3, v8
	v_add_f32_e32 v3, v9, v6
	v_cvt_i32_f32_e32 v11, v5
	v_cvt_i32_f32_e32 v6, v3
	v_mov_b32_dpp v9, v10 row_bcast:31 row_mask:0xf bank_mask:0xf bound_ctrl:1
	v_mov_b32_dpp v8, v7 row_bcast:31 row_mask:0xf bank_mask:0xf bound_ctrl:1
	;; [unrolled: 1-line block ×4, first 2 shown]
	s_and_saveexec_b64 s[20:21], s[0:1]
	s_cbranch_execz .LBB143_7
; %bb.20:                               ;   in Loop: Header=BB143_8 Depth=1
	s_and_b64 vcc, exec, s[18:19]
	s_cbranch_vccz .LBB143_22
; %bb.21:                               ;   in Loop: Header=BB143_8 Depth=1
	v_mul_hi_u32 v10, v80, v103
	v_mul_lo_u32 v10, v10, s8
	v_sub_u32_e32 v10, v80, v10
	v_subrev_u32_e32 v11, s8, v10
	v_cmp_le_u32_e32 vcc, s8, v10
	v_mov_b32_e32 v81, v83
	s_nop 0
	v_cndmask_b32_e32 v10, v10, v11, vcc
	v_subrev_u32_e32 v11, s8, v10
	v_cmp_le_u32_e32 vcc, s8, v10
	s_nop 1
	v_cndmask_b32_e32 v82, v10, v11, vcc
	v_add_u32_e32 v10, s30, v82
	v_mov_b32_e32 v11, v83
	v_lshl_add_u64 v[18:19], v[10:11], 1, s[10:11]
	v_add_u32_e32 v10, s31, v82
	v_lshl_add_u64 v[16:17], v[82:83], 1, s[10:11]
	v_lshl_add_u64 v[20:21], v[10:11], 1, s[10:11]
	v_add_u32_e32 v10, s33, v82
	v_add_u32_e32 v82, s34, v82
	v_lshl_add_u64 v[22:23], v[10:11], 1, s[10:11]
	v_lshl_add_u64 v[24:25], v[82:83], 1, s[10:11]
	global_load_ushort v14, v[16:17], off
	global_load_ushort v13, v[18:19], off
	;; [unrolled: 1-line block ×5, first 2 shown]
	s_cbranch_execnz .LBB143_6
	s_branch .LBB143_23
.LBB143_22:                             ;   in Loop: Header=BB143_8 Depth=1
                                        ; implicit-def: $vgpr10
                                        ; implicit-def: $vgpr11
                                        ; implicit-def: $vgpr12
                                        ; implicit-def: $vgpr13
                                        ; implicit-def: $vgpr14
.LBB143_23:                             ;   in Loop: Header=BB143_8 Depth=1
	v_mov_b32_e32 v81, v83
	s_waitcnt vmcnt(4)
	v_mov_b32_e32 v14, 0
	s_waitcnt vmcnt(3)
	;; [unrolled: 2-line block ×5, first 2 shown]
	v_mov_b32_e32 v10, 0
	s_branch .LBB143_6
.LBB143_24:
	s_endpgm
	.section	.rodata,"a",@progbits
	.p2align	6, 0x0
	.amdhsa_kernel _Z16wvSplitK_hf_sml_I6__halfLi64ELi1ELi16ELi8ELi4ELi5EEviiiiiiPKT_S3_S3_PS1_ii
		.amdhsa_group_segment_fixed_size 65536
		.amdhsa_private_segment_fixed_size 0
		.amdhsa_kernarg_size 64
		.amdhsa_user_sgpr_count 2
		.amdhsa_user_sgpr_dispatch_ptr 0
		.amdhsa_user_sgpr_queue_ptr 0
		.amdhsa_user_sgpr_kernarg_segment_ptr 1
		.amdhsa_user_sgpr_dispatch_id 0
		.amdhsa_user_sgpr_kernarg_preload_length 0
		.amdhsa_user_sgpr_kernarg_preload_offset 0
		.amdhsa_user_sgpr_private_segment_size 0
		.amdhsa_uses_dynamic_stack 0
		.amdhsa_enable_private_segment 0
		.amdhsa_system_sgpr_workgroup_id_x 1
		.amdhsa_system_sgpr_workgroup_id_y 0
		.amdhsa_system_sgpr_workgroup_id_z 0
		.amdhsa_system_sgpr_workgroup_info 0
		.amdhsa_system_vgpr_workitem_id 1
		.amdhsa_next_free_vgpr 116
		.amdhsa_next_free_sgpr 39
		.amdhsa_accum_offset 116
		.amdhsa_reserve_vcc 1
		.amdhsa_float_round_mode_32 0
		.amdhsa_float_round_mode_16_64 0
		.amdhsa_float_denorm_mode_32 3
		.amdhsa_float_denorm_mode_16_64 3
		.amdhsa_dx10_clamp 1
		.amdhsa_ieee_mode 1
		.amdhsa_fp16_overflow 0
		.amdhsa_tg_split 0
		.amdhsa_exception_fp_ieee_invalid_op 0
		.amdhsa_exception_fp_denorm_src 0
		.amdhsa_exception_fp_ieee_div_zero 0
		.amdhsa_exception_fp_ieee_overflow 0
		.amdhsa_exception_fp_ieee_underflow 0
		.amdhsa_exception_fp_ieee_inexact 0
		.amdhsa_exception_int_div_zero 0
	.end_amdhsa_kernel
	.section	.text._Z16wvSplitK_hf_sml_I6__halfLi64ELi1ELi16ELi8ELi4ELi5EEviiiiiiPKT_S3_S3_PS1_ii,"axG",@progbits,_Z16wvSplitK_hf_sml_I6__halfLi64ELi1ELi16ELi8ELi4ELi5EEviiiiiiPKT_S3_S3_PS1_ii,comdat
.Lfunc_end143:
	.size	_Z16wvSplitK_hf_sml_I6__halfLi64ELi1ELi16ELi8ELi4ELi5EEviiiiiiPKT_S3_S3_PS1_ii, .Lfunc_end143-_Z16wvSplitK_hf_sml_I6__halfLi64ELi1ELi16ELi8ELi4ELi5EEviiiiiiPKT_S3_S3_PS1_ii
                                        ; -- End function
	.section	.AMDGPU.csdata,"",@progbits
; Kernel info:
; codeLenInByte = 3572
; NumSgprs: 45
; NumVgprs: 116
; NumAgprs: 0
; TotalNumVgprs: 116
; ScratchSize: 0
; MemoryBound: 0
; FloatMode: 240
; IeeeMode: 1
; LDSByteSize: 65536 bytes/workgroup (compile time only)
; SGPRBlocks: 5
; VGPRBlocks: 14
; NumSGPRsForWavesPerEU: 45
; NumVGPRsForWavesPerEU: 116
; AccumOffset: 116
; Occupancy: 4
; WaveLimiterHint : 0
; COMPUTE_PGM_RSRC2:SCRATCH_EN: 0
; COMPUTE_PGM_RSRC2:USER_SGPR: 2
; COMPUTE_PGM_RSRC2:TRAP_HANDLER: 0
; COMPUTE_PGM_RSRC2:TGID_X_EN: 1
; COMPUTE_PGM_RSRC2:TGID_Y_EN: 0
; COMPUTE_PGM_RSRC2:TGID_Z_EN: 0
; COMPUTE_PGM_RSRC2:TIDIG_COMP_CNT: 1
; COMPUTE_PGM_RSRC3_GFX90A:ACCUM_OFFSET: 28
; COMPUTE_PGM_RSRC3_GFX90A:TG_SPLIT: 0
	.section	.text._Z12wvSplitK_hf_I6__halfLi64ELi1ELi16ELi8ELi4ELi5EEviiiiiiPKT_S3_S3_PS1_ii,"axG",@progbits,_Z12wvSplitK_hf_I6__halfLi64ELi1ELi16ELi8ELi4ELi5EEviiiiiiPKT_S3_S3_PS1_ii,comdat
	.protected	_Z12wvSplitK_hf_I6__halfLi64ELi1ELi16ELi8ELi4ELi5EEviiiiiiPKT_S3_S3_PS1_ii ; -- Begin function _Z12wvSplitK_hf_I6__halfLi64ELi1ELi16ELi8ELi4ELi5EEviiiiiiPKT_S3_S3_PS1_ii
	.globl	_Z12wvSplitK_hf_I6__halfLi64ELi1ELi16ELi8ELi4ELi5EEviiiiiiPKT_S3_S3_PS1_ii
	.p2align	8
	.type	_Z12wvSplitK_hf_I6__halfLi64ELi1ELi16ELi8ELi4ELi5EEviiiiiiPKT_S3_S3_PS1_ii,@function
_Z12wvSplitK_hf_I6__halfLi64ELi1ELi16ELi8ELi4ELi5EEviiiiiiPKT_S3_S3_PS1_ii: ; @_Z12wvSplitK_hf_I6__halfLi64ELi1ELi16ELi8ELi4ELi5EEviiiiiiPKT_S3_S3_PS1_ii
; %bb.0:
	s_load_dwordx2 s[4:5], s[0:1], 0x38
	s_load_dwordx4 s[8:11], s[0:1], 0x0
	s_load_dwordx2 s[16:17], s[0:1], 0x10
	v_bfe_u32 v3, v0, 10, 10
	v_mov_b32_e32 v99, 1
	s_waitcnt lgkmcnt(0)
	s_mul_i32 s2, s2, s4
	v_add_u32_e32 v96, s2, v3
	v_add_u32_e32 v1, 1, v96
	v_cmp_gt_u32_e32 vcc, s11, v96
	v_cmp_le_u32_e64 s[2:3], s11, v1
	s_and_b64 s[6:7], vcc, s[2:3]
	s_and_saveexec_b64 s[2:3], s[6:7]
; %bb.1:
	v_subrev_u32_e32 v1, s11, v96
	v_cmp_eq_u32_e32 vcc, -1, v1
	s_add_i32 s6, s11, -1
	v_mov_b32_e32 v96, s6
	v_cndmask_b32_e64 v99, 0, 1, vcc
; %bb.2:
	s_or_b64 exec, exec, s[2:3]
	s_load_dwordx4 s[12:15], s[0:1], 0x20
	v_and_b32_e32 v2, 0x3ff, v0
	v_lshlrev_b32_e32 v98, 3, v2
	s_mul_i32 s2, s10, 5
	v_lshl_add_u32 v4, v3, 9, v98
	s_min_u32 s20, s2, 0x8000
	v_cmp_gt_u32_e32 vcc, s20, v4
	s_and_saveexec_b64 s[2:3], vcc
	s_cbranch_execz .LBB144_5
; %bb.3:
	v_mov_b32_e32 v7, 0
	v_lshlrev_b32_e32 v6, 10, v3
	v_lshlrev_b32_e32 v8, 4, v2
	v_mov_b32_e32 v9, v7
	v_lshl_add_u64 v[0:1], v[6:7], 0, v[8:9]
	s_waitcnt lgkmcnt(0)
	v_lshl_add_u64 v[0:1], s[12:13], 0, v[0:1]
	v_add_u32_e32 v5, v6, v8
	s_mov_b64 s[6:7], 0
	s_mov_b64 s[18:19], 0x4000
.LBB144_4:                              ; =>This Inner Loop Header: Depth=1
	global_load_dwordx4 v[6:9], v[0:1], off
	v_add_u32_e32 v4, 0x2000, v4
	v_cmp_le_u32_e32 vcc, s20, v4
	v_lshl_add_u64 v[0:1], v[0:1], 0, s[18:19]
	s_or_b64 s[6:7], vcc, s[6:7]
	s_waitcnt vmcnt(0)
	ds_write_b128 v5, v[6:9]
	v_add_u32_e32 v5, 0x4000, v5
	s_andn2_b64 exec, exec, s[6:7]
	s_cbranch_execnz .LBB144_4
.LBB144_5:
	s_or_b64 exec, exec, s[2:3]
	v_cmp_gt_u32_e32 vcc, s4, v3
	v_cmp_gt_u32_e64 s[2:3], s11, v96
	s_and_b64 s[2:3], vcc, s[2:3]
	s_waitcnt lgkmcnt(0)
	s_barrier
	s_and_saveexec_b64 s[6:7], s[2:3]
	s_cbranch_execz .LBB144_104
; %bb.6:
	s_cmp_lg_u32 s8, 0
	s_cselect_b64 s[2:3], -1, 0
	s_add_i32 s33, s8, -8
	s_add_i32 s36, s11, -1
	s_cmp_lg_u64 s[14:15], 0
	s_cselect_b64 s[24:25], -1, 0
	s_mul_i32 s37, s5, s4
	s_abs_i32 s4, s17
	v_cvt_f32_u32_e32 v0, s16
	v_cvt_f32_u32_e32 v1, s4
	s_sub_i32 s5, 0, s16
	s_sub_i32 s38, s37, s11
	v_rcp_iflag_f32_e32 v0, v0
	v_rcp_iflag_f32_e32 v1, v1
	s_add_i32 s38, s38, 2
	s_lshl_b32 s39, s10, 1
	v_mul_f32_e32 v0, 0x4f7ffffe, v0
	v_mul_f32_e32 v1, 0x4f7ffffe, v1
	v_cvt_u32_f32_e32 v0, v0
	v_cvt_u32_f32_e32 v1, v1
	s_lshl_b32 s17, s10, 2
	s_load_dwordx2 s[18:19], s[0:1], 0x18
	s_load_dwordx2 s[20:21], s[0:1], 0x30
	v_mul_lo_u32 v3, s5, v0
	s_sub_i32 s5, 0, s4
	v_readfirstlane_b32 s6, v1
	s_mul_i32 s5, s5, s6
	s_mul_hi_u32 s5, s6, s5
	s_add_i32 s6, s6, s5
	s_sub_i32 s5, 1, s4
	s_cmp_lt_u32 s4, 2
	s_cselect_b32 s5, s5, 1
	s_sub_i32 s7, s5, s4
	s_cmp_ge_u32 s5, s4
	s_cselect_b32 s40, s7, s5
	s_lshr_b32 s5, s6, 31
	s_mul_i32 s5, s5, s4
	s_sub_i32 s5, 2, s5
	s_sub_i32 s7, s5, s4
	s_cmp_ge_u32 s5, s4
	s_cselect_b32 s5, s7, s5
	s_sub_i32 s7, s5, s4
	s_cmp_ge_u32 s5, s4
	s_cselect_b32 s41, s7, s5
	s_mul_hi_u32 s5, s6, 3
	s_mul_i32 s5, s5, s4
	s_sub_i32 s5, 3, s5
	s_sub_i32 s7, s5, s4
	s_cmp_ge_u32 s5, s4
	s_cselect_b32 s5, s7, s5
	s_sub_i32 s7, s5, s4
	s_cmp_ge_u32 s5, s4
	s_cselect_b32 s42, s7, s5
	s_lshr_b32 s5, s6, 30
	s_mul_i32 s5, s5, s4
	s_sub_i32 s5, 4, s5
	s_sub_i32 s6, s5, s4
	s_cmp_ge_u32 s5, s4
	s_cselect_b32 s5, s6, s5
	s_sub_i32 s6, s5, s4
	v_mul_hi_u32 v3, v0, v3
	s_cmp_ge_u32 s5, s4
	v_add_u32_e32 v118, v0, v3
	s_cselect_b32 s43, s6, s5
	v_mad_u64_u32 v[102:103], s[4:5], s10, 3, v[98:99]
	v_cndmask_b32_e64 v0, 0, 1, s[2:3]
	v_cmp_eq_u32_e64 s[0:1], 63, v2
	s_mov_b64 s[22:23], 0
	v_mov_b32_e32 v101, 0
	s_mul_i32 s40, s40, s16
	s_mul_i32 s41, s41, s16
	;; [unrolled: 1-line block ×4, first 2 shown]
	v_lshlrev_b32_e32 v119, 4, v2
	s_lshl_b32 s44, s10, 3
	s_mul_i32 s45, s10, 6
	v_add_u32_e32 v120, s39, v98
	v_add_u32_e32 v103, s17, v98
	;; [unrolled: 1-line block ×3, first 2 shown]
	v_cmp_ne_u32_e64 s[2:3], 1, v0
	s_movk_i32 s10, 0x7fff
	s_mov_b32 s26, 0
	s_branch .LBB144_8
.LBB144_7:                              ;   in Loop: Header=BB144_8 Depth=1
	s_or_b64 exec, exec, s[4:5]
	v_add_u32_e32 v0, s37, v96
	v_add_u32_e32 v1, 1, v0
	v_cmp_le_u32_e32 vcc, s11, v0
	v_cmp_gt_u32_e64 s[4:5], s11, v1
	v_add_u32_e32 v1, s38, v96
	v_cmp_eq_u32_e64 s[6:7], 1, v1
	v_mov_b32_e32 v1, s36
	s_or_b64 vcc, vcc, s[4:5]
	v_cndmask_b32_e32 v96, v1, v0, vcc
	v_cmp_le_u32_e64 s[4:5], s11, v96
	s_or_b64 vcc, vcc, s[6:7]
	s_or_b64 s[22:23], s[4:5], s[22:23]
	v_cndmask_b32_e32 v99, 0, v99, vcc
	s_andn2_b64 exec, exec, s[22:23]
	s_cbranch_execz .LBB144_104
.LBB144_8:                              ; =>This Loop Header: Depth=1
                                        ;     Child Loop BB144_15 Depth 2
	s_and_b64 vcc, exec, s[2:3]
	v_mov_b32_e32 v125, v101
	v_mov_b32_e32 v124, v101
	;; [unrolled: 1-line block ×5, first 2 shown]
	s_cbranch_vccnz .LBB144_99
; %bb.9:                                ;   in Loop: Header=BB144_8 Depth=1
	v_min_u32_e32 v0, s36, v96
	v_mul_lo_u32 v100, v0, s9
	s_waitcnt lgkmcnt(0)
	v_lshl_add_u64 v[104:105], v[100:101], 1, s[18:19]
	v_mov_b32_e32 v97, 0
	v_mov_b32_e32 v126, v119
	;; [unrolled: 1-line block ×6, first 2 shown]
	s_mov_b32 s46, s26
	s_branch .LBB144_15
.LBB144_10:                             ;   in Loop: Header=BB144_15 Depth=2
	s_or_b64 exec, exec, s[34:35]
.LBB144_11:                             ;   in Loop: Header=BB144_15 Depth=2
	s_or_b64 exec, exec, s[30:31]
.LBB144_12:                             ;   in Loop: Header=BB144_15 Depth=2
	s_or_b64 exec, exec, s[28:29]
.LBB144_13:                             ;   in Loop: Header=BB144_15 Depth=2
	s_or_b64 exec, exec, s[6:7]
.LBB144_14:                             ;   in Loop: Header=BB144_15 Depth=2
	s_or_b64 exec, exec, s[4:5]
	s_waitcnt vmcnt(0) lgkmcnt(0)
	;;#ASMSTART
	v_dot2c_f32_f16 v125, v32, v12
	;;#ASMEND
	;;#ASMSTART
	v_dot2c_f32_f16 v124, v28, v12
	;;#ASMEND
	;; [unrolled: 3-line block ×5, first 2 shown]
	s_addk_i32 s46, 0x800
	;;#ASMSTART
	v_dot2c_f32_f16 v125, v33, v13
	;;#ASMEND
	;;#ASMSTART
	v_dot2c_f32_f16 v124, v29, v13
	;;#ASMEND
	;; [unrolled: 3-line block ×5, first 2 shown]
	s_cmp_ge_u32 s46, s8
	;;#ASMSTART
	v_dot2c_f32_f16 v125, v34, v14
	;;#ASMEND
	;;#ASMSTART
	v_dot2c_f32_f16 v124, v30, v14
	;;#ASMEND
	;; [unrolled: 3-line block ×5, first 2 shown]
	v_add_u32_e32 v126, 0x1000, v126
	;;#ASMSTART
	v_dot2c_f32_f16 v125, v35, v15
	;;#ASMEND
	;;#ASMSTART
	v_dot2c_f32_f16 v124, v31, v15
	;;#ASMEND
	;;#ASMSTART
	v_dot2c_f32_f16 v123, v23, v15
	;;#ASMEND
	;;#ASMSTART
	v_dot2c_f32_f16 v122, v19, v15
	;;#ASMEND
	;;#ASMSTART
	v_dot2c_f32_f16 v97, v27, v15
	;;#ASMEND
	s_nop 0
	;;#ASMSTART
	v_dot2c_f32_f16 v125, v52, v4
	;;#ASMEND
	;;#ASMSTART
	v_dot2c_f32_f16 v124, v48, v4
	;;#ASMEND
	;;#ASMSTART
	v_dot2c_f32_f16 v123, v44, v4
	;;#ASMEND
	;;#ASMSTART
	v_dot2c_f32_f16 v122, v36, v4
	;;#ASMEND
	;;#ASMSTART
	v_dot2c_f32_f16 v97, v40, v4
	;;#ASMEND
	s_nop 0
	;; [unrolled: 16-line block ×12, first 2 shown]
	;;#ASMSTART
	v_dot2c_f32_f16 v125, v95, v3
	;;#ASMEND
	;;#ASMSTART
	v_dot2c_f32_f16 v124, v87, v3
	;;#ASMEND
	;; [unrolled: 3-line block ×5, first 2 shown]
	s_cbranch_scc1 .LBB144_99
.LBB144_15:                             ;   Parent Loop BB144_8 Depth=1
                                        ; =>  This Inner Loop Header: Depth=2
	v_add_u32_e32 v108, s46, v98
	v_min_u32_e32 v100, s33, v108
	v_add_u32_e32 v116, 0x200, v108
	v_lshl_add_u64 v[0:1], v[100:101], 1, v[104:105]
	v_min_u32_e32 v100, s33, v116
	v_add_u32_e32 v114, 0x400, v108
	v_lshl_add_u64 v[2:3], v[100:101], 1, v[104:105]
	;; [unrolled: 3-line block ×3, first 2 shown]
	v_min_u32_e32 v100, s33, v106
	global_load_dwordx4 v[12:15], v[0:1], off nt
	global_load_dwordx4 v[4:7], v[2:3], off nt
	v_lshl_add_u64 v[18:19], v[100:101], 1, v[104:105]
	global_load_dwordx4 v[8:11], v[16:17], off nt
	global_load_dwordx4 v[0:3], v[18:19], off nt
	s_mov_b32 s27, s26
	v_cmp_gt_u32_e32 vcc, s8, v108
	v_mov_b64_e32 v[78:79], s[26:27]
	v_mov_b32_e32 v83, 0
	v_mov_b32_e32 v82, 0
	v_mov_b32_e32 v81, 0
	v_mov_b32_e32 v80, 0
	v_mov_b64_e32 v[76:77], s[26:27]
	v_mov_b64_e32 v[90:91], s[26:27]
	;; [unrolled: 1-line block ×37, first 2 shown]
	s_and_saveexec_b64 s[4:5], vcc
	s_cbranch_execz .LBB144_14
; %bb.16:                               ;   in Loop: Header=BB144_15 Depth=2
	v_cmp_lt_u32_e32 vcc, s10, v108
                                        ; implicit-def: $vgpr34_vgpr35
	s_and_saveexec_b64 s[6:7], vcc
	s_xor_b64 s[6:7], exec, s[6:7]
	s_cbranch_execz .LBB144_18
; %bb.17:                               ;   in Loop: Header=BB144_15 Depth=2
	v_mov_b32_e32 v109, v101
	v_lshl_add_u64 v[16:17], v[108:109], 1, s[12:13]
	global_load_dwordx4 v[32:35], v[16:17], off
.LBB144_18:                             ;   in Loop: Header=BB144_15 Depth=2
	s_andn2_saveexec_b64 s[6:7], s[6:7]
	s_cbranch_execz .LBB144_20
; %bb.19:                               ;   in Loop: Header=BB144_15 Depth=2
	s_waitcnt vmcnt(0)
	ds_read_b128 v[32:35], v126
.LBB144_20:                             ;   in Loop: Header=BB144_15 Depth=2
	s_or_b64 exec, exec, s[6:7]
	v_add_u32_e32 v100, s46, v121
	v_cmp_lt_u32_e32 vcc, s10, v100
                                        ; implicit-def: $vgpr30_vgpr31
	s_and_saveexec_b64 s[6:7], vcc
	s_xor_b64 s[6:7], exec, s[6:7]
	s_cbranch_execz .LBB144_22
; %bb.21:                               ;   in Loop: Header=BB144_15 Depth=2
	v_lshl_add_u64 v[16:17], v[100:101], 1, s[12:13]
	global_load_dwordx4 v[28:31], v[16:17], off
.LBB144_22:                             ;   in Loop: Header=BB144_15 Depth=2
	s_andn2_saveexec_b64 s[6:7], s[6:7]
	s_cbranch_execz .LBB144_24
; %bb.23:                               ;   in Loop: Header=BB144_15 Depth=2
	v_add_u32_e32 v16, s39, v126
	s_waitcnt vmcnt(0)
	ds_read_b128 v[28:31], v16
.LBB144_24:                             ;   in Loop: Header=BB144_15 Depth=2
	s_or_b64 exec, exec, s[6:7]
	v_add_u32_e32 v112, s46, v120
	v_cmp_lt_u32_e32 vcc, s10, v112
                                        ; implicit-def: $vgpr22_vgpr23
	s_and_saveexec_b64 s[6:7], vcc
	s_xor_b64 s[6:7], exec, s[6:7]
	s_cbranch_execz .LBB144_26
; %bb.25:                               ;   in Loop: Header=BB144_15 Depth=2
	v_mov_b32_e32 v113, v101
	v_lshl_add_u64 v[16:17], v[112:113], 1, s[12:13]
	global_load_dwordx4 v[20:23], v[16:17], off
.LBB144_26:                             ;   in Loop: Header=BB144_15 Depth=2
	s_andn2_saveexec_b64 s[6:7], s[6:7]
	s_cbranch_execz .LBB144_28
; %bb.27:                               ;   in Loop: Header=BB144_15 Depth=2
	v_add_u32_e32 v16, s17, v126
	s_waitcnt vmcnt(0)
	ds_read2_b32 v[20:21], v16 offset1:1
	ds_read2_b32 v[22:23], v16 offset0:2 offset1:3
.LBB144_28:                             ;   in Loop: Header=BB144_15 Depth=2
	s_or_b64 exec, exec, s[6:7]
	v_add_u32_e32 v110, s46, v102
	v_cmp_lt_u32_e32 vcc, s10, v110
                                        ; implicit-def: $vgpr18_vgpr19
	s_and_saveexec_b64 s[6:7], vcc
	s_xor_b64 s[6:7], exec, s[6:7]
	s_cbranch_execz .LBB144_30
; %bb.29:                               ;   in Loop: Header=BB144_15 Depth=2
	v_mov_b32_e32 v111, v101
	v_lshl_add_u64 v[16:17], v[110:111], 1, s[12:13]
	global_load_dwordx4 v[16:19], v[16:17], off
.LBB144_30:                             ;   in Loop: Header=BB144_15 Depth=2
	s_andn2_saveexec_b64 s[6:7], s[6:7]
	s_cbranch_execz .LBB144_32
; %bb.31:                               ;   in Loop: Header=BB144_15 Depth=2
	s_waitcnt vmcnt(0)
	v_add_u32_e32 v16, s45, v126
	ds_read_b128 v[16:19], v16
.LBB144_32:                             ;   in Loop: Header=BB144_15 Depth=2
	s_or_b64 exec, exec, s[6:7]
	v_add_u32_e32 v108, s46, v103
	v_cmp_lt_u32_e32 vcc, s10, v108
                                        ; implicit-def: $vgpr26_vgpr27
	s_and_saveexec_b64 s[6:7], vcc
	s_xor_b64 s[6:7], exec, s[6:7]
	s_cbranch_execz .LBB144_34
; %bb.33:                               ;   in Loop: Header=BB144_15 Depth=2
	v_mov_b32_e32 v109, v101
	v_lshl_add_u64 v[24:25], v[108:109], 1, s[12:13]
	global_load_dwordx4 v[24:27], v[24:25], off
.LBB144_34:                             ;   in Loop: Header=BB144_15 Depth=2
	s_andn2_saveexec_b64 s[6:7], s[6:7]
	s_cbranch_execz .LBB144_36
; %bb.35:                               ;   in Loop: Header=BB144_15 Depth=2
	s_waitcnt vmcnt(0)
	v_add_u32_e32 v24, s44, v126
	ds_read2_b64 v[24:27], v24 offset1:1
.LBB144_36:                             ;   in Loop: Header=BB144_15 Depth=2
	s_or_b64 exec, exec, s[6:7]
	s_mov_b32 s27, s26
	v_cmp_gt_u32_e32 vcc, s8, v116
	v_mov_b32_e32 v83, 0
	v_mov_b64_e32 v[78:79], s[26:27]
	v_mov_b32_e32 v82, 0
	v_mov_b32_e32 v81, 0
	;; [unrolled: 1-line block ×3, first 2 shown]
	v_mov_b64_e32 v[76:77], s[26:27]
	v_mov_b64_e32 v[90:91], s[26:27]
	;; [unrolled: 1-line block ×27, first 2 shown]
	s_and_saveexec_b64 s[6:7], vcc
	s_cbranch_execz .LBB144_13
; %bb.37:                               ;   in Loop: Header=BB144_15 Depth=2
	v_cmp_lt_u32_e32 vcc, s10, v116
                                        ; implicit-def: $vgpr54_vgpr55
	s_and_saveexec_b64 s[28:29], vcc
	s_xor_b64 s[28:29], exec, s[28:29]
	s_cbranch_execz .LBB144_39
; %bb.38:                               ;   in Loop: Header=BB144_15 Depth=2
	v_mov_b32_e32 v117, v101
	v_lshl_add_u64 v[36:37], v[116:117], 1, s[12:13]
	global_load_dwordx4 v[52:55], v[36:37], off
.LBB144_39:                             ;   in Loop: Header=BB144_15 Depth=2
	s_andn2_saveexec_b64 s[28:29], s[28:29]
	s_cbranch_execz .LBB144_41
; %bb.40:                               ;   in Loop: Header=BB144_15 Depth=2
	s_waitcnt vmcnt(0)
	ds_read_b128 v[52:55], v126 offset:1024
.LBB144_41:                             ;   in Loop: Header=BB144_15 Depth=2
	s_or_b64 exec, exec, s[28:29]
	v_add_u32_e32 v36, 0x200, v100
	v_cmp_lt_u32_e32 vcc, s10, v36
                                        ; implicit-def: $vgpr50_vgpr51
	s_and_saveexec_b64 s[28:29], vcc
	s_xor_b64 s[28:29], exec, s[28:29]
	s_cbranch_execz .LBB144_43
; %bb.42:                               ;   in Loop: Header=BB144_15 Depth=2
	v_mov_b32_e32 v37, v101
	v_lshl_add_u64 v[36:37], v[36:37], 1, s[12:13]
	global_load_dwordx4 v[48:51], v[36:37], off
.LBB144_43:                             ;   in Loop: Header=BB144_15 Depth=2
	s_andn2_saveexec_b64 s[28:29], s[28:29]
	s_cbranch_execz .LBB144_45
; %bb.44:                               ;   in Loop: Header=BB144_15 Depth=2
	v_add_u32_e32 v36, s39, v126
	s_waitcnt vmcnt(0)
	ds_read_b128 v[48:51], v36 offset:1024
.LBB144_45:                             ;   in Loop: Header=BB144_15 Depth=2
	s_or_b64 exec, exec, s[28:29]
	v_add_u32_e32 v36, 0x200, v112
	v_cmp_lt_u32_e32 vcc, s10, v36
                                        ; implicit-def: $vgpr46_vgpr47
	s_and_saveexec_b64 s[28:29], vcc
	s_xor_b64 s[28:29], exec, s[28:29]
	s_cbranch_execz .LBB144_47
; %bb.46:                               ;   in Loop: Header=BB144_15 Depth=2
	v_mov_b32_e32 v37, v101
	v_lshl_add_u64 v[36:37], v[36:37], 1, s[12:13]
	global_load_dwordx4 v[44:47], v[36:37], off
.LBB144_47:                             ;   in Loop: Header=BB144_15 Depth=2
	s_andn2_saveexec_b64 s[28:29], s[28:29]
	s_cbranch_execz .LBB144_49
; %bb.48:                               ;   in Loop: Header=BB144_15 Depth=2
	v_add_u32_e32 v36, s17, v126
	v_add_u32_e32 v37, 0x400, v36
	;; [unrolled: 1-line block ×3, first 2 shown]
	s_waitcnt vmcnt(0)
	ds_read2_b32 v[44:45], v37 offset1:1
	ds_read2_b32 v[46:47], v36 offset1:1
.LBB144_49:                             ;   in Loop: Header=BB144_15 Depth=2
	s_or_b64 exec, exec, s[28:29]
	v_add_u32_e32 v36, 0x200, v110
	v_cmp_lt_u32_e32 vcc, s10, v36
                                        ; implicit-def: $vgpr38_vgpr39
	s_and_saveexec_b64 s[28:29], vcc
	s_xor_b64 s[28:29], exec, s[28:29]
	s_cbranch_execz .LBB144_51
; %bb.50:                               ;   in Loop: Header=BB144_15 Depth=2
	v_mov_b32_e32 v37, v101
	v_lshl_add_u64 v[36:37], v[36:37], 1, s[12:13]
	global_load_dwordx4 v[36:39], v[36:37], off
.LBB144_51:                             ;   in Loop: Header=BB144_15 Depth=2
	s_andn2_saveexec_b64 s[28:29], s[28:29]
	s_cbranch_execz .LBB144_53
; %bb.52:                               ;   in Loop: Header=BB144_15 Depth=2
	s_waitcnt vmcnt(0)
	v_add_u32_e32 v36, s45, v126
	ds_read_b128 v[36:39], v36 offset:1024
.LBB144_53:                             ;   in Loop: Header=BB144_15 Depth=2
	s_or_b64 exec, exec, s[28:29]
	v_add_u32_e32 v40, 0x200, v108
	v_cmp_lt_u32_e32 vcc, s10, v40
                                        ; implicit-def: $vgpr42_vgpr43
	s_and_saveexec_b64 s[28:29], vcc
	s_xor_b64 s[28:29], exec, s[28:29]
	s_cbranch_execz .LBB144_55
; %bb.54:                               ;   in Loop: Header=BB144_15 Depth=2
	v_mov_b32_e32 v41, v101
	v_lshl_add_u64 v[40:41], v[40:41], 1, s[12:13]
	global_load_dwordx4 v[40:43], v[40:41], off
.LBB144_55:                             ;   in Loop: Header=BB144_15 Depth=2
	s_andn2_saveexec_b64 s[28:29], s[28:29]
	s_cbranch_execz .LBB144_57
; %bb.56:                               ;   in Loop: Header=BB144_15 Depth=2
	s_waitcnt vmcnt(0)
	v_add_u32_e32 v40, s44, v126
	ds_read2_b64 v[40:43], v40 offset0:128 offset1:129
.LBB144_57:                             ;   in Loop: Header=BB144_15 Depth=2
	s_or_b64 exec, exec, s[28:29]
	s_mov_b32 s27, s26
	v_cmp_gt_u32_e32 vcc, s8, v114
	v_mov_b32_e32 v83, 0
	v_mov_b64_e32 v[78:79], s[26:27]
	v_mov_b32_e32 v82, 0
	v_mov_b32_e32 v81, 0
	;; [unrolled: 1-line block ×3, first 2 shown]
	v_mov_b64_e32 v[76:77], s[26:27]
	v_mov_b64_e32 v[90:91], s[26:27]
	;; [unrolled: 1-line block ×17, first 2 shown]
	s_and_saveexec_b64 s[28:29], vcc
	s_cbranch_execz .LBB144_12
; %bb.58:                               ;   in Loop: Header=BB144_15 Depth=2
	v_cmp_lt_u32_e32 vcc, s10, v114
                                        ; implicit-def: $vgpr74_vgpr75
	s_and_saveexec_b64 s[30:31], vcc
	s_xor_b64 s[30:31], exec, s[30:31]
	s_cbranch_execz .LBB144_60
; %bb.59:                               ;   in Loop: Header=BB144_15 Depth=2
	v_mov_b32_e32 v115, v101
	v_lshl_add_u64 v[56:57], v[114:115], 1, s[12:13]
	global_load_dwordx4 v[72:75], v[56:57], off
.LBB144_60:                             ;   in Loop: Header=BB144_15 Depth=2
	s_andn2_saveexec_b64 s[30:31], s[30:31]
	s_cbranch_execz .LBB144_62
; %bb.61:                               ;   in Loop: Header=BB144_15 Depth=2
	s_waitcnt vmcnt(0)
	ds_read_b128 v[72:75], v126 offset:2048
.LBB144_62:                             ;   in Loop: Header=BB144_15 Depth=2
	s_or_b64 exec, exec, s[30:31]
	v_add_u32_e32 v56, 0x400, v100
	v_cmp_lt_u32_e32 vcc, s10, v56
                                        ; implicit-def: $vgpr66_vgpr67
	s_and_saveexec_b64 s[30:31], vcc
	s_xor_b64 s[30:31], exec, s[30:31]
	s_cbranch_execz .LBB144_64
; %bb.63:                               ;   in Loop: Header=BB144_15 Depth=2
	v_mov_b32_e32 v57, v101
	v_lshl_add_u64 v[56:57], v[56:57], 1, s[12:13]
	global_load_dwordx4 v[64:67], v[56:57], off
.LBB144_64:                             ;   in Loop: Header=BB144_15 Depth=2
	s_andn2_saveexec_b64 s[30:31], s[30:31]
	s_cbranch_execz .LBB144_66
; %bb.65:                               ;   in Loop: Header=BB144_15 Depth=2
	v_add_u32_e32 v56, s39, v126
	s_waitcnt vmcnt(0)
	ds_read_b128 v[64:67], v56 offset:2048
.LBB144_66:                             ;   in Loop: Header=BB144_15 Depth=2
	s_or_b64 exec, exec, s[30:31]
	v_add_u32_e32 v56, 0x400, v112
	v_cmp_lt_u32_e32 vcc, s10, v56
                                        ; implicit-def: $vgpr70_vgpr71
	s_and_saveexec_b64 s[30:31], vcc
	s_xor_b64 s[30:31], exec, s[30:31]
	s_cbranch_execz .LBB144_68
; %bb.67:                               ;   in Loop: Header=BB144_15 Depth=2
	v_mov_b32_e32 v57, v101
	v_lshl_add_u64 v[56:57], v[56:57], 1, s[12:13]
	global_load_dwordx4 v[68:71], v[56:57], off
.LBB144_68:                             ;   in Loop: Header=BB144_15 Depth=2
	s_andn2_saveexec_b64 s[30:31], s[30:31]
	s_cbranch_execz .LBB144_70
; %bb.69:                               ;   in Loop: Header=BB144_15 Depth=2
	v_add_u32_e32 v56, s17, v126
	v_add_u32_e32 v57, 0x800, v56
	;; [unrolled: 1-line block ×3, first 2 shown]
	s_waitcnt vmcnt(0)
	ds_read2_b32 v[68:69], v57 offset1:1
	ds_read2_b32 v[70:71], v56 offset1:1
.LBB144_70:                             ;   in Loop: Header=BB144_15 Depth=2
	s_or_b64 exec, exec, s[30:31]
	v_add_u32_e32 v56, 0x400, v110
	v_cmp_lt_u32_e32 vcc, s10, v56
                                        ; implicit-def: $vgpr58_vgpr59
	s_and_saveexec_b64 s[30:31], vcc
	s_xor_b64 s[30:31], exec, s[30:31]
	s_cbranch_execz .LBB144_72
; %bb.71:                               ;   in Loop: Header=BB144_15 Depth=2
	v_mov_b32_e32 v57, v101
	v_lshl_add_u64 v[56:57], v[56:57], 1, s[12:13]
	global_load_dwordx4 v[56:59], v[56:57], off
.LBB144_72:                             ;   in Loop: Header=BB144_15 Depth=2
	s_andn2_saveexec_b64 s[30:31], s[30:31]
	s_cbranch_execz .LBB144_74
; %bb.73:                               ;   in Loop: Header=BB144_15 Depth=2
	s_waitcnt vmcnt(0)
	v_add_u32_e32 v56, s45, v126
	ds_read_b128 v[56:59], v56 offset:2048
.LBB144_74:                             ;   in Loop: Header=BB144_15 Depth=2
	s_or_b64 exec, exec, s[30:31]
	v_add_u32_e32 v60, 0x400, v108
	v_cmp_lt_u32_e32 vcc, s10, v60
                                        ; implicit-def: $vgpr62_vgpr63
	s_and_saveexec_b64 s[30:31], vcc
	s_xor_b64 s[30:31], exec, s[30:31]
	s_cbranch_execz .LBB144_76
; %bb.75:                               ;   in Loop: Header=BB144_15 Depth=2
	v_mov_b32_e32 v61, v101
	v_lshl_add_u64 v[60:61], v[60:61], 1, s[12:13]
	global_load_dwordx4 v[60:63], v[60:61], off
.LBB144_76:                             ;   in Loop: Header=BB144_15 Depth=2
	s_andn2_saveexec_b64 s[30:31], s[30:31]
	s_cbranch_execz .LBB144_78
; %bb.77:                               ;   in Loop: Header=BB144_15 Depth=2
	s_waitcnt vmcnt(0)
	v_add_u32_e32 v60, s44, v126
	v_add_u32_e32 v60, 0x800, v60
	ds_read2_b64 v[60:63], v60 offset1:1
.LBB144_78:                             ;   in Loop: Header=BB144_15 Depth=2
	s_or_b64 exec, exec, s[30:31]
	s_mov_b32 s27, s26
	v_cmp_gt_u32_e32 vcc, s8, v106
	v_mov_b32_e32 v83, 0
	v_mov_b64_e32 v[78:79], s[26:27]
	v_mov_b32_e32 v82, 0
	v_mov_b32_e32 v81, 0
	;; [unrolled: 1-line block ×3, first 2 shown]
	v_mov_b64_e32 v[76:77], s[26:27]
	v_mov_b64_e32 v[90:91], s[26:27]
	;; [unrolled: 1-line block ×7, first 2 shown]
	s_and_saveexec_b64 s[30:31], vcc
	s_cbranch_execz .LBB144_11
; %bb.79:                               ;   in Loop: Header=BB144_15 Depth=2
	v_cmp_lt_u32_e32 vcc, s10, v106
                                        ; implicit-def: $vgpr94_vgpr95
	s_and_saveexec_b64 s[34:35], vcc
	s_xor_b64 s[34:35], exec, s[34:35]
	s_cbranch_execz .LBB144_81
; %bb.80:                               ;   in Loop: Header=BB144_15 Depth=2
	v_mov_b32_e32 v107, v101
	v_lshl_add_u64 v[76:77], v[106:107], 1, s[12:13]
	global_load_dwordx4 v[92:95], v[76:77], off
.LBB144_81:                             ;   in Loop: Header=BB144_15 Depth=2
	s_andn2_saveexec_b64 s[34:35], s[34:35]
	s_cbranch_execz .LBB144_83
; %bb.82:                               ;   in Loop: Header=BB144_15 Depth=2
	s_waitcnt vmcnt(0)
	ds_read_b128 v[92:95], v126 offset:3072
.LBB144_83:                             ;   in Loop: Header=BB144_15 Depth=2
	s_or_b64 exec, exec, s[34:35]
	v_add_u32_e32 v100, 0x600, v100
	v_cmp_lt_u32_e32 vcc, s10, v100
                                        ; implicit-def: $vgpr86_vgpr87
	s_and_saveexec_b64 s[34:35], vcc
	s_xor_b64 s[34:35], exec, s[34:35]
	s_cbranch_execz .LBB144_85
; %bb.84:                               ;   in Loop: Header=BB144_15 Depth=2
	v_lshl_add_u64 v[76:77], v[100:101], 1, s[12:13]
	global_load_dwordx4 v[84:87], v[76:77], off
.LBB144_85:                             ;   in Loop: Header=BB144_15 Depth=2
	s_andn2_saveexec_b64 s[34:35], s[34:35]
	s_cbranch_execz .LBB144_87
; %bb.86:                               ;   in Loop: Header=BB144_15 Depth=2
	v_add_u32_e32 v76, s39, v126
	s_waitcnt vmcnt(0)
	ds_read_b128 v[84:87], v76 offset:3072
.LBB144_87:                             ;   in Loop: Header=BB144_15 Depth=2
	s_or_b64 exec, exec, s[34:35]
	v_add_u32_e32 v100, 0x600, v112
	v_cmp_lt_u32_e32 vcc, s10, v100
                                        ; implicit-def: $vgpr90_vgpr91
	s_and_saveexec_b64 s[34:35], vcc
	s_xor_b64 s[34:35], exec, s[34:35]
	s_cbranch_execz .LBB144_89
; %bb.88:                               ;   in Loop: Header=BB144_15 Depth=2
	v_lshl_add_u64 v[76:77], v[100:101], 1, s[12:13]
	global_load_dwordx4 v[88:91], v[76:77], off
.LBB144_89:                             ;   in Loop: Header=BB144_15 Depth=2
	s_andn2_saveexec_b64 s[34:35], s[34:35]
	s_cbranch_execz .LBB144_91
; %bb.90:                               ;   in Loop: Header=BB144_15 Depth=2
	v_add_u32_e32 v76, s17, v126
	v_add_u32_e32 v77, 0xc00, v76
	;; [unrolled: 1-line block ×3, first 2 shown]
	s_waitcnt vmcnt(0)
	ds_read2_b32 v[88:89], v77 offset1:1
	ds_read2_b32 v[90:91], v76 offset1:1
.LBB144_91:                             ;   in Loop: Header=BB144_15 Depth=2
	s_or_b64 exec, exec, s[34:35]
	v_add_u32_e32 v100, 0x600, v110
	v_cmp_lt_u32_e32 vcc, s10, v100
                                        ; implicit-def: $vgpr78_vgpr79
	s_and_saveexec_b64 s[34:35], vcc
	s_xor_b64 s[34:35], exec, s[34:35]
	s_cbranch_execz .LBB144_93
; %bb.92:                               ;   in Loop: Header=BB144_15 Depth=2
	v_lshl_add_u64 v[76:77], v[100:101], 1, s[12:13]
	global_load_dwordx4 v[76:79], v[76:77], off
.LBB144_93:                             ;   in Loop: Header=BB144_15 Depth=2
	s_andn2_saveexec_b64 s[34:35], s[34:35]
	s_cbranch_execz .LBB144_95
; %bb.94:                               ;   in Loop: Header=BB144_15 Depth=2
	s_waitcnt vmcnt(0)
	v_add_u32_e32 v76, s45, v126
	ds_read_b128 v[76:79], v76 offset:3072
.LBB144_95:                             ;   in Loop: Header=BB144_15 Depth=2
	s_or_b64 exec, exec, s[34:35]
	v_add_u32_e32 v100, 0x600, v108
	v_cmp_lt_u32_e32 vcc, s10, v100
                                        ; implicit-def: $vgpr83
	s_and_saveexec_b64 s[34:35], vcc
	s_xor_b64 s[34:35], exec, s[34:35]
	s_cbranch_execz .LBB144_97
; %bb.96:                               ;   in Loop: Header=BB144_15 Depth=2
	v_lshl_add_u64 v[80:81], v[100:101], 1, s[12:13]
	global_load_dwordx4 v[80:83], v[80:81], off
.LBB144_97:                             ;   in Loop: Header=BB144_15 Depth=2
	s_andn2_saveexec_b64 s[34:35], s[34:35]
	s_cbranch_execz .LBB144_10
; %bb.98:                               ;   in Loop: Header=BB144_15 Depth=2
	s_waitcnt vmcnt(0)
	v_add_u32_e32 v80, s44, v126
	v_add_u32_e32 v80, 0xc00, v80
	ds_read2_b64 v[80:83], v80 offset1:1
	s_branch .LBB144_10
.LBB144_99:                             ;   in Loop: Header=BB144_8 Depth=1
	v_cvt_i32_f32_e32 v0, v125
	v_cvt_i32_f32_e32 v1, v124
	;; [unrolled: 1-line block ×4, first 2 shown]
	v_cvt_f32_i32_dpp v0, v0 row_shr:8 row_mask:0xf bank_mask:0xf bound_ctrl:1
	v_cvt_f32_i32_dpp v1, v1 row_shr:8 row_mask:0xf bank_mask:0xf bound_ctrl:1
	;; [unrolled: 1-line block ×3, first 2 shown]
	v_cvt_i32_f32_e32 v4, v97
	v_add_f32_e32 v0, v125, v0
	v_cvt_i32_f32_e32 v5, v0
	v_add_f32_e32 v1, v124, v1
	;; [unrolled: 2-line block ×3, first 2 shown]
	v_cvt_f32_i32_dpp v5, v5 row_shr:4 row_mask:0xf bank_mask:0xf bound_ctrl:1
	v_cvt_i32_f32_e32 v7, v2
	v_cvt_f32_i32_dpp v6, v6 row_shr:4 row_mask:0xf bank_mask:0xf bound_ctrl:1
	v_cvt_f32_i32_dpp v3, v3 row_shr:8 row_mask:0xf bank_mask:0xf bound_ctrl:1
	v_add_f32_e32 v0, v0, v5
	v_cvt_i32_f32_e32 v5, v0
	v_add_f32_e32 v1, v1, v6
	v_cvt_i32_f32_e32 v6, v1
	v_cvt_f32_i32_dpp v4, v4 row_shr:8 row_mask:0xf bank_mask:0xf bound_ctrl:1
	v_cvt_f32_i32_dpp v5, v5 row_shr:2 row_mask:0xf bank_mask:0xf bound_ctrl:1
	;; [unrolled: 1-line block ×4, first 2 shown]
	v_add_f32_e32 v3, v122, v3
	v_add_f32_e32 v0, v0, v5
	v_cvt_i32_f32_e32 v5, v0
	v_add_f32_e32 v4, v97, v4
	v_cvt_i32_f32_e32 v8, v3
	v_cvt_i32_f32_e32 v9, v4
	v_cvt_f32_i32_dpp v5, v5 row_shr:1 row_mask:0xf bank_mask:0xf bound_ctrl:1
	v_add_f32_e32 v2, v2, v7
	v_add_f32_e32 v1, v1, v6
	v_cvt_i32_f32_e32 v7, v2
	v_add_f32_e32 v0, v0, v5
	v_cvt_i32_f32_e32 v5, v0
	v_cvt_i32_f32_e32 v6, v1
	v_cvt_f32_i32_dpp v8, v8 row_shr:4 row_mask:0xf bank_mask:0xf bound_ctrl:1
	v_cvt_f32_i32_dpp v9, v9 row_shr:4 row_mask:0xf bank_mask:0xf bound_ctrl:1
	v_cvt_f32_i32_dpp v5, v5 row_bcast:15 row_mask:0xf bank_mask:0xf bound_ctrl:1
	v_cvt_f32_i32_dpp v7, v7 row_shr:2 row_mask:0xf bank_mask:0xf bound_ctrl:1
	v_cvt_f32_i32_dpp v6, v6 row_shr:1 row_mask:0xf bank_mask:0xf bound_ctrl:1
	v_add_f32_e32 v3, v3, v8
	v_add_f32_e32 v0, v0, v5
	v_cvt_i32_f32_e32 v5, v0
	v_add_f32_e32 v4, v4, v9
	v_add_f32_e32 v2, v2, v7
	;; [unrolled: 1-line block ×3, first 2 shown]
	v_mov_b32_dpp v1, v5 row_bcast:31 row_mask:0xf bank_mask:0xf bound_ctrl:1
	v_cvt_i32_f32_e32 v5, v3
	v_cvt_i32_f32_e32 v8, v4
	;; [unrolled: 1-line block ×3, first 2 shown]
	s_waitcnt vmcnt(0)
	v_cvt_i32_f32_e32 v10, v6
	v_cvt_f32_i32_dpp v5, v5 row_shr:2 row_mask:0xf bank_mask:0xf bound_ctrl:1
	v_cvt_f32_i32_dpp v8, v8 row_shr:2 row_mask:0xf bank_mask:0xf bound_ctrl:1
	;; [unrolled: 1-line block ×3, first 2 shown]
	v_cvt_f32_i32_dpp v9, v10 row_bcast:15 row_mask:0xf bank_mask:0xf bound_ctrl:1
	v_add_f32_e32 v3, v3, v5
	v_add_f32_e32 v4, v4, v8
	;; [unrolled: 1-line block ×3, first 2 shown]
	v_cvt_i32_f32_e32 v2, v3
	v_cvt_i32_f32_e32 v5, v4
	;; [unrolled: 1-line block ×3, first 2 shown]
	v_cvt_f32_i32_dpp v10, v2 row_shr:1 row_mask:0xf bank_mask:0xf bound_ctrl:1
	v_cvt_f32_i32_dpp v5, v5 row_shr:1 row_mask:0xf bank_mask:0xf bound_ctrl:1
	v_add_f32_e32 v2, v6, v9
	v_cvt_f32_i32_dpp v6, v8 row_bcast:15 row_mask:0xf bank_mask:0xf bound_ctrl:1
	v_add_f32_e32 v8, v3, v10
	v_add_f32_e32 v5, v4, v5
	v_cvt_i32_f32_e32 v3, v8
	v_cvt_i32_f32_e32 v4, v5
	v_cvt_i32_f32_e32 v9, v2
	v_cvt_f32_i32_dpp v10, v3 row_bcast:15 row_mask:0xf bank_mask:0xf bound_ctrl:1
	v_add_f32_e32 v3, v7, v6
	v_cvt_f32_i32_dpp v6, v4 row_bcast:15 row_mask:0xf bank_mask:0xf bound_ctrl:1
	v_cvt_i32_f32_e32 v7, v3
	v_add_f32_e32 v4, v8, v10
	v_cvt_i32_f32_e32 v10, v4
	v_add_f32_e32 v5, v5, v6
	v_cvt_i32_f32_e32 v6, v5
	v_mov_b32_dpp v9, v9 row_bcast:31 row_mask:0xf bank_mask:0xf bound_ctrl:1
	v_mov_b32_dpp v8, v7 row_bcast:31 row_mask:0xf bank_mask:0xf bound_ctrl:1
	v_mov_b32_dpp v7, v10 row_bcast:31 row_mask:0xf bank_mask:0xf bound_ctrl:1
	v_mov_b32_dpp v6, v6 row_bcast:31 row_mask:0xf bank_mask:0xf bound_ctrl:1
	s_and_saveexec_b64 s[4:5], s[0:1]
	s_cbranch_execz .LBB144_7
; %bb.100:                              ;   in Loop: Header=BB144_8 Depth=1
	s_andn2_b64 vcc, exec, s[24:25]
	v_mov_b32_e32 v14, 0
	v_mov_b32_e32 v13, 0
	;; [unrolled: 1-line block ×5, first 2 shown]
	s_cbranch_vccnz .LBB144_102
; %bb.101:                              ;   in Loop: Header=BB144_8 Depth=1
	v_mul_hi_u32 v10, v96, v118
	v_mul_lo_u32 v10, v10, s16
	v_sub_u32_e32 v10, v96, v10
	v_subrev_u32_e32 v11, s16, v10
	v_cmp_le_u32_e32 vcc, s16, v10
	s_nop 1
	v_cndmask_b32_e32 v10, v10, v11, vcc
	v_subrev_u32_e32 v11, s16, v10
	v_cmp_le_u32_e32 vcc, s16, v10
	s_nop 1
	v_cndmask_b32_e32 v100, v10, v11, vcc
	v_add_u32_e32 v10, s40, v100
	v_mov_b32_e32 v11, v101
	v_lshl_add_u64 v[18:19], v[10:11], 1, s[14:15]
	v_add_u32_e32 v10, s41, v100
	v_lshl_add_u64 v[16:17], v[100:101], 1, s[14:15]
	v_lshl_add_u64 v[20:21], v[10:11], 1, s[14:15]
	v_add_u32_e32 v10, s42, v100
	v_add_u32_e32 v100, s43, v100
	v_lshl_add_u64 v[22:23], v[10:11], 1, s[14:15]
	v_lshl_add_u64 v[24:25], v[100:101], 1, s[14:15]
	global_load_ushort v14, v[16:17], off
	global_load_ushort v13, v[18:19], off
	;; [unrolled: 1-line block ×5, first 2 shown]
.LBB144_102:                            ;   in Loop: Header=BB144_8 Depth=1
	v_cmp_ne_u32_e32 vcc, 0, v99
	s_and_b64 exec, exec, vcc
	s_cbranch_execz .LBB144_7
; %bb.103:                              ;   in Loop: Header=BB144_8 Depth=1
	v_cvt_f32_i32_e32 v1, v1
	v_cvt_f32_i32_e32 v6, v6
	;; [unrolled: 1-line block ×3, first 2 shown]
	v_mov_b32_e32 v97, v101
	v_add_f32_e32 v0, v0, v1
	v_cvt_f32_i32_e32 v1, v7
	s_waitcnt vmcnt(4)
	v_cvt_f32_f16_e32 v7, v14
	v_add_f32_e32 v5, v5, v6
	v_add_f32_e32 v2, v2, v9
	;; [unrolled: 1-line block ×4, first 2 shown]
	v_cvt_f16_f32_e32 v6, v0
	s_waitcnt vmcnt(3)
	v_cvt_f32_f16_e32 v7, v13
	s_waitcnt lgkmcnt(0)
	v_lshl_add_u64 v[0:1], v[96:97], 1, s[20:21]
	v_cvt_f32_i32_e32 v8, v8
	global_store_short v[0:1], v6, off
	v_add_f32_e32 v0, v2, v7
	v_cvt_f16_f32_e32 v2, v0
	s_waitcnt vmcnt(3)
	v_cvt_f32_f16_e32 v6, v12
	v_add_u32_e32 v100, s11, v96
	v_add_f32_e32 v3, v3, v8
	v_lshl_add_u64 v[0:1], v[100:101], 1, s[20:21]
	global_store_short v[0:1], v2, off
	v_add_f32_e32 v0, v3, v6
	v_cvt_f16_f32_e32 v2, v0
	v_add_u32_e32 v100, s11, v100
	s_waitcnt vmcnt(3)
	v_cvt_f32_f16_e32 v3, v11
	v_lshl_add_u64 v[0:1], v[100:101], 1, s[20:21]
	global_store_short v[0:1], v2, off
	s_waitcnt vmcnt(3)
	v_cvt_f32_f16_e32 v2, v10
	v_add_f32_e32 v0, v4, v3
	v_cvt_f16_f32_e32 v3, v0
	v_add_u32_e32 v100, s11, v100
	v_add_f32_e32 v2, v5, v2
	v_cvt_f16_f32_e32 v2, v2
	v_lshl_add_u64 v[0:1], v[100:101], 1, s[20:21]
	v_add_u32_e32 v100, s11, v100
	global_store_short v[0:1], v3, off
	v_lshl_add_u64 v[0:1], v[100:101], 1, s[20:21]
	global_store_short v[0:1], v2, off
	s_branch .LBB144_7
.LBB144_104:
	s_endpgm
	.section	.rodata,"a",@progbits
	.p2align	6, 0x0
	.amdhsa_kernel _Z12wvSplitK_hf_I6__halfLi64ELi1ELi16ELi8ELi4ELi5EEviiiiiiPKT_S3_S3_PS1_ii
		.amdhsa_group_segment_fixed_size 65536
		.amdhsa_private_segment_fixed_size 0
		.amdhsa_kernarg_size 64
		.amdhsa_user_sgpr_count 2
		.amdhsa_user_sgpr_dispatch_ptr 0
		.amdhsa_user_sgpr_queue_ptr 0
		.amdhsa_user_sgpr_kernarg_segment_ptr 1
		.amdhsa_user_sgpr_dispatch_id 0
		.amdhsa_user_sgpr_kernarg_preload_length 0
		.amdhsa_user_sgpr_kernarg_preload_offset 0
		.amdhsa_user_sgpr_private_segment_size 0
		.amdhsa_uses_dynamic_stack 0
		.amdhsa_enable_private_segment 0
		.amdhsa_system_sgpr_workgroup_id_x 1
		.amdhsa_system_sgpr_workgroup_id_y 0
		.amdhsa_system_sgpr_workgroup_id_z 0
		.amdhsa_system_sgpr_workgroup_info 0
		.amdhsa_system_vgpr_workitem_id 1
		.amdhsa_next_free_vgpr 127
		.amdhsa_next_free_sgpr 47
		.amdhsa_accum_offset 128
		.amdhsa_reserve_vcc 1
		.amdhsa_float_round_mode_32 0
		.amdhsa_float_round_mode_16_64 0
		.amdhsa_float_denorm_mode_32 3
		.amdhsa_float_denorm_mode_16_64 3
		.amdhsa_dx10_clamp 1
		.amdhsa_ieee_mode 1
		.amdhsa_fp16_overflow 0
		.amdhsa_tg_split 0
		.amdhsa_exception_fp_ieee_invalid_op 0
		.amdhsa_exception_fp_denorm_src 0
		.amdhsa_exception_fp_ieee_div_zero 0
		.amdhsa_exception_fp_ieee_overflow 0
		.amdhsa_exception_fp_ieee_underflow 0
		.amdhsa_exception_fp_ieee_inexact 0
		.amdhsa_exception_int_div_zero 0
	.end_amdhsa_kernel
	.section	.text._Z12wvSplitK_hf_I6__halfLi64ELi1ELi16ELi8ELi4ELi5EEviiiiiiPKT_S3_S3_PS1_ii,"axG",@progbits,_Z12wvSplitK_hf_I6__halfLi64ELi1ELi16ELi8ELi4ELi5EEviiiiiiPKT_S3_S3_PS1_ii,comdat
.Lfunc_end144:
	.size	_Z12wvSplitK_hf_I6__halfLi64ELi1ELi16ELi8ELi4ELi5EEviiiiiiPKT_S3_S3_PS1_ii, .Lfunc_end144-_Z12wvSplitK_hf_I6__halfLi64ELi1ELi16ELi8ELi4ELi5EEviiiiiiPKT_S3_S3_PS1_ii
                                        ; -- End function
	.section	.AMDGPU.csdata,"",@progbits
; Kernel info:
; codeLenInByte = 4516
; NumSgprs: 53
; NumVgprs: 127
; NumAgprs: 0
; TotalNumVgprs: 127
; ScratchSize: 0
; MemoryBound: 1
; FloatMode: 240
; IeeeMode: 1
; LDSByteSize: 65536 bytes/workgroup (compile time only)
; SGPRBlocks: 6
; VGPRBlocks: 15
; NumSGPRsForWavesPerEU: 53
; NumVGPRsForWavesPerEU: 127
; AccumOffset: 128
; Occupancy: 4
; WaveLimiterHint : 0
; COMPUTE_PGM_RSRC2:SCRATCH_EN: 0
; COMPUTE_PGM_RSRC2:USER_SGPR: 2
; COMPUTE_PGM_RSRC2:TRAP_HANDLER: 0
; COMPUTE_PGM_RSRC2:TGID_X_EN: 1
; COMPUTE_PGM_RSRC2:TGID_Y_EN: 0
; COMPUTE_PGM_RSRC2:TGID_Z_EN: 0
; COMPUTE_PGM_RSRC2:TIDIG_COMP_CNT: 1
; COMPUTE_PGM_RSRC3_GFX90A:ACCUM_OFFSET: 31
; COMPUTE_PGM_RSRC3_GFX90A:TG_SPLIT: 0
	.section	.text._Z16wvSplitK_hf_big_I6__halfLi64ELi1ELi16ELi8ELi4ELi5EEviiiiiiPKT_S3_S3_PS1_ii,"axG",@progbits,_Z16wvSplitK_hf_big_I6__halfLi64ELi1ELi16ELi8ELi4ELi5EEviiiiiiPKT_S3_S3_PS1_ii,comdat
	.protected	_Z16wvSplitK_hf_big_I6__halfLi64ELi1ELi16ELi8ELi4ELi5EEviiiiiiPKT_S3_S3_PS1_ii ; -- Begin function _Z16wvSplitK_hf_big_I6__halfLi64ELi1ELi16ELi8ELi4ELi5EEviiiiiiPKT_S3_S3_PS1_ii
	.globl	_Z16wvSplitK_hf_big_I6__halfLi64ELi1ELi16ELi8ELi4ELi5EEviiiiiiPKT_S3_S3_PS1_ii
	.p2align	8
	.type	_Z16wvSplitK_hf_big_I6__halfLi64ELi1ELi16ELi8ELi4ELi5EEviiiiiiPKT_S3_S3_PS1_ii,@function
_Z16wvSplitK_hf_big_I6__halfLi64ELi1ELi16ELi8ELi4ELi5EEviiiiiiPKT_S3_S3_PS1_ii: ; @_Z16wvSplitK_hf_big_I6__halfLi64ELi1ELi16ELi8ELi4ELi5EEviiiiiiPKT_S3_S3_PS1_ii
; %bb.0:
	s_load_dwordx2 s[4:5], s[0:1], 0x38
	v_bfe_u32 v1, v0, 10, 10
	s_waitcnt lgkmcnt(0)
	v_cmp_gt_u32_e32 vcc, s4, v1
	s_and_saveexec_b64 s[6:7], vcc
	s_cbranch_execz .LBB145_38
; %bb.1:
	s_load_dwordx4 s[20:23], s[0:1], 0x0
	s_mul_i32 s2, s2, s4
	v_add_u32_e32 v96, s2, v1
	v_add_u32_e32 v2, 1, v96
	v_mov_b32_e32 v101, 1
	s_waitcnt lgkmcnt(0)
	v_cmp_gt_u32_e32 vcc, s23, v96
	v_cmp_le_u32_e64 s[2:3], s23, v2
	s_and_b64 s[6:7], vcc, s[2:3]
	s_and_saveexec_b64 s[2:3], s[6:7]
; %bb.2:
	v_subrev_u32_e32 v2, s23, v96
	v_cmp_eq_u32_e32 vcc, -1, v2
	s_add_i32 s6, s23, -1
	v_mov_b32_e32 v96, s6
	v_cndmask_b32_e64 v101, 0, 1, vcc
; %bb.3:
	s_or_b64 exec, exec, s[2:3]
	s_abs_i32 s2, s4
	v_cvt_f32_u32_e32 v2, s2
	s_sub_i32 s7, 0, s2
	s_abs_i32 s6, s23
	s_ashr_i32 s3, s23, 31
	v_rcp_iflag_f32_e32 v2, v2
	s_nop 0
	v_mul_f32_e32 v2, 0x4f7ffffe, v2
	v_cvt_u32_f32_e32 v2, v2
	s_nop 0
	v_readfirstlane_b32 s8, v2
	s_mul_i32 s7, s7, s8
	s_mul_hi_u32 s7, s8, s7
	s_add_i32 s8, s8, s7
	s_mul_hi_u32 s7, s6, s8
	s_mul_i32 s7, s7, s2
	s_sub_i32 s6, s6, s7
	s_sub_i32 s7, s6, s2
	s_cmp_ge_u32 s6, s2
	s_cselect_b32 s6, s7, s6
	s_sub_i32 s7, s6, s2
	s_cmp_ge_u32 s6, s2
	s_cselect_b32 s2, s7, s6
	s_xor_b32 s2, s2, s3
	s_sub_i32 s2, s2, s3
	s_add_i32 s3, s4, s23
	s_sub_i32 s3, s3, s2
	s_cmp_eq_u32 s2, 0
	s_cselect_b32 s33, s23, s3
	v_cmp_gt_u32_e32 vcc, s33, v96
	s_and_b64 exec, exec, vcc
	s_cbranch_execz .LBB145_38
; %bb.4:
	s_load_dwordx8 s[12:19], s[0:1], 0x10
	s_min_u32 s38, s22, 0x1800
	s_cmp_lg_u32 s20, 0
	s_cselect_b64 s[2:3], -1, 0
	s_cmp_lg_u32 s22, 0
	s_cselect_b64 s[6:7], -1, 0
	s_lshl_b32 s39, s4, 9
	s_add_i32 s40, s20, -8
	s_add_i32 s41, s23, -1
	s_waitcnt lgkmcnt(0)
	s_cmp_lg_u64 s[18:19], 0
	s_cselect_b64 s[26:27], -1, 0
	s_abs_i32 s8, s13
	v_cvt_f32_u32_e32 v2, s12
	v_cvt_f32_u32_e32 v3, s8
	s_mul_i32 s42, s5, s4
	s_sub_i32 s5, s42, s23
	v_rcp_iflag_f32_e32 v2, v2
	v_rcp_iflag_f32_e32 v3, v3
	s_add_i32 s13, s5, 2
	s_sub_i32 s5, 0, s12
	v_mul_f32_e32 v2, 0x4f7ffffe, v2
	v_mul_f32_e32 v3, 0x4f7ffffe, v3
	v_cvt_u32_f32_e32 v2, v2
	v_cvt_u32_f32_e32 v3, v3
	s_load_dwordx2 s[10:11], s[0:1], 0x30
	v_and_b32_e32 v0, 0x3ff, v0
	v_mul_lo_u32 v4, s5, v2
	s_sub_i32 s5, 0, s8
	v_readfirstlane_b32 s9, v3
	s_mul_i32 s5, s5, s9
	s_mul_hi_u32 s5, s9, s5
	s_add_i32 s9, s9, s5
	s_sub_i32 s5, 1, s8
	s_cmp_lt_u32 s8, 2
	s_cselect_b32 s5, s5, 1
	s_sub_i32 s28, s5, s8
	s_cmp_ge_u32 s5, s8
	s_cselect_b32 s43, s28, s5
	s_lshr_b32 s5, s9, 31
	s_mul_i32 s5, s5, s8
	s_sub_i32 s5, 2, s5
	s_sub_i32 s28, s5, s8
	s_cmp_ge_u32 s5, s8
	s_cselect_b32 s5, s28, s5
	s_sub_i32 s28, s5, s8
	s_cmp_ge_u32 s5, s8
	s_cselect_b32 s44, s28, s5
	s_mul_hi_u32 s5, s9, 3
	s_mul_i32 s5, s5, s8
	s_sub_i32 s5, 3, s5
	s_sub_i32 s28, s5, s8
	s_cmp_ge_u32 s5, s8
	s_cselect_b32 s5, s28, s5
	s_sub_i32 s28, s5, s8
	s_cmp_ge_u32 s5, s8
	s_cselect_b32 s45, s28, s5
	s_lshr_b32 s5, s9, 30
	s_mul_i32 s5, s5, s8
	s_sub_i32 s5, 4, s5
	s_sub_i32 s9, s5, s8
	s_cmp_ge_u32 s5, s8
	s_cselect_b32 s5, s9, s5
	v_lshlrev_b32_e32 v106, 3, v0
	v_cmp_eq_u32_e64 s[0:1], 63, v0
	s_sub_i32 s9, s5, s8
	v_lshlrev_b32_e32 v0, 4, v0
	s_cmp_ge_u32 s5, s8
	v_lshl_add_u32 v108, v1, 10, v0
	v_lshl_add_u32 v100, v1, 9, v106
	v_cndmask_b32_e64 v0, 0, 1, s[2:3]
	v_mul_hi_u32 v4, v2, v4
	s_cselect_b32 s46, s9, s5
	s_lshl_b32 s48, s4, 10
	v_mad_u64_u32 v[102:103], s[4:5], s22, 3, v[100:101]
	v_cmp_ne_u32_e64 s[2:3], 1, v0
	v_cndmask_b32_e64 v0, 0, 1, s[6:7]
	s_mov_b64 s[24:25], 0
	v_add_u32_e32 v107, v2, v4
	v_mov_b32_e32 v99, 0
	s_mul_i32 s43, s43, s12
	s_mul_i32 s44, s44, s12
	s_mul_i32 s45, s45, s12
	s_mul_i32 s46, s46, s12
	s_lshl_b32 s47, s38, 3
	s_mul_i32 s49, s38, 6
	s_lshl_b32 s50, s38, 2
	s_lshl_b32 s51, s38, 1
	v_lshl_add_u32 v109, s22, 1, v100
	v_lshl_add_u32 v103, s22, 2, v100
	v_add_u32_e32 v110, s22, v100
	v_cmp_ne_u32_e64 s[4:5], 1, v0
	s_branch .LBB145_7
.LBB145_5:                              ;   in Loop: Header=BB145_7 Depth=1
	s_or_b64 exec, exec, s[6:7]
.LBB145_6:                              ;   in Loop: Header=BB145_7 Depth=1
	s_or_b64 exec, exec, s[8:9]
	v_cmp_le_u32_e32 vcc, s33, v0
	s_or_b64 s[24:25], vcc, s[24:25]
	v_mov_b32_e32 v96, v0
	s_andn2_b64 exec, exec, s[24:25]
	s_cbranch_execz .LBB145_38
.LBB145_7:                              ; =>This Loop Header: Depth=1
                                        ;     Child Loop BB145_14 Depth 2
                                        ;       Child Loop BB145_19 Depth 3
	s_mov_b32 s52, 0
	s_and_b64 vcc, exec, s[2:3]
	v_mov_b32_e32 v114, v99
	v_mov_b32_e32 v113, v99
	;; [unrolled: 1-line block ×5, first 2 shown]
	s_cbranch_vccnz .LBB145_28
; %bb.8:                                ;   in Loop: Header=BB145_7 Depth=1
	v_min_u32_e32 v0, s41, v96
	v_mul_lo_u32 v98, v0, s21
	v_cmp_gt_u32_e64 s[6:7], s23, v96
	v_lshl_add_u64 v[104:105], v[98:99], 1, s[14:15]
	v_mov_b32_e32 v97, 0
	v_mov_b32_e32 v111, 0
	;; [unrolled: 1-line block ×5, first 2 shown]
	s_mov_b32 s53, 0
	s_branch .LBB145_14
.LBB145_9:                              ;   in Loop: Header=BB145_14 Depth=2
	s_or_b64 exec, exec, s[36:37]
.LBB145_10:                             ;   in Loop: Header=BB145_14 Depth=2
	s_or_b64 exec, exec, s[34:35]
.LBB145_11:                             ;   in Loop: Header=BB145_14 Depth=2
	s_or_b64 exec, exec, s[30:31]
.LBB145_12:                             ;   in Loop: Header=BB145_14 Depth=2
	s_or_b64 exec, exec, s[28:29]
	s_waitcnt vmcnt(3) lgkmcnt(0)
	;;#ASMSTART
	v_dot2c_f32_f16 v114, v88, v40
	;;#ASMEND
	;;#ASMSTART
	v_dot2c_f32_f16 v113, v84, v40
	;;#ASMEND
	;;#ASMSTART
	v_dot2c_f32_f16 v112, v76, v40
	;;#ASMEND
	;;#ASMSTART
	v_dot2c_f32_f16 v111, v68, v40
	;;#ASMEND
	;;#ASMSTART
	v_dot2c_f32_f16 v97, v60, v40
	;;#ASMEND
	s_nop 0
	;;#ASMSTART
	v_dot2c_f32_f16 v114, v89, v41
	;;#ASMEND
	;;#ASMSTART
	v_dot2c_f32_f16 v113, v85, v41
	;;#ASMEND
	;;#ASMSTART
	v_dot2c_f32_f16 v112, v77, v41
	;;#ASMEND
	;;#ASMSTART
	v_dot2c_f32_f16 v111, v69, v41
	;;#ASMEND
	;;#ASMSTART
	v_dot2c_f32_f16 v97, v61, v41
	;;#ASMEND
	s_nop 0
	;;#ASMSTART
	v_dot2c_f32_f16 v114, v90, v42
	;;#ASMEND
	;;#ASMSTART
	v_dot2c_f32_f16 v113, v86, v42
	;;#ASMEND
	;;#ASMSTART
	v_dot2c_f32_f16 v112, v78, v42
	;;#ASMEND
	;;#ASMSTART
	v_dot2c_f32_f16 v111, v70, v42
	;;#ASMEND
	;;#ASMSTART
	v_dot2c_f32_f16 v97, v62, v42
	;;#ASMEND
	s_nop 0
	;;#ASMSTART
	v_dot2c_f32_f16 v114, v91, v43
	;;#ASMEND
	;;#ASMSTART
	v_dot2c_f32_f16 v113, v87, v43
	;;#ASMEND
	;;#ASMSTART
	v_dot2c_f32_f16 v112, v79, v43
	;;#ASMEND
	;;#ASMSTART
	v_dot2c_f32_f16 v111, v71, v43
	;;#ASMEND
	;;#ASMSTART
	v_dot2c_f32_f16 v97, v63, v43
	;;#ASMEND
	s_waitcnt vmcnt(2)
	;;#ASMSTART
	v_dot2c_f32_f16 v114, v92, v16
	;;#ASMEND
	;;#ASMSTART
	v_dot2c_f32_f16 v113, v80, v16
	;;#ASMEND
	;;#ASMSTART
	v_dot2c_f32_f16 v112, v72, v16
	;;#ASMEND
	;;#ASMSTART
	v_dot2c_f32_f16 v111, v56, v16
	;;#ASMEND
	;;#ASMSTART
	v_dot2c_f32_f16 v97, v52, v16
	;;#ASMEND
	s_nop 0
	;;#ASMSTART
	v_dot2c_f32_f16 v114, v93, v17
	;;#ASMEND
	;;#ASMSTART
	v_dot2c_f32_f16 v113, v81, v17
	;;#ASMEND
	;;#ASMSTART
	v_dot2c_f32_f16 v112, v73, v17
	;;#ASMEND
	;;#ASMSTART
	v_dot2c_f32_f16 v111, v57, v17
	;;#ASMEND
	;;#ASMSTART
	v_dot2c_f32_f16 v97, v53, v17
	;;#ASMEND
	s_nop 0
	;;#ASMSTART
	v_dot2c_f32_f16 v114, v94, v18
	;;#ASMEND
	;;#ASMSTART
	v_dot2c_f32_f16 v113, v82, v18
	;;#ASMEND
	;;#ASMSTART
	v_dot2c_f32_f16 v112, v74, v18
	;;#ASMEND
	;;#ASMSTART
	v_dot2c_f32_f16 v111, v58, v18
	;;#ASMEND
	;;#ASMSTART
	v_dot2c_f32_f16 v97, v54, v18
	;;#ASMEND
	s_nop 0
	;;#ASMSTART
	v_dot2c_f32_f16 v114, v95, v19
	;;#ASMEND
	;;#ASMSTART
	v_dot2c_f32_f16 v113, v83, v19
	;;#ASMEND
	;;#ASMSTART
	v_dot2c_f32_f16 v112, v75, v19
	;;#ASMEND
	;;#ASMSTART
	v_dot2c_f32_f16 v111, v59, v19
	;;#ASMEND
	;;#ASMSTART
	v_dot2c_f32_f16 v97, v55, v19
	;;#ASMEND
	s_waitcnt vmcnt(1)
	;; [unrolled: 64-line block ×3, first 2 shown]
	;;#ASMSTART
	v_dot2c_f32_f16 v114, v28, v0
	;;#ASMEND
	;;#ASMSTART
	v_dot2c_f32_f16 v113, v24, v0
	;;#ASMEND
	;;#ASMSTART
	v_dot2c_f32_f16 v112, v20, v0
	;;#ASMEND
	;;#ASMSTART
	v_dot2c_f32_f16 v111, v12, v0
	;;#ASMEND
	;;#ASMSTART
	v_dot2c_f32_f16 v97, v8, v0
	;;#ASMEND
	s_nop 0
	;;#ASMSTART
	v_dot2c_f32_f16 v114, v29, v1
	;;#ASMEND
	;;#ASMSTART
	v_dot2c_f32_f16 v113, v25, v1
	;;#ASMEND
	;;#ASMSTART
	v_dot2c_f32_f16 v112, v21, v1
	;;#ASMEND
	;;#ASMSTART
	v_dot2c_f32_f16 v111, v13, v1
	;;#ASMEND
	;;#ASMSTART
	v_dot2c_f32_f16 v97, v9, v1
	;;#ASMEND
	s_nop 0
	;; [unrolled: 16-line block ×3, first 2 shown]
	;;#ASMSTART
	v_dot2c_f32_f16 v114, v31, v3
	;;#ASMEND
	;;#ASMSTART
	v_dot2c_f32_f16 v113, v27, v3
	;;#ASMEND
	;; [unrolled: 3-line block ×5, first 2 shown]
.LBB145_13:                             ;   in Loop: Header=BB145_14 Depth=2
	s_or_b64 exec, exec, s[8:9]
	s_addk_i32 s53, 0x800
	s_cmp_ge_u32 s53, s20
	s_cbranch_scc1 .LBB145_28
.LBB145_14:                             ;   Parent Loop BB145_7 Depth=1
                                        ; =>  This Loop Header: Depth=2
                                        ;       Child Loop BB145_19 Depth 3
	s_cmp_eq_u32 s53, 0
	s_cselect_b64 s[8:9], -1, 0
	s_add_i32 s28, s52, s38
	s_cmp_eq_u32 s53, s28
	s_cselect_b64 s[30:31], -1, 0
	s_or_b64 s[30:31], s[8:9], s[30:31]
	s_andn2_b64 vcc, exec, s[30:31]
	s_cbranch_vccz .LBB145_16
; %bb.15:                               ;   in Loop: Header=BB145_14 Depth=2
	s_and_saveexec_b64 s[8:9], s[6:7]
	s_cbranch_execz .LBB145_13
	s_branch .LBB145_23
.LBB145_16:                             ;   in Loop: Header=BB145_14 Depth=2
	s_and_b64 s[8:9], s[8:9], exec
	s_cselect_b32 s52, s52, s28
	s_and_b64 vcc, exec, s[4:5]
	s_waitcnt lgkmcnt(0)
	s_barrier
	s_cbranch_vccnz .LBB145_22
; %bb.17:                               ;   in Loop: Header=BB145_14 Depth=2
	v_add_u32_e32 v0, s52, v109
	v_add_u32_e32 v1, s52, v102
	;; [unrolled: 1-line block ×5, first 2 shown]
	s_mov_b32 s34, 0
	s_mov_b64 s[28:29], 0
	v_mov_b32_e32 v5, v108
                                        ; implicit-def: $sgpr30_sgpr31
	s_branch .LBB145_19
.LBB145_18:                             ;   in Loop: Header=BB145_19 Depth=3
	s_or_b64 exec, exec, s[8:9]
	s_and_b64 s[8:9], exec, s[30:31]
	s_or_b64 s[28:29], s[8:9], s[28:29]
	s_andn2_b64 exec, exec, s[28:29]
	s_cbranch_execz .LBB145_21
.LBB145_19:                             ;   Parent Loop BB145_7 Depth=1
                                        ;     Parent Loop BB145_14 Depth=2
                                        ; =>    This Inner Loop Header: Depth=3
	v_add_u32_e32 v6, s34, v100
	v_add_u32_e32 v98, s34, v4
	v_cmp_gt_u32_e32 vcc, s22, v98
	v_cmp_gt_u32_e64 s[8:9], s38, v6
	s_and_b64 s[36:37], s[8:9], vcc
	s_or_b64 s[30:31], s[30:31], exec
	s_and_saveexec_b64 s[8:9], s[36:37]
	s_cbranch_execz .LBB145_18
; %bb.20:                               ;   in Loop: Header=BB145_19 Depth=3
	v_lshl_add_u64 v[6:7], v[98:99], 1, s[16:17]
	v_add_u32_e32 v98, s34, v3
	s_waitcnt vmcnt(0)
	v_lshl_add_u64 v[10:11], v[98:99], 1, s[16:17]
	v_add_u32_e32 v98, s34, v0
	v_lshl_add_u64 v[14:15], v[98:99], 1, s[16:17]
	v_add_u32_e32 v98, s34, v1
	v_lshl_add_u64 v[18:19], v[98:99], 1, s[16:17]
	global_load_dwordx4 v[6:9], v[6:7], off
	s_nop 0
	global_load_dwordx4 v[10:13], v[10:11], off
	s_nop 0
	;; [unrolled: 2-line block ×3, first 2 shown]
	global_load_dwordx4 v[18:21], v[18:19], off
	v_add_u32_e32 v98, s34, v2
	v_lshl_add_u64 v[22:23], v[98:99], 1, s[16:17]
	global_load_dwordx4 v[22:25], v[22:23], off
	s_add_i32 s34, s34, s39
	s_cmp_ge_u32 s34, s38
	s_cselect_b64 s[36:37], -1, 0
	s_andn2_b64 s[30:31], s[30:31], exec
	s_and_b64 s[36:37], s[36:37], exec
	v_add_u32_e32 v26, s51, v5
	v_add_u32_e32 v27, s50, v5
	;; [unrolled: 1-line block ×4, first 2 shown]
	s_or_b64 s[30:31], s[30:31], s[36:37]
	s_waitcnt vmcnt(4)
	ds_write_b128 v5, v[6:9]
	v_add_u32_e32 v5, s48, v5
	s_waitcnt vmcnt(3)
	ds_write2_b64 v26, v[10:11], v[12:13] offset1:1
	s_waitcnt vmcnt(2)
	ds_write2_b32 v27, v14, v15 offset1:1
	ds_write2_b32 v27, v16, v17 offset0:2 offset1:3
	s_waitcnt vmcnt(1)
	ds_write2_b64 v28, v[18:19], v[20:21] offset1:1
	s_waitcnt vmcnt(0)
	ds_write2_b64 v29, v[22:23], v[24:25] offset1:1
	s_branch .LBB145_18
.LBB145_21:                             ;   in Loop: Header=BB145_14 Depth=2
	s_or_b64 exec, exec, s[28:29]
.LBB145_22:                             ;   in Loop: Header=BB145_14 Depth=2
	s_waitcnt lgkmcnt(0)
	s_barrier
	s_and_saveexec_b64 s[8:9], s[6:7]
	s_cbranch_execz .LBB145_13
.LBB145_23:                             ;   in Loop: Header=BB145_14 Depth=2
	v_add_u32_e32 v117, s53, v106
	v_min_u32_e32 v98, s40, v117
	v_add_u32_e32 v121, 0x200, v117
	v_lshl_add_u64 v[0:1], v[98:99], 1, v[104:105]
	v_min_u32_e32 v98, s40, v121
	v_add_u32_e32 v116, 0x400, v117
	v_lshl_add_u64 v[2:3], v[98:99], 1, v[104:105]
	v_min_u32_e32 v98, s40, v116
	v_add_u32_e32 v115, 0x600, v117
	v_lshl_add_u64 v[8:9], v[98:99], 1, v[104:105]
	v_min_u32_e32 v98, s40, v115
	global_load_dwordx4 v[40:43], v[0:1], off nt
	global_load_dwordx4 v[16:19], v[2:3], off nt
	s_waitcnt vmcnt(2)
	v_lshl_add_u64 v[10:11], v[98:99], 1, v[104:105]
	global_load_dwordx4 v[4:7], v[8:9], off nt
	global_load_dwordx4 v[0:3], v[10:11], off nt
	v_cmp_gt_u32_e32 vcc, s20, v117
	v_mov_b32_e32 v88, 0
	v_mov_b32_e32 v89, 0
	;; [unrolled: 1-line block ×80, first 2 shown]
	s_and_saveexec_b64 s[28:29], vcc
	s_cbranch_execz .LBB145_12
; %bb.24:                               ;   in Loop: Header=BB145_14 Depth=2
	v_subrev_u32_e32 v8, s52, v117
	v_lshlrev_b32_e32 v119, 1, v8
	v_add_u32_e32 v118, s51, v119
	v_add_u32_e32 v117, s51, v118
	v_add_u32_e32 v98, s51, v117
	v_add_u32_e32 v120, s51, v98
	ds_read_b128 v[88:91], v119
	ds_read_b128 v[84:87], v118
	;; [unrolled: 1-line block ×5, first 2 shown]
	v_cmp_gt_u32_e32 vcc, s20, v121
	v_mov_b32_e32 v11, 0
	v_mov_b32_e32 v10, 0
	;; [unrolled: 1-line block ×60, first 2 shown]
	s_and_saveexec_b64 s[30:31], vcc
	s_cbranch_execz .LBB145_11
; %bb.25:                               ;   in Loop: Header=BB145_14 Depth=2
	ds_read_b128 v[92:95], v119 offset:1024
	ds_read_b128 v[80:83], v118 offset:1024
	;; [unrolled: 1-line block ×4, first 2 shown]
	ds_read2_b64 v[52:55], v120 offset0:128 offset1:129
	v_cmp_gt_u32_e32 vcc, s20, v116
	v_mov_b32_e32 v11, 0
	v_mov_b32_e32 v10, 0
	;; [unrolled: 1-line block ×40, first 2 shown]
	s_and_saveexec_b64 s[34:35], vcc
	s_cbranch_execz .LBB145_10
; %bb.26:                               ;   in Loop: Header=BB145_14 Depth=2
	ds_read_b128 v[64:67], v119 offset:2048
	ds_read_b128 v[48:51], v118 offset:2048
	;; [unrolled: 1-line block ×4, first 2 shown]
	v_add_u32_e32 v116, 0x800, v120
	ds_read2_b64 v[32:35], v116 offset1:1
	v_cmp_gt_u32_e32 vcc, s20, v115
	v_mov_b32_e32 v11, 0
	v_mov_b32_e32 v10, 0
	;; [unrolled: 1-line block ×20, first 2 shown]
	s_and_saveexec_b64 s[36:37], vcc
	s_cbranch_execz .LBB145_9
; %bb.27:                               ;   in Loop: Header=BB145_14 Depth=2
	ds_read_b128 v[28:31], v119 offset:3072
	ds_read_b128 v[24:27], v118 offset:3072
	;; [unrolled: 1-line block ×4, first 2 shown]
	ds_read2_b64 v[8:11], v116 offset0:128 offset1:129
	s_branch .LBB145_9
.LBB145_28:                             ;   in Loop: Header=BB145_7 Depth=1
	v_cmp_le_u32_e32 vcc, s23, v96
                                        ; implicit-def: $vgpr0
	s_and_saveexec_b64 s[6:7], vcc
	s_xor_b64 s[6:7], exec, s[6:7]
; %bb.29:                               ;   in Loop: Header=BB145_7 Depth=1
	v_add_u32_e32 v0, s42, v96
                                        ; implicit-def: $vgpr96
                                        ; implicit-def: $vgpr114
                                        ; implicit-def: $vgpr113
                                        ; implicit-def: $vgpr112
                                        ; implicit-def: $vgpr111
                                        ; implicit-def: $vgpr97
; %bb.30:                               ;   in Loop: Header=BB145_7 Depth=1
	s_andn2_saveexec_b64 s[8:9], s[6:7]
	s_cbranch_execz .LBB145_6
; %bb.31:                               ;   in Loop: Header=BB145_7 Depth=1
	v_cvt_i32_f32_e32 v0, v114
	v_cvt_i32_f32_e32 v1, v113
	;; [unrolled: 1-line block ×4, first 2 shown]
	v_cvt_f32_i32_dpp v0, v0 row_shr:8 row_mask:0xf bank_mask:0xf bound_ctrl:1
	v_cvt_f32_i32_dpp v1, v1 row_shr:8 row_mask:0xf bank_mask:0xf bound_ctrl:1
	;; [unrolled: 1-line block ×3, first 2 shown]
	v_cvt_i32_f32_e32 v4, v97
	v_add_f32_e32 v0, v114, v0
	v_cvt_i32_f32_e32 v5, v0
	v_add_f32_e32 v1, v113, v1
	v_cvt_i32_f32_e32 v6, v1
	v_add_f32_e32 v2, v112, v2
	v_cvt_f32_i32_dpp v5, v5 row_shr:4 row_mask:0xf bank_mask:0xf bound_ctrl:1
	v_cvt_i32_f32_e32 v7, v2
	v_cvt_f32_i32_dpp v6, v6 row_shr:4 row_mask:0xf bank_mask:0xf bound_ctrl:1
	v_cvt_f32_i32_dpp v3, v3 row_shr:8 row_mask:0xf bank_mask:0xf bound_ctrl:1
	v_add_f32_e32 v0, v0, v5
	v_cvt_i32_f32_e32 v5, v0
	v_add_f32_e32 v1, v1, v6
	v_cvt_i32_f32_e32 v6, v1
	v_cvt_f32_i32_dpp v4, v4 row_shr:8 row_mask:0xf bank_mask:0xf bound_ctrl:1
	v_cvt_f32_i32_dpp v5, v5 row_shr:2 row_mask:0xf bank_mask:0xf bound_ctrl:1
	;; [unrolled: 1-line block ×4, first 2 shown]
	v_add_f32_e32 v3, v111, v3
	v_add_f32_e32 v0, v0, v5
	v_cvt_i32_f32_e32 v5, v0
	v_add_f32_e32 v4, v97, v4
	v_cvt_i32_f32_e32 v8, v3
	v_cvt_i32_f32_e32 v9, v4
	v_cvt_f32_i32_dpp v5, v5 row_shr:1 row_mask:0xf bank_mask:0xf bound_ctrl:1
	v_add_f32_e32 v2, v2, v7
	v_add_f32_e32 v1, v1, v6
	v_cvt_i32_f32_e32 v7, v2
	v_add_f32_e32 v0, v0, v5
	v_cvt_i32_f32_e32 v5, v0
	v_cvt_i32_f32_e32 v6, v1
	v_cvt_f32_i32_dpp v8, v8 row_shr:4 row_mask:0xf bank_mask:0xf bound_ctrl:1
	v_cvt_f32_i32_dpp v9, v9 row_shr:4 row_mask:0xf bank_mask:0xf bound_ctrl:1
	v_cvt_f32_i32_dpp v5, v5 row_bcast:15 row_mask:0xf bank_mask:0xf bound_ctrl:1
	v_cvt_f32_i32_dpp v7, v7 row_shr:2 row_mask:0xf bank_mask:0xf bound_ctrl:1
	v_cvt_f32_i32_dpp v6, v6 row_shr:1 row_mask:0xf bank_mask:0xf bound_ctrl:1
	v_add_f32_e32 v3, v3, v8
	v_add_f32_e32 v0, v0, v5
	v_cvt_i32_f32_e32 v5, v0
	v_add_f32_e32 v4, v4, v9
	v_add_f32_e32 v2, v2, v7
	;; [unrolled: 1-line block ×3, first 2 shown]
	v_mov_b32_dpp v1, v5 row_bcast:31 row_mask:0xf bank_mask:0xf bound_ctrl:1
	v_cvt_i32_f32_e32 v5, v3
	v_cvt_i32_f32_e32 v8, v4
	;; [unrolled: 1-line block ×3, first 2 shown]
	s_waitcnt vmcnt(0)
	v_cvt_i32_f32_e32 v10, v6
	v_cvt_f32_i32_dpp v5, v5 row_shr:2 row_mask:0xf bank_mask:0xf bound_ctrl:1
	v_cvt_f32_i32_dpp v8, v8 row_shr:2 row_mask:0xf bank_mask:0xf bound_ctrl:1
	;; [unrolled: 1-line block ×3, first 2 shown]
	v_cvt_f32_i32_dpp v9, v10 row_bcast:15 row_mask:0xf bank_mask:0xf bound_ctrl:1
	v_add_f32_e32 v3, v3, v5
	v_add_f32_e32 v4, v4, v8
	;; [unrolled: 1-line block ×3, first 2 shown]
	v_cvt_i32_f32_e32 v2, v3
	v_cvt_i32_f32_e32 v5, v4
	;; [unrolled: 1-line block ×3, first 2 shown]
	v_cvt_f32_i32_dpp v10, v2 row_shr:1 row_mask:0xf bank_mask:0xf bound_ctrl:1
	v_cvt_f32_i32_dpp v5, v5 row_shr:1 row_mask:0xf bank_mask:0xf bound_ctrl:1
	v_add_f32_e32 v2, v6, v9
	v_cvt_f32_i32_dpp v6, v8 row_bcast:15 row_mask:0xf bank_mask:0xf bound_ctrl:1
	v_add_f32_e32 v8, v3, v10
	v_add_f32_e32 v5, v4, v5
	v_cvt_i32_f32_e32 v3, v8
	v_cvt_i32_f32_e32 v4, v5
	;; [unrolled: 1-line block ×3, first 2 shown]
	v_cvt_f32_i32_dpp v10, v3 row_bcast:15 row_mask:0xf bank_mask:0xf bound_ctrl:1
	v_add_f32_e32 v3, v7, v6
	v_cvt_f32_i32_dpp v6, v4 row_bcast:15 row_mask:0xf bank_mask:0xf bound_ctrl:1
	v_cvt_i32_f32_e32 v7, v3
	v_add_f32_e32 v4, v8, v10
	v_cvt_i32_f32_e32 v10, v4
	v_add_f32_e32 v5, v5, v6
	v_cvt_i32_f32_e32 v6, v5
	v_mov_b32_dpp v9, v9 row_bcast:31 row_mask:0xf bank_mask:0xf bound_ctrl:1
	v_mov_b32_dpp v8, v7 row_bcast:31 row_mask:0xf bank_mask:0xf bound_ctrl:1
	;; [unrolled: 1-line block ×4, first 2 shown]
	s_and_saveexec_b64 s[6:7], s[0:1]
	s_cbranch_execz .LBB145_36
; %bb.32:                               ;   in Loop: Header=BB145_7 Depth=1
	s_andn2_b64 vcc, exec, s[26:27]
	v_mov_b32_e32 v14, 0
	v_mov_b32_e32 v13, 0
	;; [unrolled: 1-line block ×5, first 2 shown]
	s_cbranch_vccnz .LBB145_34
; %bb.33:                               ;   in Loop: Header=BB145_7 Depth=1
	v_mul_hi_u32 v10, v96, v107
	v_mul_lo_u32 v10, v10, s12
	v_sub_u32_e32 v10, v96, v10
	v_subrev_u32_e32 v11, s12, v10
	v_cmp_le_u32_e32 vcc, s12, v10
	s_nop 1
	v_cndmask_b32_e32 v10, v10, v11, vcc
	v_subrev_u32_e32 v11, s12, v10
	v_cmp_le_u32_e32 vcc, s12, v10
	s_nop 1
	v_cndmask_b32_e32 v98, v10, v11, vcc
	v_add_u32_e32 v10, s43, v98
	v_mov_b32_e32 v11, v99
	v_lshl_add_u64 v[18:19], v[10:11], 1, s[18:19]
	v_add_u32_e32 v10, s44, v98
	v_lshl_add_u64 v[16:17], v[98:99], 1, s[18:19]
	v_lshl_add_u64 v[20:21], v[10:11], 1, s[18:19]
	v_add_u32_e32 v10, s45, v98
	v_add_u32_e32 v98, s46, v98
	v_lshl_add_u64 v[22:23], v[10:11], 1, s[18:19]
	v_lshl_add_u64 v[24:25], v[98:99], 1, s[18:19]
	global_load_ushort v14, v[16:17], off
	global_load_ushort v13, v[18:19], off
	;; [unrolled: 1-line block ×5, first 2 shown]
.LBB145_34:                             ;   in Loop: Header=BB145_7 Depth=1
	v_cmp_ne_u32_e32 vcc, 0, v101
	s_and_b64 exec, exec, vcc
	s_cbranch_execz .LBB145_36
; %bb.35:                               ;   in Loop: Header=BB145_7 Depth=1
	v_cvt_f32_i32_e32 v1, v1
	v_cvt_f32_i32_e32 v6, v6
	;; [unrolled: 1-line block ×3, first 2 shown]
	v_mov_b32_e32 v97, v99
	v_add_f32_e32 v0, v0, v1
	v_cvt_f32_i32_e32 v1, v7
	s_waitcnt vmcnt(4)
	v_cvt_f32_f16_e32 v7, v14
	v_add_f32_e32 v5, v5, v6
	v_add_f32_e32 v2, v2, v9
	;; [unrolled: 1-line block ×4, first 2 shown]
	v_cvt_f16_f32_e32 v6, v0
	s_waitcnt vmcnt(3)
	v_cvt_f32_f16_e32 v7, v13
	s_waitcnt lgkmcnt(0)
	v_lshl_add_u64 v[0:1], v[96:97], 1, s[10:11]
	v_cvt_f32_i32_e32 v8, v8
	global_store_short v[0:1], v6, off
	v_add_f32_e32 v0, v2, v7
	v_cvt_f16_f32_e32 v2, v0
	s_waitcnt vmcnt(3)
	v_cvt_f32_f16_e32 v6, v12
	v_add_u32_e32 v98, s23, v96
	v_add_f32_e32 v3, v3, v8
	v_lshl_add_u64 v[0:1], v[98:99], 1, s[10:11]
	global_store_short v[0:1], v2, off
	v_add_f32_e32 v0, v3, v6
	v_cvt_f16_f32_e32 v2, v0
	v_add_u32_e32 v98, s23, v98
	s_waitcnt vmcnt(3)
	v_cvt_f32_f16_e32 v3, v11
	v_lshl_add_u64 v[0:1], v[98:99], 1, s[10:11]
	global_store_short v[0:1], v2, off
	s_waitcnt vmcnt(3)
	v_cvt_f32_f16_e32 v2, v10
	v_add_f32_e32 v0, v4, v3
	v_cvt_f16_f32_e32 v3, v0
	v_add_u32_e32 v98, s23, v98
	v_add_f32_e32 v2, v5, v2
	v_cvt_f16_f32_e32 v2, v2
	v_lshl_add_u64 v[0:1], v[98:99], 1, s[10:11]
	v_add_u32_e32 v98, s23, v98
	global_store_short v[0:1], v3, off
	v_lshl_add_u64 v[0:1], v[98:99], 1, s[10:11]
	global_store_short v[0:1], v2, off
.LBB145_36:                             ;   in Loop: Header=BB145_7 Depth=1
	s_or_b64 exec, exec, s[6:7]
	v_add_u32_e32 v0, s42, v96
	v_add_u32_e32 v1, 1, v0
	v_cmp_gt_u32_e32 vcc, s23, v0
	v_cmp_le_u32_e64 s[6:7], s23, v1
	s_and_b64 s[28:29], vcc, s[6:7]
	s_and_saveexec_b64 s[6:7], s[28:29]
	s_cbranch_execz .LBB145_5
; %bb.37:                               ;   in Loop: Header=BB145_7 Depth=1
	v_add_u32_e32 v0, s13, v96
	v_cmp_eq_u32_e32 vcc, 1, v0
	v_mov_b32_e32 v0, s41
	s_nop 0
	v_cndmask_b32_e32 v101, 0, v101, vcc
	s_branch .LBB145_5
.LBB145_38:
	s_endpgm
	.section	.rodata,"a",@progbits
	.p2align	6, 0x0
	.amdhsa_kernel _Z16wvSplitK_hf_big_I6__halfLi64ELi1ELi16ELi8ELi4ELi5EEviiiiiiPKT_S3_S3_PS1_ii
		.amdhsa_group_segment_fixed_size 65536
		.amdhsa_private_segment_fixed_size 0
		.amdhsa_kernarg_size 64
		.amdhsa_user_sgpr_count 2
		.amdhsa_user_sgpr_dispatch_ptr 0
		.amdhsa_user_sgpr_queue_ptr 0
		.amdhsa_user_sgpr_kernarg_segment_ptr 1
		.amdhsa_user_sgpr_dispatch_id 0
		.amdhsa_user_sgpr_kernarg_preload_length 0
		.amdhsa_user_sgpr_kernarg_preload_offset 0
		.amdhsa_user_sgpr_private_segment_size 0
		.amdhsa_uses_dynamic_stack 0
		.amdhsa_enable_private_segment 0
		.amdhsa_system_sgpr_workgroup_id_x 1
		.amdhsa_system_sgpr_workgroup_id_y 0
		.amdhsa_system_sgpr_workgroup_id_z 0
		.amdhsa_system_sgpr_workgroup_info 0
		.amdhsa_system_vgpr_workitem_id 1
		.amdhsa_next_free_vgpr 122
		.amdhsa_next_free_sgpr 54
		.amdhsa_accum_offset 124
		.amdhsa_reserve_vcc 1
		.amdhsa_float_round_mode_32 0
		.amdhsa_float_round_mode_16_64 0
		.amdhsa_float_denorm_mode_32 3
		.amdhsa_float_denorm_mode_16_64 3
		.amdhsa_dx10_clamp 1
		.amdhsa_ieee_mode 1
		.amdhsa_fp16_overflow 0
		.amdhsa_tg_split 0
		.amdhsa_exception_fp_ieee_invalid_op 0
		.amdhsa_exception_fp_denorm_src 0
		.amdhsa_exception_fp_ieee_div_zero 0
		.amdhsa_exception_fp_ieee_overflow 0
		.amdhsa_exception_fp_ieee_underflow 0
		.amdhsa_exception_fp_ieee_inexact 0
		.amdhsa_exception_int_div_zero 0
	.end_amdhsa_kernel
	.section	.text._Z16wvSplitK_hf_big_I6__halfLi64ELi1ELi16ELi8ELi4ELi5EEviiiiiiPKT_S3_S3_PS1_ii,"axG",@progbits,_Z16wvSplitK_hf_big_I6__halfLi64ELi1ELi16ELi8ELi4ELi5EEviiiiiiPKT_S3_S3_PS1_ii,comdat
.Lfunc_end145:
	.size	_Z16wvSplitK_hf_big_I6__halfLi64ELi1ELi16ELi8ELi4ELi5EEviiiiiiPKT_S3_S3_PS1_ii, .Lfunc_end145-_Z16wvSplitK_hf_big_I6__halfLi64ELi1ELi16ELi8ELi4ELi5EEviiiiiiPKT_S3_S3_PS1_ii
                                        ; -- End function
	.section	.AMDGPU.csdata,"",@progbits
; Kernel info:
; codeLenInByte = 4076
; NumSgprs: 60
; NumVgprs: 122
; NumAgprs: 0
; TotalNumVgprs: 122
; ScratchSize: 0
; MemoryBound: 0
; FloatMode: 240
; IeeeMode: 1
; LDSByteSize: 65536 bytes/workgroup (compile time only)
; SGPRBlocks: 7
; VGPRBlocks: 15
; NumSGPRsForWavesPerEU: 60
; NumVGPRsForWavesPerEU: 122
; AccumOffset: 124
; Occupancy: 4
; WaveLimiterHint : 0
; COMPUTE_PGM_RSRC2:SCRATCH_EN: 0
; COMPUTE_PGM_RSRC2:USER_SGPR: 2
; COMPUTE_PGM_RSRC2:TRAP_HANDLER: 0
; COMPUTE_PGM_RSRC2:TGID_X_EN: 1
; COMPUTE_PGM_RSRC2:TGID_Y_EN: 0
; COMPUTE_PGM_RSRC2:TGID_Z_EN: 0
; COMPUTE_PGM_RSRC2:TIDIG_COMP_CNT: 1
; COMPUTE_PGM_RSRC3_GFX90A:ACCUM_OFFSET: 30
; COMPUTE_PGM_RSRC3_GFX90A:TG_SPLIT: 0
	.section	.text._Z16wvSplitK_hf_sml_I6__halfLi64ELi2ELi16ELi8ELi2ELi5EEviiiiiiPKT_S3_S3_PS1_ii,"axG",@progbits,_Z16wvSplitK_hf_sml_I6__halfLi64ELi2ELi16ELi8ELi2ELi5EEviiiiiiPKT_S3_S3_PS1_ii,comdat
	.protected	_Z16wvSplitK_hf_sml_I6__halfLi64ELi2ELi16ELi8ELi2ELi5EEviiiiiiPKT_S3_S3_PS1_ii ; -- Begin function _Z16wvSplitK_hf_sml_I6__halfLi64ELi2ELi16ELi8ELi2ELi5EEviiiiiiPKT_S3_S3_PS1_ii
	.globl	_Z16wvSplitK_hf_sml_I6__halfLi64ELi2ELi16ELi8ELi2ELi5EEviiiiiiPKT_S3_S3_PS1_ii
	.p2align	8
	.type	_Z16wvSplitK_hf_sml_I6__halfLi64ELi2ELi16ELi8ELi2ELi5EEviiiiiiPKT_S3_S3_PS1_ii,@function
_Z16wvSplitK_hf_sml_I6__halfLi64ELi2ELi16ELi8ELi2ELi5EEviiiiiiPKT_S3_S3_PS1_ii: ; @_Z16wvSplitK_hf_sml_I6__halfLi64ELi2ELi16ELi8ELi2ELi5EEviiiiiiPKT_S3_S3_PS1_ii
; %bb.0:
	s_load_dwordx4 s[4:7], s[0:1], 0x0
	s_load_dwordx2 s[8:9], s[0:1], 0x10
	s_load_dwordx2 s[10:11], s[0:1], 0x28
	v_and_b32_e32 v2, 0x3ff, v0
	v_bfe_u32 v3, v0, 10, 10
	v_lshlrev_b32_e32 v64, 3, v2
	s_waitcnt lgkmcnt(0)
	s_mul_i32 s3, s6, 5
	v_lshl_add_u32 v4, v3, 9, v64
	s_min_u32 s3, s3, 0x8000
	v_cmp_gt_u32_e32 vcc, s3, v4
	s_and_saveexec_b64 s[12:13], vcc
	s_cbranch_execz .LBB146_3
; %bb.1:
	s_load_dwordx2 s[14:15], s[0:1], 0x20
	v_mov_b32_e32 v7, 0
	v_lshlrev_b32_e32 v6, 10, v3
	v_lshlrev_b32_e32 v8, 4, v2
	v_mov_b32_e32 v9, v7
	v_lshl_add_u64 v[0:1], v[6:7], 0, v[8:9]
	s_waitcnt lgkmcnt(0)
	v_lshl_add_u64 v[0:1], s[14:15], 0, v[0:1]
	v_add_u32_e32 v5, v6, v8
	s_mov_b64 s[14:15], 0
	s_mov_b64 s[16:17], 0x4000
.LBB146_2:                              ; =>This Inner Loop Header: Depth=1
	global_load_dwordx4 v[6:9], v[0:1], off
	v_add_u32_e32 v4, 0x2000, v4
	v_cmp_le_u32_e32 vcc, s3, v4
	v_lshl_add_u64 v[0:1], v[0:1], 0, s[16:17]
	s_or_b64 s[14:15], vcc, s[14:15]
	s_waitcnt vmcnt(0)
	ds_write_b128 v5, v[6:9]
	v_add_u32_e32 v5, 0x4000, v5
	s_andn2_b64 exec, exec, s[14:15]
	s_cbranch_execnz .LBB146_2
.LBB146_3:
	s_or_b64 exec, exec, s[12:13]
	s_load_dwordx2 s[16:17], s[0:1], 0x38
	s_waitcnt lgkmcnt(0)
	s_barrier
	v_cmp_gt_u32_e32 vcc, s16, v3
	s_and_saveexec_b64 s[12:13], vcc
	s_cbranch_execz .LBB146_20
; %bb.4:
	s_mul_i32 s2, s2, s16
	v_add_lshl_u32 v48, s2, v3, 1
	v_cmp_gt_u32_e32 vcc, s7, v48
	s_and_b64 exec, exec, vcc
	s_cbranch_execz .LBB146_20
; %bb.5:
	s_cmp_lg_u32 s4, 0
	s_cselect_b64 s[2:3], -1, 0
	s_add_i32 s24, s4, -8
	s_add_i32 s25, s7, -1
	s_cmp_lg_u64 s[10:11], 0
	s_cselect_b64 s[18:19], -1, 0
	s_abs_i32 s21, s9
	v_cvt_f32_u32_e32 v0, s8
	v_cvt_f32_u32_e32 v1, s21
	s_mul_i32 s20, s16, s17
	s_lshl_b32 s9, s20, 1
	v_rcp_iflag_f32_e32 v0, v0
	v_rcp_iflag_f32_e32 v1, v1
	s_sub_i32 s20, 0, s8
	s_load_dwordx2 s[12:13], s[0:1], 0x18
	s_load_dwordx2 s[14:15], s[0:1], 0x30
	v_mul_f32_e32 v0, 0x4f7ffffe, v0
	v_mul_f32_e32 v1, 0x4f7ffffe, v1
	v_cvt_u32_f32_e32 v0, v0
	v_cvt_u32_f32_e32 v1, v1
	v_cmp_eq_u32_e64 s[0:1], 63, v2
	s_mov_b64 s[16:17], 0
	v_mul_lo_u32 v3, s20, v0
	s_sub_i32 s20, 0, s21
	v_readfirstlane_b32 s22, v1
	s_mul_i32 s20, s20, s22
	s_mul_hi_u32 s20, s22, s20
	s_add_i32 s22, s22, s20
	s_sub_i32 s20, 1, s21
	s_cmp_lt_u32 s21, 2
	s_cselect_b32 s20, s20, 1
	s_sub_i32 s23, s20, s21
	s_cmp_ge_u32 s20, s21
	s_cselect_b32 s26, s23, s20
	s_lshr_b32 s20, s22, 31
	s_mul_i32 s20, s20, s21
	s_sub_i32 s20, 2, s20
	s_sub_i32 s23, s20, s21
	s_cmp_ge_u32 s20, s21
	s_cselect_b32 s20, s23, s20
	s_sub_i32 s23, s20, s21
	s_cmp_ge_u32 s20, s21
	s_cselect_b32 s27, s23, s20
	s_mul_hi_u32 s20, s22, 3
	s_mul_i32 s20, s20, s21
	s_sub_i32 s20, 3, s20
	s_sub_i32 s23, s20, s21
	s_cmp_ge_u32 s20, s21
	s_cselect_b32 s20, s23, s20
	s_sub_i32 s23, s20, s21
	s_cmp_ge_u32 s20, s21
	s_cselect_b32 s28, s23, s20
	s_lshr_b32 s20, s22, 30
	s_mul_i32 s20, s20, s21
	s_sub_i32 s20, 4, s20
	s_sub_i32 s22, s20, s21
	s_cmp_ge_u32 s20, s21
	s_cselect_b32 s20, s22, s20
	s_sub_i32 s22, s20, s21
	v_mul_hi_u32 v3, v0, v3
	s_cmp_ge_u32 s20, s21
	v_add_u32_e32 v65, v0, v3
	s_cselect_b32 s29, s22, s20
	v_cndmask_b32_e64 v0, 0, 1, s[2:3]
	v_mov_b32_e32 v51, 0
	s_mul_i32 s26, s26, s8
	s_mul_i32 s27, s27, s8
	;; [unrolled: 1-line block ×4, first 2 shown]
	s_lshl_b32 s30, s6, 3
	v_lshlrev_b32_e32 v66, 4, v2
	s_mul_i32 s31, s6, 6
	s_lshl_b32 s33, s6, 2
	s_lshl_b32 s6, s6, 1
	v_cmp_ne_u32_e64 s[2:3], 1, v0
	s_branch .LBB146_8
.LBB146_6:                              ;   in Loop: Header=BB146_8 Depth=1
	v_cvt_f32_i32_e32 v3, v3
	v_cvt_f32_i32_e32 v6, v6
	;; [unrolled: 1-line block ×4, first 2 shown]
	v_add_f32_e32 v1, v1, v3
	v_add_f32_e32 v3, v4, v6
	;; [unrolled: 1-line block ×3, first 2 shown]
	v_cvt_f32_i32_e32 v5, v10
	s_waitcnt vmcnt(8)
	v_cvt_f32_f16_e32 v10, v28
	v_add_f32_e32 v0, v0, v2
	v_cvt_f32_i32_e32 v2, v11
	v_add_f32_e32 v5, v9, v5
	v_cvt_f32_f16_e32 v9, v29
	v_cvt_f32_i32_e32 v11, v16
	v_add_u32_e32 v50, s7, v48
	v_add_f32_e32 v2, v7, v2
	v_add_f32_e32 v0, v0, v9
	v_cvt_f16_f32_e32 v9, v0
	v_add_f32_e32 v0, v1, v10
	v_cvt_f16_f32_e32 v10, v0
	v_add_f32_e32 v11, v12, v11
	s_waitcnt vmcnt(7)
	v_cvt_f32_f16_e32 v12, v27
	s_waitcnt lgkmcnt(0)
	v_lshl_add_u64 v[0:1], v[48:49], 1, s[14:15]
	v_pack_b32_f16 v9, v9, v10
	global_store_dword v[0:1], v9, off
	v_add_f32_e32 v0, v3, v12
	v_cvt_f16_f32_e32 v3, v0
	s_waitcnt vmcnt(7)
	v_cvt_f32_f16_e32 v9, v26
	v_lshl_add_u64 v[0:1], v[50:51], 1, s[14:15]
	v_cvt_f32_i32_e32 v6, v19
	global_store_short v[0:1], v3, off
	v_add_f32_e32 v0, v4, v9
	v_cvt_f16_f32_e32 v3, v0
	s_waitcnt vmcnt(7)
	v_cvt_f32_f16_e32 v4, v25
	s_waitcnt vmcnt(6)
	v_cvt_f32_f16_e32 v9, v24
	v_add_u32_e32 v0, 1, v50
	v_mov_b32_e32 v1, v51
	v_lshl_add_u64 v[0:1], v[0:1], 1, s[14:15]
	global_store_short v[0:1], v3, off
	v_add_f32_e32 v0, v2, v4
	v_cvt_f16_f32_e32 v2, v0
	v_add_f32_e32 v0, v5, v9
	v_cvt_f16_f32_e32 v3, v0
	s_waitcnt vmcnt(6)
	v_cvt_f32_f16_e32 v4, v23
	v_add_u32_e32 v50, s7, v50
	v_add_f32_e32 v6, v13, v6
	v_lshl_add_u64 v[0:1], v[50:51], 1, s[14:15]
	v_pack_b32_f16 v2, v2, v3
	v_cvt_f32_i32_e32 v7, v18
	global_store_dword v[0:1], v2, off
	v_add_f32_e32 v0, v6, v4
	v_cvt_f16_f32_e32 v2, v0
	s_waitcnt vmcnt(6)
	v_cvt_f32_f16_e32 v3, v21
	v_add_u32_e32 v50, s7, v50
	v_cvt_f32_i32_e32 v8, v17
	v_add_f32_e32 v7, v15, v7
	v_lshl_add_u64 v[0:1], v[50:51], 1, s[14:15]
	global_store_short v[0:1], v2, off
	v_add_f32_e32 v0, v7, v3
	s_waitcnt vmcnt(6)
	v_cvt_f32_f16_e32 v3, v22
	s_waitcnt vmcnt(5)
	v_cvt_f32_f16_e32 v4, v20
	v_add_f32_e32 v8, v14, v8
	v_cvt_f16_f32_e32 v2, v0
	v_add_f32_e32 v3, v8, v3
	v_add_f32_e32 v4, v11, v4
	v_cvt_f16_f32_e32 v3, v3
	v_cvt_f16_f32_e32 v4, v4
	v_add_u32_e32 v0, 1, v50
	v_mov_b32_e32 v1, v51
	v_lshl_add_u64 v[0:1], v[0:1], 1, s[14:15]
	v_add_u32_e32 v50, s7, v50
	global_store_short v[0:1], v2, off
	v_lshl_add_u64 v[0:1], v[50:51], 1, s[14:15]
	v_pack_b32_f16 v2, v3, v4
	global_store_dword v[0:1], v2, off
.LBB146_7:                              ;   in Loop: Header=BB146_8 Depth=1
	s_or_b64 exec, exec, s[20:21]
	v_add_u32_e32 v48, s9, v48
	v_cmp_le_u32_e32 vcc, s7, v48
	s_or_b64 s[16:17], vcc, s[16:17]
	s_andn2_b64 exec, exec, s[16:17]
	s_cbranch_execz .LBB146_20
.LBB146_8:                              ; =>This Loop Header: Depth=1
                                        ;     Child Loop BB146_12 Depth 2
	s_mov_b32 s34, 0
	s_and_b64 vcc, exec, s[2:3]
	v_mov_b32_e32 v75, v51
	v_mov_b32_e32 v74, v51
	;; [unrolled: 1-line block ×10, first 2 shown]
	s_cbranch_vccnz .LBB146_15
; %bb.9:                                ;   in Loop: Header=BB146_8 Depth=1
	v_min_u32_e32 v0, s25, v48
	v_mul_lo_u32 v50, v0, s5
	v_or_b32_e32 v0, 1, v48
	v_min_u32_e32 v0, s25, v0
	v_mul_lo_u32 v0, v0, s5
	v_mov_b32_e32 v1, v51
	v_mov_b32_e32 v71, 0
	v_lshlrev_b64 v[52:53], 1, v[50:51]
	v_lshlrev_b64 v[54:55], 1, v[0:1]
	v_mov_b32_e32 v76, v66
	v_mov_b32_e32 v70, 0
	;; [unrolled: 1-line block ×10, first 2 shown]
	s_branch .LBB146_12
.LBB146_10:                             ;   in Loop: Header=BB146_12 Depth=2
	s_or_b64 exec, exec, s[22:23]
.LBB146_11:                             ;   in Loop: Header=BB146_12 Depth=2
	s_or_b64 exec, exec, s[20:21]
	s_waitcnt vmcnt(3) lgkmcnt(1)
	;;#ASMSTART
	v_dot2c_f32_f16 v75, v44, v20
	;;#ASMEND
	s_waitcnt vmcnt(2)
	;;#ASMSTART
	v_dot2c_f32_f16 v74, v44, v16
	;;#ASMEND
	;;#ASMSTART
	v_dot2c_f32_f16 v73, v40, v20
	;;#ASMEND
	;; [unrolled: 3-line block ×7, first 2 shown]
	s_waitcnt lgkmcnt(0)
	;;#ASMSTART
	v_dot2c_f32_f16 v67, v28, v20
	;;#ASMEND
	;;#ASMSTART
	v_dot2c_f32_f16 v49, v28, v16
	;;#ASMEND
	;;#ASMSTART
	v_dot2c_f32_f16 v75, v45, v21
	;;#ASMEND
	;;#ASMSTART
	v_dot2c_f32_f16 v74, v45, v17
	;;#ASMEND
	;;#ASMSTART
	v_dot2c_f32_f16 v73, v41, v21
	;;#ASMEND
	;;#ASMSTART
	v_dot2c_f32_f16 v72, v41, v17
	;;#ASMEND
	;;#ASMSTART
	v_dot2c_f32_f16 v71, v61, v21
	;;#ASMEND
	;;#ASMSTART
	v_dot2c_f32_f16 v70, v61, v17
	;;#ASMEND
	;;#ASMSTART
	v_dot2c_f32_f16 v69, v37, v21
	;;#ASMEND
	;;#ASMSTART
	v_dot2c_f32_f16 v68, v37, v17
	;;#ASMEND
	s_nop 0
	;;#ASMSTART
	v_dot2c_f32_f16 v67, v29, v21
	;;#ASMEND
	;;#ASMSTART
	v_dot2c_f32_f16 v49, v29, v17
	;;#ASMEND
	;;#ASMSTART
	v_dot2c_f32_f16 v75, v46, v22
	;;#ASMEND
	;;#ASMSTART
	v_dot2c_f32_f16 v74, v46, v18
	;;#ASMEND
	;;#ASMSTART
	v_dot2c_f32_f16 v73, v42, v22
	;;#ASMEND
	;;#ASMSTART
	v_dot2c_f32_f16 v72, v42, v18
	;;#ASMEND
	;;#ASMSTART
	v_dot2c_f32_f16 v71, v62, v22
	;;#ASMEND
	;;#ASMSTART
	v_dot2c_f32_f16 v70, v62, v18
	;;#ASMEND
	;;#ASMSTART
	v_dot2c_f32_f16 v69, v38, v22
	;;#ASMEND
	;;#ASMSTART
	v_dot2c_f32_f16 v68, v38, v18
	;;#ASMEND
	s_nop 0
	;; [unrolled: 31-line block ×3, first 2 shown]
	;;#ASMSTART
	v_dot2c_f32_f16 v67, v31, v23
	;;#ASMEND
	;;#ASMSTART
	v_dot2c_f32_f16 v49, v31, v19
	;;#ASMEND
	s_waitcnt vmcnt(1)
	;;#ASMSTART
	v_dot2c_f32_f16 v75, v32, v4
	;;#ASMEND
	s_waitcnt vmcnt(0)
	;;#ASMSTART
	v_dot2c_f32_f16 v74, v32, v0
	;;#ASMEND
	;;#ASMSTART
	v_dot2c_f32_f16 v73, v24, v4
	;;#ASMEND
	;; [unrolled: 3-line block ×10, first 2 shown]
	s_nop 0
	;;#ASMSTART
	v_dot2c_f32_f16 v74, v33, v1
	;;#ASMEND
	;;#ASMSTART
	v_dot2c_f32_f16 v73, v25, v5
	;;#ASMEND
	;; [unrolled: 3-line block ×9, first 2 shown]
	s_addk_i32 s34, 0x400
	;;#ASMSTART
	v_dot2c_f32_f16 v75, v34, v6
	;;#ASMEND
	;;#ASMSTART
	v_dot2c_f32_f16 v74, v34, v2
	;;#ASMEND
	;; [unrolled: 3-line block ×10, first 2 shown]
	s_cmp_ge_u32 s34, s4
	v_add_u32_e32 v76, 0x800, v76
	;;#ASMSTART
	v_dot2c_f32_f16 v75, v35, v7
	;;#ASMEND
	;;#ASMSTART
	v_dot2c_f32_f16 v74, v35, v3
	;;#ASMEND
	;; [unrolled: 3-line block ×10, first 2 shown]
	s_cbranch_scc1 .LBB146_15
.LBB146_12:                             ;   Parent Loop BB146_8 Depth=1
                                        ; =>  This Inner Loop Header: Depth=2
	v_add_u32_e32 v12, s34, v64
	v_min_u32_e32 v50, s24, v12
	s_waitcnt lgkmcnt(0)
	v_lshl_add_u64 v[0:1], v[50:51], 1, s[12:13]
	v_add_u32_e32 v77, 0x200, v12
	v_lshl_add_u64 v[2:3], v[0:1], 0, v[52:53]
	v_lshl_add_u64 v[0:1], v[0:1], 0, v[54:55]
	v_min_u32_e32 v50, s24, v77
	global_load_dwordx4 v[20:23], v[2:3], off nt
	global_load_dwordx4 v[16:19], v[0:1], off nt
	v_lshl_add_u64 v[0:1], v[50:51], 1, s[12:13]
	v_lshl_add_u64 v[8:9], v[0:1], 0, v[52:53]
	;; [unrolled: 1-line block ×3, first 2 shown]
	global_load_dwordx4 v[4:7], v[8:9], off nt
	global_load_dwordx4 v[0:3], v[10:11], off nt
	v_cmp_gt_u32_e32 vcc, s4, v12
	v_mov_b32_e32 v44, 0
	v_mov_b32_e32 v45, 0
	;; [unrolled: 1-line block ×40, first 2 shown]
	s_and_saveexec_b64 s[20:21], vcc
	s_cbranch_execz .LBB146_11
; %bb.13:                               ;   in Loop: Header=BB146_12 Depth=2
	v_add_u32_e32 v50, s6, v76
	v_add_u32_e32 v79, s33, v76
	ds_read_b128 v[40:43], v50
	ds_read2_b32 v[60:61], v79 offset1:1
	v_add_u32_e32 v80, s31, v76
	ds_read2_b32 v[62:63], v79 offset0:2 offset1:3
	ds_read_b128 v[36:39], v80
	v_add_u32_e32 v78, s30, v76
	ds_read_b128 v[44:47], v76
	ds_read2_b64 v[28:31], v78 offset1:1
	v_cmp_gt_u32_e32 vcc, s4, v77
	v_mov_b32_e32 v11, 0
	v_mov_b32_e32 v10, 0
	;; [unrolled: 1-line block ×20, first 2 shown]
	s_and_saveexec_b64 s[22:23], vcc
	s_cbranch_execz .LBB146_10
; %bb.14:                               ;   in Loop: Header=BB146_12 Depth=2
	v_add_u32_e32 v8, 0x400, v79
	v_add_u32_e32 v9, 0x408, v79
	ds_read_b128 v[32:35], v76 offset:1024
	ds_read2_b32 v[56:57], v9 offset1:1
	ds_read_b128 v[24:27], v50 offset:1024
	ds_read_b128 v[12:15], v80 offset:1024
	ds_read2_b32 v[58:59], v8 offset1:1
	ds_read2_b64 v[8:11], v78 offset0:128 offset1:129
	s_branch .LBB146_10
.LBB146_15:                             ;   in Loop: Header=BB146_8 Depth=1
	; sched_barrier mask(0x00000000)
	v_cvt_i32_f32_e32 v0, v75
	v_cvt_i32_f32_e32 v1, v74
	v_cvt_i32_f32_e32 v2, v73
	v_cvt_i32_f32_e32 v3, v72
	v_cvt_f32_i32_dpp v0, v0 row_shr:8 row_mask:0xf bank_mask:0xf bound_ctrl:1
	v_cvt_f32_i32_dpp v1, v1 row_shr:8 row_mask:0xf bank_mask:0xf bound_ctrl:1
	;; [unrolled: 1-line block ×4, first 2 shown]
	v_add_f32_e32 v0, v75, v0
	v_cvt_i32_f32_e32 v4, v0
	v_add_f32_e32 v1, v74, v1
	v_cvt_i32_f32_e32 v5, v1
	v_add_f32_e32 v2, v73, v2
	v_cvt_f32_i32_dpp v4, v4 row_shr:4 row_mask:0xf bank_mask:0xf bound_ctrl:1
	v_cvt_i32_f32_e32 v6, v2
	v_cvt_f32_i32_dpp v5, v5 row_shr:4 row_mask:0xf bank_mask:0xf bound_ctrl:1
	v_add_f32_e32 v3, v72, v3
	v_add_f32_e32 v0, v0, v4
	v_cvt_i32_f32_e32 v4, v0
	v_add_f32_e32 v1, v1, v5
	v_cvt_i32_f32_e32 v5, v1
	v_cvt_f32_i32_dpp v6, v6 row_shr:4 row_mask:0xf bank_mask:0xf bound_ctrl:1
	v_cvt_f32_i32_dpp v4, v4 row_shr:2 row_mask:0xf bank_mask:0xf bound_ctrl:1
	v_cvt_i32_f32_e32 v7, v3
	v_cvt_f32_i32_dpp v5, v5 row_shr:2 row_mask:0xf bank_mask:0xf bound_ctrl:1
	v_add_f32_e32 v2, v2, v6
	v_add_f32_e32 v0, v0, v4
	v_cvt_i32_f32_e32 v4, v0
	v_cvt_i32_f32_e32 v6, v2
	v_add_f32_e32 v1, v1, v5
	v_cvt_i32_f32_e32 v5, v1
	v_cvt_f32_i32_dpp v4, v4 row_shr:1 row_mask:0xf bank_mask:0xf bound_ctrl:1
	v_cvt_f32_i32_dpp v6, v6 row_shr:2 row_mask:0xf bank_mask:0xf bound_ctrl:1
	;; [unrolled: 1-line block ×4, first 2 shown]
	v_add_f32_e32 v0, v0, v4
	v_cvt_i32_f32_e32 v4, v0
	v_add_f32_e32 v2, v2, v6
	v_cvt_i32_f32_e32 v6, v2
	v_add_f32_e32 v1, v1, v5
	v_cvt_f32_i32_dpp v4, v4 row_bcast:15 row_mask:0xf bank_mask:0xf bound_ctrl:1
	v_cvt_i32_f32_e32 v5, v1
	v_cvt_f32_i32_dpp v6, v6 row_shr:1 row_mask:0xf bank_mask:0xf bound_ctrl:1
	v_add_f32_e32 v7, v3, v7
	v_add_f32_e32 v0, v0, v4
	v_cvt_i32_f32_e32 v4, v0
	v_cvt_f32_i32_dpp v5, v5 row_bcast:15 row_mask:0xf bank_mask:0xf bound_ctrl:1
	v_add_f32_e32 v6, v2, v6
	v_cvt_i32_f32_e32 v8, v7
	v_mov_b32_dpp v2, v4 row_bcast:31 row_mask:0xf bank_mask:0xf bound_ctrl:1
	v_cvt_i32_f32_e32 v4, v71
	v_add_f32_e32 v1, v1, v5
	v_cvt_i32_f32_e32 v5, v1
	v_cvt_i32_f32_e32 v9, v6
	v_cvt_f32_i32_dpp v4, v4 row_shr:8 row_mask:0xf bank_mask:0xf bound_ctrl:1
	v_mov_b32_dpp v3, v5 row_bcast:31 row_mask:0xf bank_mask:0xf bound_ctrl:1
	v_cvt_f32_i32_dpp v5, v8 row_shr:2 row_mask:0xf bank_mask:0xf bound_ctrl:1
	v_cvt_f32_i32_dpp v8, v9 row_bcast:15 row_mask:0xf bank_mask:0xf bound_ctrl:1
	v_add_f32_e32 v9, v71, v4
	v_cvt_i32_f32_e32 v4, v9
	v_add_f32_e32 v5, v7, v5
	v_cvt_i32_f32_e32 v7, v70
	v_cvt_i32_f32_e32 v10, v5
	v_cvt_f32_i32_dpp v11, v4 row_shr:4 row_mask:0xf bank_mask:0xf bound_ctrl:1
	v_add_f32_e32 v4, v6, v8
	v_cvt_f32_i32_dpp v6, v7 row_shr:8 row_mask:0xf bank_mask:0xf bound_ctrl:1
	v_cvt_f32_i32_dpp v7, v10 row_shr:1 row_mask:0xf bank_mask:0xf bound_ctrl:1
	v_add_f32_e32 v8, v9, v11
	v_cvt_i32_f32_e32 v9, v8
	v_add_f32_e32 v6, v70, v6
	v_cvt_i32_f32_e32 v10, v6
	v_add_f32_e32 v5, v5, v7
	v_cvt_f32_i32_dpp v9, v9 row_shr:2 row_mask:0xf bank_mask:0xf bound_ctrl:1
	v_cvt_i32_f32_e32 v11, v4
	v_cvt_f32_i32_dpp v7, v10 row_shr:4 row_mask:0xf bank_mask:0xf bound_ctrl:1
	v_cvt_i32_f32_e32 v10, v5
	v_add_f32_e32 v8, v8, v9
	v_cvt_i32_f32_e32 v9, v8
	v_add_f32_e32 v7, v6, v7
	v_cvt_i32_f32_e32 v12, v7
	v_mov_b32_dpp v6, v11 row_bcast:31 row_mask:0xf bank_mask:0xf bound_ctrl:1
	v_cvt_f32_i32_dpp v9, v9 row_shr:1 row_mask:0xf bank_mask:0xf bound_ctrl:1
	v_cvt_f32_i32_dpp v10, v10 row_bcast:15 row_mask:0xf bank_mask:0xf bound_ctrl:1
	v_cvt_f32_i32_dpp v11, v12 row_shr:2 row_mask:0xf bank_mask:0xf bound_ctrl:1
	v_add_f32_e32 v9, v8, v9
	v_cvt_i32_f32_e32 v8, v69
	v_add_f32_e32 v7, v7, v11
	v_add_f32_e32 v5, v5, v10
	v_cvt_i32_f32_e32 v10, v7
	v_cvt_f32_i32_dpp v8, v8 row_shr:8 row_mask:0xf bank_mask:0xf bound_ctrl:1
	v_cvt_i32_f32_e32 v11, v9
	v_cvt_i32_f32_e32 v12, v5
	v_cvt_f32_i32_dpp v10, v10 row_shr:1 row_mask:0xf bank_mask:0xf bound_ctrl:1
	v_add_f32_e32 v13, v69, v8
	v_cvt_i32_f32_e32 v14, v13
	v_cvt_f32_i32_dpp v11, v11 row_bcast:15 row_mask:0xf bank_mask:0xf bound_ctrl:1
	v_add_f32_e32 v10, v7, v10
	v_mov_b32_dpp v8, v12 row_bcast:31 row_mask:0xf bank_mask:0xf bound_ctrl:1
	v_cvt_f32_i32_dpp v12, v14 row_shr:4 row_mask:0xf bank_mask:0xf bound_ctrl:1
	v_cvt_i32_f32_e32 v15, v10
	v_add_f32_e32 v7, v9, v11
	v_cvt_i32_f32_e32 v11, v68
	v_add_f32_e32 v12, v13, v12
	v_cvt_f32_i32_dpp v9, v15 row_bcast:15 row_mask:0xf bank_mask:0xf bound_ctrl:1
	v_cvt_i32_f32_e32 v13, v12
	v_cvt_f32_i32_dpp v11, v11 row_shr:8 row_mask:0xf bank_mask:0xf bound_ctrl:1
	v_cvt_i32_f32_e32 v14, v7
	v_add_f32_e32 v9, v10, v9
	v_cvt_f32_i32_dpp v10, v13 row_shr:2 row_mask:0xf bank_mask:0xf bound_ctrl:1
	v_add_f32_e32 v15, v68, v11
	v_cvt_i32_f32_e32 v16, v15
	v_cvt_i32_f32_e32 v13, v9
	v_add_f32_e32 v12, v12, v10
	v_cvt_i32_f32_e32 v17, v12
	v_mov_b32_dpp v11, v14 row_bcast:31 row_mask:0xf bank_mask:0xf bound_ctrl:1
	v_cvt_f32_i32_dpp v14, v16 row_shr:4 row_mask:0xf bank_mask:0xf bound_ctrl:1
	v_mov_b32_dpp v10, v13 row_bcast:31 row_mask:0xf bank_mask:0xf bound_ctrl:1
	v_cvt_f32_i32_dpp v13, v17 row_shr:1 row_mask:0xf bank_mask:0xf bound_ctrl:1
	v_cvt_i32_f32_e32 v16, v67
	v_add_f32_e32 v14, v15, v14
	v_cvt_i32_f32_e32 v15, v49
	v_add_f32_e32 v12, v12, v13
	v_cvt_f32_i32_dpp v16, v16 row_shr:8 row_mask:0xf bank_mask:0xf bound_ctrl:1
	v_cvt_i32_f32_e32 v17, v14
	v_cvt_f32_i32_dpp v13, v15 row_shr:8 row_mask:0xf bank_mask:0xf bound_ctrl:1
	v_cvt_i32_f32_e32 v19, v12
	v_add_f32_e32 v16, v67, v16
	v_cvt_f32_i32_dpp v15, v17 row_shr:2 row_mask:0xf bank_mask:0xf bound_ctrl:1
	v_add_f32_e32 v13, v49, v13
	v_cvt_i32_f32_e32 v17, v16
	v_cvt_i32_f32_e32 v18, v13
	v_add_f32_e32 v14, v14, v15
	v_cvt_f32_i32_dpp v19, v19 row_bcast:15 row_mask:0xf bank_mask:0xf bound_ctrl:1
	v_cvt_f32_i32_dpp v17, v17 row_shr:4 row_mask:0xf bank_mask:0xf bound_ctrl:1
	v_cvt_f32_i32_dpp v15, v18 row_shr:4 row_mask:0xf bank_mask:0xf bound_ctrl:1
	v_cvt_i32_f32_e32 v18, v14
	v_add_f32_e32 v16, v16, v17
	v_add_f32_e32 v13, v13, v15
	v_cvt_i32_f32_e32 v17, v16
	v_cvt_i32_f32_e32 v15, v13
	v_cvt_f32_i32_dpp v18, v18 row_shr:1 row_mask:0xf bank_mask:0xf bound_ctrl:1
	v_cvt_f32_i32_dpp v17, v17 row_shr:2 row_mask:0xf bank_mask:0xf bound_ctrl:1
	;; [unrolled: 1-line block ×3, first 2 shown]
	v_add_f32_e32 v14, v14, v18
	v_cvt_i32_f32_e32 v20, v14
	v_add_f32_e32 v16, v16, v17
	v_add_f32_e32 v15, v13, v15
	v_cvt_i32_f32_e32 v17, v16
	v_cvt_i32_f32_e32 v18, v15
	v_add_f32_e32 v13, v12, v19
	v_cvt_f32_i32_dpp v17, v17 row_shr:1 row_mask:0xf bank_mask:0xf bound_ctrl:1
	v_cvt_f32_i32_dpp v12, v18 row_shr:1 row_mask:0xf bank_mask:0xf bound_ctrl:1
	v_cvt_f32_i32_dpp v18, v20 row_bcast:15 row_mask:0xf bank_mask:0xf bound_ctrl:1
	v_cvt_i32_f32_e32 v20, v13
	v_add_f32_e32 v16, v16, v17
	v_add_f32_e32 v12, v15, v12
	v_cvt_i32_f32_e32 v17, v16
	v_cvt_i32_f32_e32 v19, v12
	v_add_f32_e32 v15, v14, v18
	v_cvt_i32_f32_e32 v21, v15
	v_cvt_f32_i32_dpp v17, v17 row_bcast:15 row_mask:0xf bank_mask:0xf bound_ctrl:1
	v_cvt_f32_i32_dpp v18, v19 row_bcast:15 row_mask:0xf bank_mask:0xf bound_ctrl:1
	v_mov_b32_dpp v19, v20 row_bcast:31 row_mask:0xf bank_mask:0xf bound_ctrl:1
	v_add_f32_e32 v14, v16, v17
	v_add_f32_e32 v12, v12, v18
	v_cvt_i32_f32_e32 v16, v14
	v_cvt_i32_f32_e32 v22, v12
	v_mov_b32_dpp v18, v21 row_bcast:31 row_mask:0xf bank_mask:0xf bound_ctrl:1
	v_mov_b32_dpp v17, v16 row_bcast:31 row_mask:0xf bank_mask:0xf bound_ctrl:1
	;; [unrolled: 1-line block ×3, first 2 shown]
	s_and_saveexec_b64 s[20:21], s[0:1]
	s_cbranch_execz .LBB146_7
; %bb.16:                               ;   in Loop: Header=BB146_8 Depth=1
	s_and_b64 vcc, exec, s[18:19]
	s_cbranch_vccz .LBB146_18
; %bb.17:                               ;   in Loop: Header=BB146_8 Depth=1
	v_mul_hi_u32 v20, v48, v65
	v_mul_lo_u32 v20, v20, s8
	v_sub_u32_e32 v20, v48, v20
	v_subrev_u32_e32 v21, s8, v20
	v_cmp_le_u32_e32 vcc, s8, v20
	v_mov_b32_e32 v23, v51
	v_mov_b32_e32 v49, v51
	v_cndmask_b32_e32 v20, v20, v21, vcc
	v_subrev_u32_e32 v21, s8, v20
	v_cmp_le_u32_e32 vcc, s8, v20
	s_nop 1
	v_cndmask_b32_e32 v50, v20, v21, vcc
	v_or_b32_e32 v20, 1, v48
	v_mul_hi_u32 v21, v20, v65
	v_mul_lo_u32 v21, v21, s8
	v_sub_u32_e32 v20, v20, v21
	v_subrev_u32_e32 v21, s8, v20
	v_cmp_le_u32_e32 vcc, s8, v20
	v_add_u32_e32 v22, s26, v50
	v_lshl_add_u64 v[34:35], v[22:23], 1, s[10:11]
	v_cndmask_b32_e32 v20, v20, v21, vcc
	v_subrev_u32_e32 v21, s8, v20
	v_cmp_le_u32_e32 vcc, s8, v20
	v_lshl_add_u64 v[30:31], v[50:51], 1, s[10:11]
	s_nop 0
	v_cndmask_b32_e32 v20, v20, v21, vcc
	v_add_u32_e32 v22, s26, v20
	v_lshl_add_u64 v[36:37], v[22:23], 1, s[10:11]
	v_add_u32_e32 v22, s27, v50
	v_lshl_add_u64 v[38:39], v[22:23], 1, s[10:11]
	;; [unrolled: 2-line block ×3, first 2 shown]
	v_add_u32_e32 v22, s28, v50
	v_mov_b32_e32 v21, v51
	v_lshl_add_u64 v[42:43], v[22:23], 1, s[10:11]
	v_add_u32_e32 v22, s28, v20
	v_lshl_add_u64 v[32:33], v[20:21], 1, s[10:11]
	v_lshl_add_u64 v[44:45], v[22:23], 1, s[10:11]
	global_load_ushort v29, v[30:31], off
	global_load_ushort v28, v[32:33], off
	;; [unrolled: 1-line block ×8, first 2 shown]
	v_add_u32_e32 v50, s29, v50
	v_lshl_add_u64 v[30:31], v[50:51], 1, s[10:11]
	v_add_u32_e32 v50, s29, v20
	v_lshl_add_u64 v[32:33], v[50:51], 1, s[10:11]
	global_load_ushort v22, v[30:31], off
	global_load_ushort v20, v[32:33], off
	s_cbranch_execnz .LBB146_6
	s_branch .LBB146_19
.LBB146_18:                             ;   in Loop: Header=BB146_8 Depth=1
                                        ; implicit-def: $vgpr20
                                        ; implicit-def: $vgpr22
                                        ; implicit-def: $vgpr21
                                        ; implicit-def: $vgpr23
                                        ; implicit-def: $vgpr24
                                        ; implicit-def: $vgpr25
                                        ; implicit-def: $vgpr26
                                        ; implicit-def: $vgpr27
                                        ; implicit-def: $vgpr28
                                        ; implicit-def: $vgpr29
.LBB146_19:                             ;   in Loop: Header=BB146_8 Depth=1
	v_mov_b32_e32 v49, v51
	s_waitcnt vmcnt(9)
	v_mov_b32_e32 v29, 0
	s_waitcnt vmcnt(8)
	v_mov_b32_e32 v28, 0
	s_waitcnt vmcnt(7)
	v_mov_b32_e32 v27, 0
	s_waitcnt vmcnt(6)
	v_mov_b32_e32 v26, 0
	s_waitcnt vmcnt(5)
	v_mov_b32_e32 v25, 0
	s_waitcnt vmcnt(4)
	v_mov_b32_e32 v24, 0
	s_waitcnt vmcnt(3)
	v_mov_b32_e32 v23, 0
	s_waitcnt vmcnt(2)
	v_mov_b32_e32 v21, 0
	s_waitcnt vmcnt(1)
	v_mov_b32_e32 v22, 0
	s_waitcnt vmcnt(0)
	v_mov_b32_e32 v20, 0
	s_branch .LBB146_6
.LBB146_20:
	s_endpgm
	.section	.rodata,"a",@progbits
	.p2align	6, 0x0
	.amdhsa_kernel _Z16wvSplitK_hf_sml_I6__halfLi64ELi2ELi16ELi8ELi2ELi5EEviiiiiiPKT_S3_S3_PS1_ii
		.amdhsa_group_segment_fixed_size 65536
		.amdhsa_private_segment_fixed_size 0
		.amdhsa_kernarg_size 64
		.amdhsa_user_sgpr_count 2
		.amdhsa_user_sgpr_dispatch_ptr 0
		.amdhsa_user_sgpr_queue_ptr 0
		.amdhsa_user_sgpr_kernarg_segment_ptr 1
		.amdhsa_user_sgpr_dispatch_id 0
		.amdhsa_user_sgpr_kernarg_preload_length 0
		.amdhsa_user_sgpr_kernarg_preload_offset 0
		.amdhsa_user_sgpr_private_segment_size 0
		.amdhsa_uses_dynamic_stack 0
		.amdhsa_enable_private_segment 0
		.amdhsa_system_sgpr_workgroup_id_x 1
		.amdhsa_system_sgpr_workgroup_id_y 0
		.amdhsa_system_sgpr_workgroup_id_z 0
		.amdhsa_system_sgpr_workgroup_info 0
		.amdhsa_system_vgpr_workitem_id 1
		.amdhsa_next_free_vgpr 81
		.amdhsa_next_free_sgpr 35
		.amdhsa_accum_offset 84
		.amdhsa_reserve_vcc 1
		.amdhsa_float_round_mode_32 0
		.amdhsa_float_round_mode_16_64 0
		.amdhsa_float_denorm_mode_32 3
		.amdhsa_float_denorm_mode_16_64 3
		.amdhsa_dx10_clamp 1
		.amdhsa_ieee_mode 1
		.amdhsa_fp16_overflow 0
		.amdhsa_tg_split 0
		.amdhsa_exception_fp_ieee_invalid_op 0
		.amdhsa_exception_fp_denorm_src 0
		.amdhsa_exception_fp_ieee_div_zero 0
		.amdhsa_exception_fp_ieee_overflow 0
		.amdhsa_exception_fp_ieee_underflow 0
		.amdhsa_exception_fp_ieee_inexact 0
		.amdhsa_exception_int_div_zero 0
	.end_amdhsa_kernel
	.section	.text._Z16wvSplitK_hf_sml_I6__halfLi64ELi2ELi16ELi8ELi2ELi5EEviiiiiiPKT_S3_S3_PS1_ii,"axG",@progbits,_Z16wvSplitK_hf_sml_I6__halfLi64ELi2ELi16ELi8ELi2ELi5EEviiiiiiPKT_S3_S3_PS1_ii,comdat
.Lfunc_end146:
	.size	_Z16wvSplitK_hf_sml_I6__halfLi64ELi2ELi16ELi8ELi2ELi5EEviiiiiiPKT_S3_S3_PS1_ii, .Lfunc_end146-_Z16wvSplitK_hf_sml_I6__halfLi64ELi2ELi16ELi8ELi2ELi5EEviiiiiiPKT_S3_S3_PS1_ii
                                        ; -- End function
	.section	.AMDGPU.csdata,"",@progbits
; Kernel info:
; codeLenInByte = 3720
; NumSgprs: 41
; NumVgprs: 81
; NumAgprs: 0
; TotalNumVgprs: 81
; ScratchSize: 0
; MemoryBound: 0
; FloatMode: 240
; IeeeMode: 1
; LDSByteSize: 65536 bytes/workgroup (compile time only)
; SGPRBlocks: 5
; VGPRBlocks: 10
; NumSGPRsForWavesPerEU: 41
; NumVGPRsForWavesPerEU: 81
; AccumOffset: 84
; Occupancy: 4
; WaveLimiterHint : 0
; COMPUTE_PGM_RSRC2:SCRATCH_EN: 0
; COMPUTE_PGM_RSRC2:USER_SGPR: 2
; COMPUTE_PGM_RSRC2:TRAP_HANDLER: 0
; COMPUTE_PGM_RSRC2:TGID_X_EN: 1
; COMPUTE_PGM_RSRC2:TGID_Y_EN: 0
; COMPUTE_PGM_RSRC2:TGID_Z_EN: 0
; COMPUTE_PGM_RSRC2:TIDIG_COMP_CNT: 1
; COMPUTE_PGM_RSRC3_GFX90A:ACCUM_OFFSET: 20
; COMPUTE_PGM_RSRC3_GFX90A:TG_SPLIT: 0
	.section	.text._Z12wvSplitK_hf_I6__halfLi64ELi2ELi16ELi8ELi2ELi5EEviiiiiiPKT_S3_S3_PS1_ii,"axG",@progbits,_Z12wvSplitK_hf_I6__halfLi64ELi2ELi16ELi8ELi2ELi5EEviiiiiiPKT_S3_S3_PS1_ii,comdat
	.protected	_Z12wvSplitK_hf_I6__halfLi64ELi2ELi16ELi8ELi2ELi5EEviiiiiiPKT_S3_S3_PS1_ii ; -- Begin function _Z12wvSplitK_hf_I6__halfLi64ELi2ELi16ELi8ELi2ELi5EEviiiiiiPKT_S3_S3_PS1_ii
	.globl	_Z12wvSplitK_hf_I6__halfLi64ELi2ELi16ELi8ELi2ELi5EEviiiiiiPKT_S3_S3_PS1_ii
	.p2align	8
	.type	_Z12wvSplitK_hf_I6__halfLi64ELi2ELi16ELi8ELi2ELi5EEviiiiiiPKT_S3_S3_PS1_ii,@function
_Z12wvSplitK_hf_I6__halfLi64ELi2ELi16ELi8ELi2ELi5EEviiiiiiPKT_S3_S3_PS1_ii: ; @_Z12wvSplitK_hf_I6__halfLi64ELi2ELi16ELi8ELi2ELi5EEviiiiiiPKT_S3_S3_PS1_ii
; %bb.0:
	s_load_dwordx2 s[4:5], s[0:1], 0x38
	s_load_dwordx4 s[8:11], s[0:1], 0x0
	s_load_dwordx2 s[6:7], s[0:1], 0x10
	v_bfe_u32 v3, v0, 10, 10
	s_mov_b32 s12, 1
	s_waitcnt lgkmcnt(0)
	s_mul_i32 s2, s2, s4
	v_add_lshl_u32 v58, s2, v3, 1
	v_add_u32_e32 v1, 2, v58
	v_cmp_gt_u32_e32 vcc, s11, v58
	v_cmp_le_u32_e64 s[2:3], s11, v1
	s_mov_b32 s13, s12
	s_and_b64 s[14:15], vcc, s[2:3]
	v_mov_b64_e32 v[56:57], s[12:13]
	s_and_saveexec_b64 s[2:3], s[14:15]
	s_cbranch_execz .LBB147_6
; %bb.1:
	s_add_i32 s20, s11, -2
	v_cmp_ne_u32_e32 vcc, s20, v58
	v_mov_b64_e32 v[56:57], s[12:13]
	s_and_saveexec_b64 s[12:13], vcc
	s_cbranch_execz .LBB147_5
; %bb.2:
	v_subrev_u32_e32 v1, s20, v58
	s_mov_b32 s14, 1
	v_cmp_lt_u32_e32 vcc, 1, v1
	s_mov_b64 s[16:17], 0
	s_mov_b64 s[18:19], 0
	v_cndmask_b32_e32 v2, 1, v1, vcc
	s_mov_b32 s15, s14
.LBB147_3:                              ; =>This Inner Loop Header: Depth=1
	s_cmp_lg_u32 s18, 1
	s_cselect_b32 s15, s15, 0
	s_cmp_lg_u32 s18, 0
	s_cselect_b32 s14, s14, 0
	s_add_u32 s18, s18, 1
	s_addc_u32 s19, s19, 0
	v_cmp_eq_u32_e32 vcc, s18, v2
	s_or_b64 s[16:17], vcc, s[16:17]
	v_mov_b64_e32 v[56:57], s[14:15]
	s_andn2_b64 exec, exec, s[16:17]
	s_cbranch_execnz .LBB147_3
; %bb.4:
	s_or_b64 exec, exec, s[16:17]
	v_mov_b32_e32 v58, s20
.LBB147_5:
	s_or_b64 exec, exec, s[12:13]
.LBB147_6:
	s_or_b64 exec, exec, s[2:3]
	s_load_dwordx4 s[12:15], s[0:1], 0x20
	v_and_b32_e32 v2, 0x3ff, v0
	v_lshlrev_b32_e32 v60, 3, v2
	s_mul_i32 s2, s10, 5
	v_lshl_add_u32 v4, v3, 9, v60
	s_min_u32 s20, s2, 0x8000
	v_cmp_gt_u32_e32 vcc, s20, v4
	s_and_saveexec_b64 s[2:3], vcc
	s_cbranch_execz .LBB147_9
; %bb.7:
	v_mov_b32_e32 v7, 0
	v_lshlrev_b32_e32 v6, 10, v3
	v_lshlrev_b32_e32 v8, 4, v2
	v_mov_b32_e32 v9, v7
	v_lshl_add_u64 v[0:1], v[6:7], 0, v[8:9]
	s_waitcnt lgkmcnt(0)
	v_lshl_add_u64 v[0:1], s[12:13], 0, v[0:1]
	v_add_u32_e32 v5, v6, v8
	s_mov_b64 s[16:17], 0
	s_mov_b64 s[18:19], 0x4000
.LBB147_8:                              ; =>This Inner Loop Header: Depth=1
	global_load_dwordx4 v[6:9], v[0:1], off
	v_add_u32_e32 v4, 0x2000, v4
	v_cmp_le_u32_e32 vcc, s20, v4
	v_lshl_add_u64 v[0:1], v[0:1], 0, s[18:19]
	s_or_b64 s[16:17], vcc, s[16:17]
	s_waitcnt vmcnt(0)
	ds_write_b128 v5, v[6:9]
	v_add_u32_e32 v5, 0x4000, v5
	s_andn2_b64 exec, exec, s[16:17]
	s_cbranch_execnz .LBB147_8
.LBB147_9:
	s_or_b64 exec, exec, s[2:3]
	v_cmp_gt_u32_e32 vcc, s4, v3
	v_cmp_gt_u32_e64 s[2:3], s11, v58
	s_and_b64 s[2:3], vcc, s[2:3]
	s_waitcnt lgkmcnt(0)
	s_barrier
	s_and_saveexec_b64 s[16:17], s[2:3]
	s_cbranch_execz .LBB147_88
; %bb.10:
	s_cmp_lg_u32 s8, 0
	s_cselect_b64 s[2:3], -1, 0
	s_add_i32 s33, s8, -8
	s_add_i32 s36, s11, -1
	s_mul_i32 s4, s4, s5
	s_cmp_lg_u64 s[14:15], 0
	s_cselect_b64 s[22:23], -1, 0
	s_lshl_b32 s37, s4, 1
	s_abs_i32 s4, s7
	v_cvt_f32_u32_e32 v0, s6
	v_cvt_f32_u32_e32 v1, s4
	s_sub_i32 s5, 0, s6
	s_add_i32 s38, s11, -2
	v_rcp_iflag_f32_e32 v0, v0
	v_rcp_iflag_f32_e32 v1, v1
	s_lshl_b32 s7, s10, 1
	s_load_dwordx2 s[16:17], s[0:1], 0x18
	s_load_dwordx2 s[18:19], s[0:1], 0x30
	v_mul_f32_e32 v0, 0x4f7ffffe, v0
	v_mul_f32_e32 v1, 0x4f7ffffe, v1
	v_cvt_u32_f32_e32 v0, v0
	v_cvt_u32_f32_e32 v1, v1
	v_cmp_eq_u32_e64 s[0:1], 63, v2
	s_mov_b64 s[20:21], 0
	v_mul_lo_u32 v3, s5, v0
	s_sub_i32 s5, 0, s4
	v_readfirstlane_b32 s24, v1
	s_mul_i32 s5, s5, s24
	s_mul_hi_u32 s5, s24, s5
	s_add_i32 s24, s24, s5
	s_sub_i32 s5, 1, s4
	s_cmp_lt_u32 s4, 2
	s_cselect_b32 s5, s5, 1
	s_sub_i32 s25, s5, s4
	s_cmp_ge_u32 s5, s4
	s_cselect_b32 s39, s25, s5
	s_lshr_b32 s5, s24, 31
	s_mul_i32 s5, s5, s4
	s_sub_i32 s5, 2, s5
	s_sub_i32 s25, s5, s4
	s_cmp_ge_u32 s5, s4
	s_cselect_b32 s5, s25, s5
	s_sub_i32 s25, s5, s4
	s_cmp_ge_u32 s5, s4
	s_cselect_b32 s40, s25, s5
	s_mul_hi_u32 s5, s24, 3
	s_mul_i32 s5, s5, s4
	s_sub_i32 s5, 3, s5
	s_sub_i32 s25, s5, s4
	s_cmp_ge_u32 s5, s4
	s_cselect_b32 s5, s25, s5
	s_sub_i32 s25, s5, s4
	s_cmp_ge_u32 s5, s4
	s_cselect_b32 s41, s25, s5
	s_lshr_b32 s5, s24, 30
	s_mul_i32 s5, s5, s4
	s_sub_i32 s5, 4, s5
	s_sub_i32 s24, s5, s4
	s_cmp_ge_u32 s5, s4
	s_cselect_b32 s5, s24, s5
	v_mul_hi_u32 v3, v0, v3
	s_sub_i32 s24, s5, s4
	v_add_u32_e32 v61, v0, v3
	s_cmp_ge_u32 s5, s4
	s_cselect_b32 s42, s24, s5
	s_lshl_b32 s43, s10, 2
	v_mad_u64_u32 v[64:65], s[4:5], s10, 3, v[60:61]
	v_cndmask_b32_e64 v0, 0, 1, s[2:3]
	v_mov_b32_e32 v63, 0
	s_mul_i32 s39, s39, s6
	s_mul_i32 s40, s40, s6
	;; [unrolled: 1-line block ×4, first 2 shown]
	v_lshlrev_b32_e32 v80, 4, v2
	v_add_u32_e32 v81, s7, v60
	s_mul_i32 s44, s10, 6
	s_lshl_b32 s45, s10, 3
	v_add_u32_e32 v65, s43, v60
	v_add_u32_e32 v82, s10, v60
	v_cmp_ne_u32_e64 s[2:3], 1, v0
	s_movk_i32 s10, 0x7fff
	s_mov_b32 s24, 0
	s_branch .LBB147_13
.LBB147_11:                             ;   in Loop: Header=BB147_13 Depth=1
	s_or_b64 exec, exec, s[28:29]
	v_mov_b32_e32 v58, s38
.LBB147_12:                             ;   in Loop: Header=BB147_13 Depth=1
	s_or_b64 exec, exec, s[26:27]
	v_cmp_le_u32_e32 vcc, s11, v58
	s_or_b64 s[20:21], vcc, s[20:21]
	s_andn2_b64 exec, exec, s[20:21]
	s_cbranch_execz .LBB147_88
.LBB147_13:                             ; =>This Loop Header: Depth=1
                                        ;     Child Loop BB147_18 Depth 2
                                        ;     Child Loop BB147_77 Depth 2
	s_and_b64 vcc, exec, s[2:3]
	v_add_u32_e32 v66, 1, v58
	v_mov_b32_e32 v90, v63
	v_mov_b32_e32 v89, v63
	;; [unrolled: 1-line block ×10, first 2 shown]
	s_cbranch_vccnz .LBB147_60
; %bb.14:                               ;   in Loop: Header=BB147_13 Depth=1
	v_min_u32_e32 v0, s36, v58
	v_mul_lo_u32 v62, v0, s9
	v_min_u32_e32 v0, s36, v66
	v_mul_lo_u32 v0, v0, s9
	v_mov_b32_e32 v1, v63
	v_mov_b32_e32 v86, 0
	v_lshlrev_b64 v[68:69], 1, v[62:63]
	v_lshlrev_b64 v[70:71], 1, v[0:1]
	v_mov_b32_e32 v91, v80
	v_mov_b32_e32 v85, 0
	;; [unrolled: 1-line block ×10, first 2 shown]
	s_mov_b32 s30, s24
	s_branch .LBB147_18
.LBB147_15:                             ;   in Loop: Header=BB147_18 Depth=2
	s_or_b64 exec, exec, s[28:29]
.LBB147_16:                             ;   in Loop: Header=BB147_18 Depth=2
	s_or_b64 exec, exec, s[26:27]
.LBB147_17:                             ;   in Loop: Header=BB147_18 Depth=2
	s_or_b64 exec, exec, s[4:5]
	s_waitcnt vmcnt(0) lgkmcnt(0)
	;;#ASMSTART
	v_dot2c_f32_f16 v90, v32, v12
	;;#ASMEND
	;;#ASMSTART
	v_dot2c_f32_f16 v89, v32, v8
	;;#ASMEND
	;;#ASMSTART
	v_dot2c_f32_f16 v88, v28, v12
	;;#ASMEND
	;;#ASMSTART
	v_dot2c_f32_f16 v87, v28, v8
	;;#ASMEND
	;;#ASMSTART
	v_dot2c_f32_f16 v86, v24, v12
	;;#ASMEND
	;;#ASMSTART
	v_dot2c_f32_f16 v85, v24, v8
	;;#ASMEND
	;;#ASMSTART
	v_dot2c_f32_f16 v84, v16, v12
	;;#ASMEND
	;;#ASMSTART
	v_dot2c_f32_f16 v83, v16, v8
	;;#ASMEND
	;;#ASMSTART
	v_dot2c_f32_f16 v67, v20, v12
	;;#ASMEND
	;;#ASMSTART
	v_dot2c_f32_f16 v59, v20, v8
	;;#ASMEND
	s_nop 0
	;;#ASMSTART
	v_dot2c_f32_f16 v90, v33, v13
	;;#ASMEND
	;;#ASMSTART
	v_dot2c_f32_f16 v89, v33, v9
	;;#ASMEND
	;;#ASMSTART
	v_dot2c_f32_f16 v88, v29, v13
	;;#ASMEND
	;;#ASMSTART
	v_dot2c_f32_f16 v87, v29, v9
	;;#ASMEND
	;;#ASMSTART
	v_dot2c_f32_f16 v86, v25, v13
	;;#ASMEND
	;;#ASMSTART
	v_dot2c_f32_f16 v85, v25, v9
	;;#ASMEND
	;;#ASMSTART
	v_dot2c_f32_f16 v84, v17, v13
	;;#ASMEND
	;;#ASMSTART
	v_dot2c_f32_f16 v83, v17, v9
	;;#ASMEND
	;;#ASMSTART
	v_dot2c_f32_f16 v67, v21, v13
	;;#ASMEND
	;;#ASMSTART
	v_dot2c_f32_f16 v59, v21, v9
	;;#ASMEND
	s_nop 0
	;; [unrolled: 31-line block ×5, first 2 shown]
	;;#ASMSTART
	v_dot2c_f32_f16 v90, v53, v5
	;;#ASMEND
	;;#ASMSTART
	v_dot2c_f32_f16 v89, v53, v1
	;;#ASMEND
	;; [unrolled: 3-line block ×10, first 2 shown]
	s_addk_i32 s30, 0x400
	;;#ASMSTART
	v_dot2c_f32_f16 v90, v54, v6
	;;#ASMEND
	;;#ASMSTART
	v_dot2c_f32_f16 v89, v54, v2
	;;#ASMEND
	;; [unrolled: 3-line block ×10, first 2 shown]
	s_cmp_ge_u32 s30, s8
	v_add_u32_e32 v91, 0x800, v91
	;;#ASMSTART
	v_dot2c_f32_f16 v90, v55, v7
	;;#ASMEND
	;;#ASMSTART
	v_dot2c_f32_f16 v89, v55, v3
	;;#ASMEND
	;; [unrolled: 3-line block ×10, first 2 shown]
	s_cbranch_scc1 .LBB147_60
.LBB147_18:                             ;   Parent Loop BB147_13 Depth=1
                                        ; =>  This Inner Loop Header: Depth=2
	v_add_u32_e32 v74, s30, v60
	v_min_u32_e32 v62, s33, v74
	s_waitcnt lgkmcnt(0)
	v_lshl_add_u64 v[0:1], v[62:63], 1, s[16:17]
	v_add_u32_e32 v72, 0x200, v74
	v_lshl_add_u64 v[2:3], v[0:1], 0, v[68:69]
	v_lshl_add_u64 v[0:1], v[0:1], 0, v[70:71]
	v_min_u32_e32 v62, s33, v72
	global_load_dwordx4 v[12:15], v[2:3], off nt
	global_load_dwordx4 v[8:11], v[0:1], off nt
	v_lshl_add_u64 v[0:1], v[62:63], 1, s[16:17]
	v_lshl_add_u64 v[16:17], v[0:1], 0, v[68:69]
	v_lshl_add_u64 v[18:19], v[0:1], 0, v[70:71]
	global_load_dwordx4 v[4:7], v[16:17], off nt
	global_load_dwordx4 v[0:3], v[18:19], off nt
	s_mov_b32 s25, s24
	v_cmp_gt_u32_e32 vcc, s8, v74
	v_mov_b64_e32 v[38:39], s[24:25]
	v_mov_b32_e32 v43, 0
	v_mov_b32_e32 v42, 0
	;; [unrolled: 1-line block ×4, first 2 shown]
	v_mov_b64_e32 v[36:37], s[24:25]
	v_mov_b64_e32 v[50:51], s[24:25]
	;; [unrolled: 1-line block ×7, first 2 shown]
	s_waitcnt vmcnt(6)
	v_mov_b64_e32 v[22:23], s[24:25]
	s_waitcnt vmcnt(4)
	v_mov_b64_e32 v[20:21], s[24:25]
	v_mov_b64_e32 v[18:19], s[24:25]
	;; [unrolled: 1-line block ×9, first 2 shown]
	s_and_saveexec_b64 s[4:5], vcc
	s_cbranch_execz .LBB147_17
; %bb.19:                               ;   in Loop: Header=BB147_18 Depth=2
	v_cmp_lt_u32_e32 vcc, s10, v74
                                        ; implicit-def: $vgpr34_vgpr35
	s_and_saveexec_b64 s[26:27], vcc
	s_xor_b64 s[26:27], exec, s[26:27]
	s_cbranch_execz .LBB147_21
; %bb.20:                               ;   in Loop: Header=BB147_18 Depth=2
	v_mov_b32_e32 v75, v63
	v_lshl_add_u64 v[16:17], v[74:75], 1, s[12:13]
	global_load_dwordx4 v[32:35], v[16:17], off
.LBB147_21:                             ;   in Loop: Header=BB147_18 Depth=2
	s_andn2_saveexec_b64 s[26:27], s[26:27]
	s_cbranch_execz .LBB147_23
; %bb.22:                               ;   in Loop: Header=BB147_18 Depth=2
	s_waitcnt vmcnt(0)
	ds_read_b128 v[32:35], v91
.LBB147_23:                             ;   in Loop: Header=BB147_18 Depth=2
	s_or_b64 exec, exec, s[26:27]
	v_add_u32_e32 v62, s30, v82
	v_cmp_lt_u32_e32 vcc, s10, v62
                                        ; implicit-def: $vgpr30_vgpr31
	s_and_saveexec_b64 s[26:27], vcc
	s_xor_b64 s[26:27], exec, s[26:27]
	s_cbranch_execz .LBB147_25
; %bb.24:                               ;   in Loop: Header=BB147_18 Depth=2
	v_lshl_add_u64 v[16:17], v[62:63], 1, s[12:13]
	global_load_dwordx4 v[28:31], v[16:17], off
.LBB147_25:                             ;   in Loop: Header=BB147_18 Depth=2
	s_andn2_saveexec_b64 s[26:27], s[26:27]
	s_cbranch_execz .LBB147_27
; %bb.26:                               ;   in Loop: Header=BB147_18 Depth=2
	v_add_u32_e32 v16, s7, v91
	s_waitcnt vmcnt(0)
	ds_read_b128 v[28:31], v16
.LBB147_27:                             ;   in Loop: Header=BB147_18 Depth=2
	s_or_b64 exec, exec, s[26:27]
	v_add_u32_e32 v78, s30, v81
	v_cmp_lt_u32_e32 vcc, s10, v78
                                        ; implicit-def: $vgpr26_vgpr27
	s_and_saveexec_b64 s[26:27], vcc
	s_xor_b64 s[26:27], exec, s[26:27]
	s_cbranch_execz .LBB147_29
; %bb.28:                               ;   in Loop: Header=BB147_18 Depth=2
	v_mov_b32_e32 v79, v63
	v_lshl_add_u64 v[16:17], v[78:79], 1, s[12:13]
	global_load_dwordx4 v[24:27], v[16:17], off
.LBB147_29:                             ;   in Loop: Header=BB147_18 Depth=2
	s_andn2_saveexec_b64 s[26:27], s[26:27]
	s_cbranch_execz .LBB147_31
; %bb.30:                               ;   in Loop: Header=BB147_18 Depth=2
	v_add_u32_e32 v16, s43, v91
	s_waitcnt vmcnt(0)
	ds_read2_b32 v[24:25], v16 offset1:1
	ds_read2_b32 v[26:27], v16 offset0:2 offset1:3
.LBB147_31:                             ;   in Loop: Header=BB147_18 Depth=2
	s_or_b64 exec, exec, s[26:27]
	v_add_u32_e32 v76, s30, v64
	v_cmp_lt_u32_e32 vcc, s10, v76
                                        ; implicit-def: $vgpr18_vgpr19
	s_and_saveexec_b64 s[26:27], vcc
	s_xor_b64 s[26:27], exec, s[26:27]
	s_cbranch_execz .LBB147_33
; %bb.32:                               ;   in Loop: Header=BB147_18 Depth=2
	v_mov_b32_e32 v77, v63
	v_lshl_add_u64 v[16:17], v[76:77], 1, s[12:13]
	global_load_dwordx4 v[16:19], v[16:17], off
.LBB147_33:                             ;   in Loop: Header=BB147_18 Depth=2
	s_andn2_saveexec_b64 s[26:27], s[26:27]
	s_cbranch_execz .LBB147_35
; %bb.34:                               ;   in Loop: Header=BB147_18 Depth=2
	s_waitcnt vmcnt(0)
	v_add_u32_e32 v16, s44, v91
	ds_read_b128 v[16:19], v16
.LBB147_35:                             ;   in Loop: Header=BB147_18 Depth=2
	s_or_b64 exec, exec, s[26:27]
	v_add_u32_e32 v74, s30, v65
	v_cmp_lt_u32_e32 vcc, s10, v74
                                        ; implicit-def: $vgpr22_vgpr23
	s_and_saveexec_b64 s[26:27], vcc
	s_xor_b64 s[26:27], exec, s[26:27]
	s_cbranch_execz .LBB147_37
; %bb.36:                               ;   in Loop: Header=BB147_18 Depth=2
	v_mov_b32_e32 v75, v63
	v_lshl_add_u64 v[20:21], v[74:75], 1, s[12:13]
	global_load_dwordx4 v[20:23], v[20:21], off
.LBB147_37:                             ;   in Loop: Header=BB147_18 Depth=2
	s_andn2_saveexec_b64 s[26:27], s[26:27]
	s_cbranch_execz .LBB147_39
; %bb.38:                               ;   in Loop: Header=BB147_18 Depth=2
	s_waitcnt vmcnt(0)
	v_add_u32_e32 v20, s45, v91
	ds_read2_b64 v[20:23], v20 offset1:1
.LBB147_39:                             ;   in Loop: Header=BB147_18 Depth=2
	s_or_b64 exec, exec, s[26:27]
	s_mov_b32 s25, s24
	v_cmp_gt_u32_e32 vcc, s8, v72
	v_mov_b32_e32 v43, 0
	v_mov_b64_e32 v[38:39], s[24:25]
	v_mov_b32_e32 v42, 0
	v_mov_b32_e32 v41, 0
	;; [unrolled: 1-line block ×3, first 2 shown]
	v_mov_b64_e32 v[36:37], s[24:25]
	v_mov_b64_e32 v[50:51], s[24:25]
	;; [unrolled: 1-line block ×7, first 2 shown]
	s_and_saveexec_b64 s[26:27], vcc
	s_cbranch_execz .LBB147_16
; %bb.40:                               ;   in Loop: Header=BB147_18 Depth=2
	v_cmp_lt_u32_e32 vcc, s10, v72
                                        ; implicit-def: $vgpr54_vgpr55
	s_and_saveexec_b64 s[28:29], vcc
	s_xor_b64 s[28:29], exec, s[28:29]
	s_cbranch_execz .LBB147_42
; %bb.41:                               ;   in Loop: Header=BB147_18 Depth=2
	v_mov_b32_e32 v73, v63
	v_lshl_add_u64 v[36:37], v[72:73], 1, s[12:13]
	global_load_dwordx4 v[52:55], v[36:37], off
.LBB147_42:                             ;   in Loop: Header=BB147_18 Depth=2
	s_andn2_saveexec_b64 s[28:29], s[28:29]
	s_cbranch_execz .LBB147_44
; %bb.43:                               ;   in Loop: Header=BB147_18 Depth=2
	s_waitcnt vmcnt(0)
	ds_read_b128 v[52:55], v91 offset:1024
.LBB147_44:                             ;   in Loop: Header=BB147_18 Depth=2
	s_or_b64 exec, exec, s[28:29]
	v_add_u32_e32 v62, 0x200, v62
	v_cmp_lt_u32_e32 vcc, s10, v62
                                        ; implicit-def: $vgpr46_vgpr47
	s_and_saveexec_b64 s[28:29], vcc
	s_xor_b64 s[28:29], exec, s[28:29]
	s_cbranch_execz .LBB147_46
; %bb.45:                               ;   in Loop: Header=BB147_18 Depth=2
	v_lshl_add_u64 v[36:37], v[62:63], 1, s[12:13]
	global_load_dwordx4 v[44:47], v[36:37], off
.LBB147_46:                             ;   in Loop: Header=BB147_18 Depth=2
	s_andn2_saveexec_b64 s[28:29], s[28:29]
	s_cbranch_execz .LBB147_48
; %bb.47:                               ;   in Loop: Header=BB147_18 Depth=2
	v_add_u32_e32 v36, s7, v91
	s_waitcnt vmcnt(0)
	ds_read_b128 v[44:47], v36 offset:1024
.LBB147_48:                             ;   in Loop: Header=BB147_18 Depth=2
	s_or_b64 exec, exec, s[28:29]
	v_add_u32_e32 v62, 0x200, v78
	v_cmp_lt_u32_e32 vcc, s10, v62
                                        ; implicit-def: $vgpr50_vgpr51
	s_and_saveexec_b64 s[28:29], vcc
	s_xor_b64 s[28:29], exec, s[28:29]
	s_cbranch_execz .LBB147_50
; %bb.49:                               ;   in Loop: Header=BB147_18 Depth=2
	v_lshl_add_u64 v[36:37], v[62:63], 1, s[12:13]
	global_load_dwordx4 v[48:51], v[36:37], off
.LBB147_50:                             ;   in Loop: Header=BB147_18 Depth=2
	s_andn2_saveexec_b64 s[28:29], s[28:29]
	s_cbranch_execz .LBB147_52
; %bb.51:                               ;   in Loop: Header=BB147_18 Depth=2
	v_add_u32_e32 v36, s43, v91
	v_add_u32_e32 v37, 0x400, v36
	;; [unrolled: 1-line block ×3, first 2 shown]
	s_waitcnt vmcnt(0)
	ds_read2_b32 v[48:49], v37 offset1:1
	ds_read2_b32 v[50:51], v36 offset1:1
.LBB147_52:                             ;   in Loop: Header=BB147_18 Depth=2
	s_or_b64 exec, exec, s[28:29]
	v_add_u32_e32 v62, 0x200, v76
	v_cmp_lt_u32_e32 vcc, s10, v62
                                        ; implicit-def: $vgpr38_vgpr39
	s_and_saveexec_b64 s[28:29], vcc
	s_xor_b64 s[28:29], exec, s[28:29]
	s_cbranch_execz .LBB147_54
; %bb.53:                               ;   in Loop: Header=BB147_18 Depth=2
	v_lshl_add_u64 v[36:37], v[62:63], 1, s[12:13]
	global_load_dwordx4 v[36:39], v[36:37], off
.LBB147_54:                             ;   in Loop: Header=BB147_18 Depth=2
	s_andn2_saveexec_b64 s[28:29], s[28:29]
	s_cbranch_execz .LBB147_56
; %bb.55:                               ;   in Loop: Header=BB147_18 Depth=2
	s_waitcnt vmcnt(0)
	v_add_u32_e32 v36, s44, v91
	ds_read_b128 v[36:39], v36 offset:1024
.LBB147_56:                             ;   in Loop: Header=BB147_18 Depth=2
	s_or_b64 exec, exec, s[28:29]
	v_add_u32_e32 v62, 0x200, v74
	v_cmp_lt_u32_e32 vcc, s10, v62
                                        ; implicit-def: $vgpr43
	s_and_saveexec_b64 s[28:29], vcc
	s_xor_b64 s[28:29], exec, s[28:29]
	s_cbranch_execz .LBB147_58
; %bb.57:                               ;   in Loop: Header=BB147_18 Depth=2
	v_lshl_add_u64 v[40:41], v[62:63], 1, s[12:13]
	global_load_dwordx4 v[40:43], v[40:41], off
.LBB147_58:                             ;   in Loop: Header=BB147_18 Depth=2
	s_andn2_saveexec_b64 s[28:29], s[28:29]
	s_cbranch_execz .LBB147_15
; %bb.59:                               ;   in Loop: Header=BB147_18 Depth=2
	s_waitcnt vmcnt(0)
	v_add_u32_e32 v40, s45, v91
	ds_read2_b64 v[40:43], v40 offset0:128 offset1:129
	s_branch .LBB147_15
.LBB147_60:                             ;   in Loop: Header=BB147_13 Depth=1
	v_cvt_i32_f32_e32 v0, v90
	v_cvt_i32_f32_e32 v1, v89
	;; [unrolled: 1-line block ×4, first 2 shown]
	v_cvt_f32_i32_dpp v0, v0 row_shr:8 row_mask:0xf bank_mask:0xf bound_ctrl:1
	v_cvt_f32_i32_dpp v1, v1 row_shr:8 row_mask:0xf bank_mask:0xf bound_ctrl:1
	;; [unrolled: 1-line block ×4, first 2 shown]
	v_add_f32_e32 v0, v90, v0
	v_add_f32_e32 v1, v89, v1
	v_cvt_i32_f32_e32 v4, v0
	v_cvt_i32_f32_e32 v5, v1
	v_add_f32_e32 v2, v88, v2
	v_cvt_i32_f32_e32 v6, v2
	v_cvt_f32_i32_dpp v4, v4 row_shr:4 row_mask:0xf bank_mask:0xf bound_ctrl:1
	v_cvt_f32_i32_dpp v5, v5 row_shr:4 row_mask:0xf bank_mask:0xf bound_ctrl:1
	v_add_f32_e32 v3, v87, v3
	v_cvt_f32_i32_dpp v6, v6 row_shr:4 row_mask:0xf bank_mask:0xf bound_ctrl:1
	v_add_f32_e32 v0, v0, v4
	v_add_f32_e32 v1, v1, v5
	v_cvt_i32_f32_e32 v4, v0
	v_cvt_i32_f32_e32 v5, v1
	v_add_f32_e32 v2, v2, v6
	v_cvt_i32_f32_e32 v6, v2
	v_cvt_f32_i32_dpp v4, v4 row_shr:2 row_mask:0xf bank_mask:0xf bound_ctrl:1
	v_cvt_f32_i32_dpp v5, v5 row_shr:2 row_mask:0xf bank_mask:0xf bound_ctrl:1
	v_cvt_i32_f32_e32 v7, v3
	v_cvt_f32_i32_dpp v6, v6 row_shr:2 row_mask:0xf bank_mask:0xf bound_ctrl:1
	v_add_f32_e32 v0, v0, v4
	v_add_f32_e32 v1, v1, v5
	v_cvt_i32_f32_e32 v4, v0
	v_cvt_i32_f32_e32 v5, v1
	v_add_f32_e32 v2, v2, v6
	v_cvt_i32_f32_e32 v6, v2
	v_cvt_f32_i32_dpp v4, v4 row_shr:1 row_mask:0xf bank_mask:0xf bound_ctrl:1
	v_cvt_f32_i32_dpp v5, v5 row_shr:1 row_mask:0xf bank_mask:0xf bound_ctrl:1
	v_cvt_f32_i32_dpp v7, v7 row_shr:4 row_mask:0xf bank_mask:0xf bound_ctrl:1
	v_cvt_f32_i32_dpp v6, v6 row_shr:1 row_mask:0xf bank_mask:0xf bound_ctrl:1
	v_add_f32_e32 v0, v0, v4
	v_add_f32_e32 v5, v1, v5
	v_cvt_i32_f32_e32 v4, v0
	v_cvt_i32_f32_e32 v1, v5
	v_add_f32_e32 v6, v2, v6
	v_add_f32_e32 v3, v3, v7
	v_cvt_f32_i32_dpp v4, v4 row_bcast:15 row_mask:0xf bank_mask:0xf bound_ctrl:1
	v_cvt_f32_i32_dpp v8, v1 row_bcast:15 row_mask:0xf bank_mask:0xf bound_ctrl:1
	v_cvt_i32_f32_e32 v7, v3
	v_cvt_i32_f32_e32 v10, v85
	v_add_f32_e32 v1, v0, v4
	v_add_f32_e32 v0, v5, v8
	v_cvt_i32_f32_e32 v5, v86
	v_cvt_i32_f32_e32 v8, v6
	v_cvt_f32_i32_dpp v7, v7 row_shr:2 row_mask:0xf bank_mask:0xf bound_ctrl:1
	v_cvt_i32_f32_e32 v4, v1
	v_cvt_f32_i32_dpp v5, v5 row_shr:8 row_mask:0xf bank_mask:0xf bound_ctrl:1
	v_cvt_f32_i32_dpp v8, v8 row_bcast:15 row_mask:0xf bank_mask:0xf bound_ctrl:1
	v_add_f32_e32 v7, v3, v7
	v_cvt_i32_f32_e32 v11, v7
	v_add_f32_e32 v5, v86, v5
	v_cvt_i32_f32_e32 v9, v5
	v_add_f32_e32 v3, v6, v8
	v_cvt_f32_i32_dpp v6, v10 row_shr:8 row_mask:0xf bank_mask:0xf bound_ctrl:1
	v_cvt_f32_i32_dpp v8, v11 row_shr:1 row_mask:0xf bank_mask:0xf bound_ctrl:1
	v_cvt_f32_i32_dpp v9, v9 row_shr:4 row_mask:0xf bank_mask:0xf bound_ctrl:1
	v_cvt_i32_f32_e32 v11, v3
	v_add_f32_e32 v6, v85, v6
	v_cvt_i32_f32_e32 v10, v6
	v_add_f32_e32 v5, v5, v9
	;; [unrolled: 2-line block ×3, first 2 shown]
	v_cvt_f32_i32_dpp v8, v10 row_shr:4 row_mask:0xf bank_mask:0xf bound_ctrl:1
	v_cvt_i32_f32_e32 v10, v7
	v_cvt_f32_i32_dpp v9, v9 row_shr:2 row_mask:0xf bank_mask:0xf bound_ctrl:1
	v_cvt_i32_f32_e32 v2, v0
	v_add_f32_e32 v6, v6, v8
	v_cvt_i32_f32_e32 v8, v6
	v_add_f32_e32 v9, v5, v9
	v_cvt_i32_f32_e32 v5, v9
	v_cvt_f32_i32_dpp v12, v10 row_bcast:15 row_mask:0xf bank_mask:0xf bound_ctrl:1
	v_cvt_f32_i32_dpp v8, v8 row_shr:2 row_mask:0xf bank_mask:0xf bound_ctrl:1
	v_mov_b32_dpp v10, v11 row_bcast:31 row_mask:0xf bank_mask:0xf bound_ctrl:1
	v_cvt_f32_i32_dpp v13, v5 row_shr:1 row_mask:0xf bank_mask:0xf bound_ctrl:1
	v_add_f32_e32 v5, v7, v12
	v_add_f32_e32 v6, v6, v8
	v_cvt_i32_f32_e32 v8, v6
	v_add_f32_e32 v7, v9, v13
	v_cvt_i32_f32_e32 v9, v84
	v_cvt_i32_f32_e32 v11, v7
	v_cvt_f32_i32_dpp v8, v8 row_shr:1 row_mask:0xf bank_mask:0xf bound_ctrl:1
	v_cvt_i32_f32_e32 v12, v5
	v_cvt_f32_i32_dpp v9, v9 row_shr:8 row_mask:0xf bank_mask:0xf bound_ctrl:1
	v_cvt_f32_i32_dpp v11, v11 row_bcast:15 row_mask:0xf bank_mask:0xf bound_ctrl:1
	v_add_f32_e32 v8, v6, v8
	v_cvt_i32_f32_e32 v14, v8
	v_add_f32_e32 v9, v84, v9
	v_cvt_i32_f32_e32 v13, v9
	;; [unrolled: 2-line block ×3, first 2 shown]
	v_cvt_f32_i32_dpp v7, v14 row_bcast:15 row_mask:0xf bank_mask:0xf bound_ctrl:1
	v_cvt_f32_i32_dpp v13, v13 row_shr:4 row_mask:0xf bank_mask:0xf bound_ctrl:1
	v_cvt_i32_f32_e32 v14, v6
	v_cvt_f32_i32_dpp v11, v11 row_shr:8 row_mask:0xf bank_mask:0xf bound_ctrl:1
	v_add_f32_e32 v7, v8, v7
	v_add_f32_e32 v9, v9, v13
	v_cvt_i32_f32_e32 v13, v9
	v_add_f32_e32 v11, v83, v11
	v_cvt_i32_f32_e32 v15, v11
	v_mov_b32_dpp v4, v4 row_bcast:31 row_mask:0xf bank_mask:0xf bound_ctrl:1
	v_cvt_f32_i32_dpp v8, v13 row_shr:2 row_mask:0xf bank_mask:0xf bound_ctrl:1
	v_cvt_i32_f32_e32 v13, v7
	v_cvt_f32_i32_dpp v15, v15 row_shr:4 row_mask:0xf bank_mask:0xf bound_ctrl:1
	v_mov_b32_dpp v2, v2 row_bcast:31 row_mask:0xf bank_mask:0xf bound_ctrl:1
	v_add_f32_e32 v8, v9, v8
	v_cvt_i32_f32_e32 v16, v8
	v_mov_b32_dpp v9, v13 row_bcast:31 row_mask:0xf bank_mask:0xf bound_ctrl:1
	v_add_f32_e32 v11, v11, v15
	v_cvt_i32_f32_e32 v15, v59
	v_cvt_f32_i32_dpp v13, v16 row_shr:1 row_mask:0xf bank_mask:0xf bound_ctrl:1
	v_cvt_i32_f32_e32 v16, v67
	v_cvt_i32_f32_e32 v17, v11
	v_mov_b32_dpp v12, v12 row_bcast:31 row_mask:0xf bank_mask:0xf bound_ctrl:1
	v_add_f32_e32 v8, v8, v13
	v_cvt_f32_i32_dpp v16, v16 row_shr:8 row_mask:0xf bank_mask:0xf bound_ctrl:1
	v_cvt_f32_i32_dpp v13, v15 row_shr:8 row_mask:0xf bank_mask:0xf bound_ctrl:1
	;; [unrolled: 1-line block ×3, first 2 shown]
	v_cvt_i32_f32_e32 v19, v8
	v_add_f32_e32 v16, v67, v16
	v_add_f32_e32 v13, v59, v13
	v_cvt_i32_f32_e32 v17, v16
	v_cvt_i32_f32_e32 v18, v13
	v_add_f32_e32 v11, v11, v15
	v_cvt_f32_i32_dpp v19, v19 row_bcast:15 row_mask:0xf bank_mask:0xf bound_ctrl:1
	v_cvt_f32_i32_dpp v17, v17 row_shr:4 row_mask:0xf bank_mask:0xf bound_ctrl:1
	v_cvt_f32_i32_dpp v15, v18 row_shr:4 row_mask:0xf bank_mask:0xf bound_ctrl:1
	v_cvt_i32_f32_e32 v18, v11
	v_mov_b32_dpp v14, v14 row_bcast:31 row_mask:0xf bank_mask:0xf bound_ctrl:1
	v_add_f32_e32 v16, v16, v17
	v_add_f32_e32 v13, v13, v15
	v_cvt_i32_f32_e32 v17, v16
	v_cvt_i32_f32_e32 v15, v13
	v_cvt_f32_i32_dpp v18, v18 row_shr:1 row_mask:0xf bank_mask:0xf bound_ctrl:1
	v_cvt_f32_i32_dpp v17, v17 row_shr:2 row_mask:0xf bank_mask:0xf bound_ctrl:1
	;; [unrolled: 1-line block ×3, first 2 shown]
	v_add_f32_e32 v11, v11, v18
	v_cvt_i32_f32_e32 v18, v11
	v_add_f32_e32 v16, v16, v17
	v_add_f32_e32 v13, v13, v15
	v_cvt_i32_f32_e32 v17, v16
	v_cvt_i32_f32_e32 v15, v13
	s_waitcnt vmcnt(0)
	v_cvt_f32_i32_dpp v20, v17 row_shr:1 row_mask:0xf bank_mask:0xf bound_ctrl:1
	v_add_f32_e32 v17, v8, v19
	v_cvt_f32_i32_dpp v8, v15 row_shr:1 row_mask:0xf bank_mask:0xf bound_ctrl:1
	v_cvt_f32_i32_dpp v15, v18 row_bcast:15 row_mask:0xf bank_mask:0xf bound_ctrl:1
	v_add_f32_e32 v18, v16, v20
	v_cvt_i32_f32_e32 v16, v18
	v_add_f32_e32 v8, v13, v8
	v_cvt_i32_f32_e32 v13, v8
	v_cvt_i32_f32_e32 v19, v17
	v_cvt_f32_i32_dpp v20, v16 row_bcast:15 row_mask:0xf bank_mask:0xf bound_ctrl:1
	v_add_f32_e32 v16, v11, v15
	v_cvt_f32_i32_dpp v11, v13 row_bcast:15 row_mask:0xf bank_mask:0xf bound_ctrl:1
	v_cvt_i32_f32_e32 v15, v16
	v_add_f32_e32 v13, v18, v20
	v_cvt_i32_f32_e32 v20, v13
	v_add_f32_e32 v8, v8, v11
	v_cvt_i32_f32_e32 v11, v8
	v_mov_b32_dpp v19, v19 row_bcast:31 row_mask:0xf bank_mask:0xf bound_ctrl:1
	v_mov_b32_dpp v18, v15 row_bcast:31 row_mask:0xf bank_mask:0xf bound_ctrl:1
	;; [unrolled: 1-line block ×4, first 2 shown]
	s_and_saveexec_b64 s[26:27], s[0:1]
	s_cbranch_execz .LBB147_74
; %bb.61:                               ;   in Loop: Header=BB147_13 Depth=1
	s_andn2_b64 vcc, exec, s[22:23]
	v_mov_b32_e32 v29, 0
	v_mov_b32_e32 v28, 0
	;; [unrolled: 1-line block ×10, first 2 shown]
	s_cbranch_vccnz .LBB147_63
; %bb.62:                               ;   in Loop: Header=BB147_13 Depth=1
	v_mul_hi_u32 v20, v58, v61
	v_mul_lo_u32 v20, v20, s6
	v_sub_u32_e32 v20, v58, v20
	v_subrev_u32_e32 v21, s6, v20
	v_cmp_le_u32_e32 vcc, s6, v20
	v_mul_hi_u32 v22, v66, v61
	v_mul_lo_u32 v22, v22, s6
	v_cndmask_b32_e32 v20, v20, v21, vcc
	v_subrev_u32_e32 v21, s6, v20
	v_cmp_le_u32_e32 vcc, s6, v20
	v_sub_u32_e32 v22, v66, v22
	v_subrev_u32_e32 v23, s6, v22
	v_cndmask_b32_e32 v62, v20, v21, vcc
	v_cmp_le_u32_e32 vcc, s6, v22
	v_lshl_add_u64 v[20:21], v[62:63], 1, s[14:15]
	v_mov_b32_e32 v31, v63
	v_cndmask_b32_e32 v22, v22, v23, vcc
	v_subrev_u32_e32 v23, s6, v22
	v_cmp_le_u32_e32 vcc, s6, v22
	s_nop 1
	v_cndmask_b32_e32 v30, v22, v23, vcc
	v_add_u32_e32 v22, s39, v62
	v_mov_b32_e32 v23, v63
	v_lshl_add_u64 v[34:35], v[22:23], 1, s[14:15]
	v_add_u32_e32 v22, s39, v30
	v_lshl_add_u64 v[36:37], v[22:23], 1, s[14:15]
	v_add_u32_e32 v22, s40, v62
	;; [unrolled: 2-line block ×5, first 2 shown]
	v_lshl_add_u64 v[32:33], v[30:31], 1, s[14:15]
	v_lshl_add_u64 v[44:45], v[22:23], 1, s[14:15]
	global_load_ushort v29, v[20:21], off
	global_load_ushort v28, v[32:33], off
	;; [unrolled: 1-line block ×8, first 2 shown]
	v_add_u32_e32 v62, s42, v62
	v_lshl_add_u64 v[32:33], v[62:63], 1, s[14:15]
	v_add_u32_e32 v62, s42, v30
	v_lshl_add_u64 v[30:31], v[62:63], 1, s[14:15]
	global_load_ushort v21, v[32:33], off
	global_load_ushort v20, v[30:31], off
.LBB147_63:                             ;   in Loop: Header=BB147_13 Depth=1
	v_cmp_ne_u32_e32 vcc, 0, v56
	s_and_saveexec_b64 s[4:5], vcc
	s_cbranch_execnz .LBB147_79
; %bb.64:                               ;   in Loop: Header=BB147_13 Depth=1
	s_or_b64 exec, exec, s[4:5]
	v_cmp_ne_u32_e64 s[4:5], 0, v57
	s_and_saveexec_b64 s[28:29], s[4:5]
	s_cbranch_execnz .LBB147_80
.LBB147_65:                             ;   in Loop: Header=BB147_13 Depth=1
	s_or_b64 exec, exec, s[28:29]
	v_add_u32_e32 v62, s11, v58
	s_and_saveexec_b64 s[28:29], vcc
	s_cbranch_execnz .LBB147_81
.LBB147_66:                             ;   in Loop: Header=BB147_13 Depth=1
	s_or_b64 exec, exec, s[28:29]
	s_and_saveexec_b64 s[28:29], s[4:5]
	s_cbranch_execnz .LBB147_82
.LBB147_67:                             ;   in Loop: Header=BB147_13 Depth=1
	s_or_b64 exec, exec, s[28:29]
	v_add_u32_e32 v62, s11, v62
	s_and_saveexec_b64 s[28:29], vcc
	s_cbranch_execnz .LBB147_83
.LBB147_68:                             ;   in Loop: Header=BB147_13 Depth=1
	s_or_b64 exec, exec, s[28:29]
	s_and_saveexec_b64 s[28:29], s[4:5]
	s_cbranch_execnz .LBB147_84
.LBB147_69:                             ;   in Loop: Header=BB147_13 Depth=1
	s_or_b64 exec, exec, s[28:29]
	v_add_u32_e32 v62, s11, v62
	s_and_saveexec_b64 s[28:29], vcc
	s_cbranch_execnz .LBB147_85
.LBB147_70:                             ;   in Loop: Header=BB147_13 Depth=1
	s_or_b64 exec, exec, s[28:29]
	s_and_saveexec_b64 s[28:29], s[4:5]
	s_cbranch_execnz .LBB147_86
.LBB147_71:                             ;   in Loop: Header=BB147_13 Depth=1
	s_or_b64 exec, exec, s[28:29]
	v_add_u32_e32 v62, s11, v62
	s_and_saveexec_b64 s[28:29], vcc
	s_cbranch_execnz .LBB147_87
.LBB147_72:                             ;   in Loop: Header=BB147_13 Depth=1
	s_or_b64 exec, exec, s[28:29]
	s_and_b64 exec, exec, s[4:5]
	s_cbranch_execz .LBB147_74
.LBB147_73:                             ;   in Loop: Header=BB147_13 Depth=1
	v_cvt_f32_i32_e32 v0, v11
	s_waitcnt vmcnt(0)
	v_cvt_f32_f16_e32 v1, v20
	v_add_u32_e32 v62, 1, v62
	v_add_f32_e32 v0, v8, v0
	v_add_f32_e32 v0, v0, v1
	v_cvt_f16_f32_e32 v2, v0
	s_waitcnt lgkmcnt(0)
	v_lshl_add_u64 v[0:1], v[62:63], 1, s[18:19]
	global_store_short v[0:1], v2, off
.LBB147_74:                             ;   in Loop: Header=BB147_13 Depth=1
	s_or_b64 exec, exec, s[26:27]
	v_add_u32_e32 v58, s37, v58
	v_add_u32_e32 v0, 2, v58
	v_cmp_gt_u32_e32 vcc, s11, v58
	v_cmp_le_u32_e64 s[4:5], s11, v0
	s_and_b64 s[4:5], vcc, s[4:5]
	s_and_saveexec_b64 s[26:27], s[4:5]
	s_cbranch_execz .LBB147_12
; %bb.75:                               ;   in Loop: Header=BB147_13 Depth=1
	v_cmp_ne_u32_e32 vcc, s38, v58
	s_and_saveexec_b64 s[28:29], vcc
	s_cbranch_execz .LBB147_11
; %bb.76:                               ;   in Loop: Header=BB147_13 Depth=1
	v_subrev_u32_e32 v0, s38, v58
	v_cmp_lt_u32_e32 vcc, 1, v0
	s_mov_b64 s[30:31], 0
	s_mov_b64 s[34:35], 0
	v_cndmask_b32_e32 v0, 1, v0, vcc
.LBB147_77:                             ;   Parent Loop BB147_13 Depth=1
                                        ; =>  This Inner Loop Header: Depth=2
	s_cmp_lg_u32 s34, 1
	s_cselect_b64 vcc, -1, 0
	s_cmp_lg_u32 s34, 0
	v_cndmask_b32_e32 v57, 0, v57, vcc
	s_cselect_b64 vcc, -1, 0
	s_add_u32 s34, s34, 1
	s_addc_u32 s35, s35, 0
	v_cmp_eq_u32_e64 s[4:5], s34, v0
	s_or_b64 s[30:31], s[4:5], s[30:31]
	v_cndmask_b32_e32 v56, 0, v56, vcc
	s_andn2_b64 exec, exec, s[30:31]
	s_cbranch_execnz .LBB147_77
; %bb.78:                               ;   in Loop: Header=BB147_13 Depth=1
	s_or_b64 exec, exec, s[30:31]
	s_branch .LBB147_11
.LBB147_79:                             ;   in Loop: Header=BB147_13 Depth=1
	v_cvt_f32_i32_e32 v4, v4
	s_waitcnt vmcnt(9)
	v_cvt_f32_f16_e32 v29, v29
	v_mov_b32_e32 v59, v63
	s_waitcnt lgkmcnt(0)
	v_lshl_add_u64 v[30:31], v[58:59], 1, s[18:19]
	v_add_f32_e32 v1, v1, v4
	v_add_f32_e32 v1, v1, v29
	v_cvt_f16_f32_e32 v1, v1
	global_store_short v[30:31], v1, off
	s_or_b64 exec, exec, s[4:5]
	v_cmp_ne_u32_e64 s[4:5], 0, v57
	s_and_saveexec_b64 s[28:29], s[4:5]
	s_cbranch_execz .LBB147_65
.LBB147_80:                             ;   in Loop: Header=BB147_13 Depth=1
	v_cvt_f32_i32_e32 v1, v2
	s_waitcnt vmcnt(8)
	v_cvt_f32_f16_e32 v2, v28
	v_mov_b32_e32 v67, v63
	v_add_f32_e32 v0, v0, v1
	v_add_f32_e32 v0, v0, v2
	v_cvt_f16_f32_e32 v2, v0
	s_waitcnt lgkmcnt(0)
	v_lshl_add_u64 v[0:1], v[66:67], 1, s[18:19]
	global_store_short v[0:1], v2, off
	s_or_b64 exec, exec, s[28:29]
	v_add_u32_e32 v62, s11, v58
	s_and_saveexec_b64 s[28:29], vcc
	s_cbranch_execz .LBB147_66
.LBB147_81:                             ;   in Loop: Header=BB147_13 Depth=1
	v_cvt_f32_i32_e32 v0, v10
	s_waitcnt vmcnt(7)
	v_cvt_f32_f16_e32 v1, v27
	v_add_f32_e32 v0, v3, v0
	v_add_f32_e32 v0, v0, v1
	v_cvt_f16_f32_e32 v2, v0
	s_waitcnt lgkmcnt(0)
	v_lshl_add_u64 v[0:1], v[62:63], 1, s[18:19]
	global_store_short v[0:1], v2, off
	s_or_b64 exec, exec, s[28:29]
	s_and_saveexec_b64 s[28:29], s[4:5]
	s_cbranch_execz .LBB147_67
.LBB147_82:                             ;   in Loop: Header=BB147_13 Depth=1
	v_cvt_f32_i32_e32 v0, v12
	s_waitcnt vmcnt(6)
	v_cvt_f32_f16_e32 v1, v26
	v_add_f32_e32 v0, v5, v0
	v_add_f32_e32 v0, v0, v1
	v_cvt_f16_f32_e32 v2, v0
	v_add_u32_e32 v0, 1, v62
	v_mov_b32_e32 v1, v63
	s_waitcnt lgkmcnt(0)
	v_lshl_add_u64 v[0:1], v[0:1], 1, s[18:19]
	global_store_short v[0:1], v2, off
	s_or_b64 exec, exec, s[28:29]
	v_add_u32_e32 v62, s11, v62
	s_and_saveexec_b64 s[28:29], vcc
	s_cbranch_execz .LBB147_68
.LBB147_83:                             ;   in Loop: Header=BB147_13 Depth=1
	v_cvt_f32_i32_e32 v0, v14
	s_waitcnt vmcnt(5)
	v_cvt_f32_f16_e32 v1, v25
	v_add_f32_e32 v0, v6, v0
	v_add_f32_e32 v0, v0, v1
	v_cvt_f16_f32_e32 v2, v0
	s_waitcnt lgkmcnt(0)
	v_lshl_add_u64 v[0:1], v[62:63], 1, s[18:19]
	global_store_short v[0:1], v2, off
	s_or_b64 exec, exec, s[28:29]
	s_and_saveexec_b64 s[28:29], s[4:5]
	s_cbranch_execz .LBB147_69
.LBB147_84:                             ;   in Loop: Header=BB147_13 Depth=1
	v_cvt_f32_i32_e32 v0, v9
	s_waitcnt vmcnt(4)
	v_cvt_f32_f16_e32 v1, v24
	v_add_f32_e32 v0, v7, v0
	v_add_f32_e32 v0, v0, v1
	v_cvt_f16_f32_e32 v2, v0
	v_add_u32_e32 v0, 1, v62
	v_mov_b32_e32 v1, v63
	s_waitcnt lgkmcnt(0)
	v_lshl_add_u64 v[0:1], v[0:1], 1, s[18:19]
	global_store_short v[0:1], v2, off
	s_or_b64 exec, exec, s[28:29]
	v_add_u32_e32 v62, s11, v62
	s_and_saveexec_b64 s[28:29], vcc
	s_cbranch_execz .LBB147_70
.LBB147_85:                             ;   in Loop: Header=BB147_13 Depth=1
	v_cvt_f32_i32_e32 v0, v19
	s_waitcnt vmcnt(3)
	v_cvt_f32_f16_e32 v1, v23
	v_add_f32_e32 v0, v17, v0
	v_add_f32_e32 v0, v0, v1
	v_cvt_f16_f32_e32 v2, v0
	s_waitcnt lgkmcnt(0)
	v_lshl_add_u64 v[0:1], v[62:63], 1, s[18:19]
	global_store_short v[0:1], v2, off
	s_or_b64 exec, exec, s[28:29]
	s_and_saveexec_b64 s[28:29], s[4:5]
	s_cbranch_execz .LBB147_71
.LBB147_86:                             ;   in Loop: Header=BB147_13 Depth=1
	v_cvt_f32_i32_e32 v0, v18
	s_waitcnt vmcnt(2)
	v_cvt_f32_f16_e32 v1, v22
	v_add_f32_e32 v0, v16, v0
	v_add_f32_e32 v0, v0, v1
	v_cvt_f16_f32_e32 v2, v0
	v_add_u32_e32 v0, 1, v62
	v_mov_b32_e32 v1, v63
	s_waitcnt lgkmcnt(0)
	v_lshl_add_u64 v[0:1], v[0:1], 1, s[18:19]
	global_store_short v[0:1], v2, off
	s_or_b64 exec, exec, s[28:29]
	v_add_u32_e32 v62, s11, v62
	s_and_saveexec_b64 s[28:29], vcc
	s_cbranch_execz .LBB147_72
.LBB147_87:                             ;   in Loop: Header=BB147_13 Depth=1
	v_cvt_f32_i32_e32 v0, v15
	s_waitcnt vmcnt(1)
	v_cvt_f32_f16_e32 v1, v21
	v_add_f32_e32 v0, v13, v0
	v_add_f32_e32 v0, v0, v1
	v_cvt_f16_f32_e32 v2, v0
	s_waitcnt lgkmcnt(0)
	v_lshl_add_u64 v[0:1], v[62:63], 1, s[18:19]
	global_store_short v[0:1], v2, off
	s_or_b64 exec, exec, s[28:29]
	s_and_b64 exec, exec, s[4:5]
	s_cbranch_execnz .LBB147_73
	s_branch .LBB147_74
.LBB147_88:
	s_endpgm
	.section	.rodata,"a",@progbits
	.p2align	6, 0x0
	.amdhsa_kernel _Z12wvSplitK_hf_I6__halfLi64ELi2ELi16ELi8ELi2ELi5EEviiiiiiPKT_S3_S3_PS1_ii
		.amdhsa_group_segment_fixed_size 65536
		.amdhsa_private_segment_fixed_size 0
		.amdhsa_kernarg_size 64
		.amdhsa_user_sgpr_count 2
		.amdhsa_user_sgpr_dispatch_ptr 0
		.amdhsa_user_sgpr_queue_ptr 0
		.amdhsa_user_sgpr_kernarg_segment_ptr 1
		.amdhsa_user_sgpr_dispatch_id 0
		.amdhsa_user_sgpr_kernarg_preload_length 0
		.amdhsa_user_sgpr_kernarg_preload_offset 0
		.amdhsa_user_sgpr_private_segment_size 0
		.amdhsa_uses_dynamic_stack 0
		.amdhsa_enable_private_segment 0
		.amdhsa_system_sgpr_workgroup_id_x 1
		.amdhsa_system_sgpr_workgroup_id_y 0
		.amdhsa_system_sgpr_workgroup_id_z 0
		.amdhsa_system_sgpr_workgroup_info 0
		.amdhsa_system_vgpr_workitem_id 1
		.amdhsa_next_free_vgpr 92
		.amdhsa_next_free_sgpr 46
		.amdhsa_accum_offset 92
		.amdhsa_reserve_vcc 1
		.amdhsa_float_round_mode_32 0
		.amdhsa_float_round_mode_16_64 0
		.amdhsa_float_denorm_mode_32 3
		.amdhsa_float_denorm_mode_16_64 3
		.amdhsa_dx10_clamp 1
		.amdhsa_ieee_mode 1
		.amdhsa_fp16_overflow 0
		.amdhsa_tg_split 0
		.amdhsa_exception_fp_ieee_invalid_op 0
		.amdhsa_exception_fp_denorm_src 0
		.amdhsa_exception_fp_ieee_div_zero 0
		.amdhsa_exception_fp_ieee_overflow 0
		.amdhsa_exception_fp_ieee_underflow 0
		.amdhsa_exception_fp_ieee_inexact 0
		.amdhsa_exception_int_div_zero 0
	.end_amdhsa_kernel
	.section	.text._Z12wvSplitK_hf_I6__halfLi64ELi2ELi16ELi8ELi2ELi5EEviiiiiiPKT_S3_S3_PS1_ii,"axG",@progbits,_Z12wvSplitK_hf_I6__halfLi64ELi2ELi16ELi8ELi2ELi5EEviiiiiiPKT_S3_S3_PS1_ii,comdat
.Lfunc_end147:
	.size	_Z12wvSplitK_hf_I6__halfLi64ELi2ELi16ELi8ELi2ELi5EEviiiiiiPKT_S3_S3_PS1_ii, .Lfunc_end147-_Z12wvSplitK_hf_I6__halfLi64ELi2ELi16ELi8ELi2ELi5EEviiiiiiPKT_S3_S3_PS1_ii
                                        ; -- End function
	.section	.AMDGPU.csdata,"",@progbits
; Kernel info:
; codeLenInByte = 4772
; NumSgprs: 52
; NumVgprs: 92
; NumAgprs: 0
; TotalNumVgprs: 92
; ScratchSize: 0
; MemoryBound: 1
; FloatMode: 240
; IeeeMode: 1
; LDSByteSize: 65536 bytes/workgroup (compile time only)
; SGPRBlocks: 6
; VGPRBlocks: 11
; NumSGPRsForWavesPerEU: 52
; NumVGPRsForWavesPerEU: 92
; AccumOffset: 92
; Occupancy: 4
; WaveLimiterHint : 0
; COMPUTE_PGM_RSRC2:SCRATCH_EN: 0
; COMPUTE_PGM_RSRC2:USER_SGPR: 2
; COMPUTE_PGM_RSRC2:TRAP_HANDLER: 0
; COMPUTE_PGM_RSRC2:TGID_X_EN: 1
; COMPUTE_PGM_RSRC2:TGID_Y_EN: 0
; COMPUTE_PGM_RSRC2:TGID_Z_EN: 0
; COMPUTE_PGM_RSRC2:TIDIG_COMP_CNT: 1
; COMPUTE_PGM_RSRC3_GFX90A:ACCUM_OFFSET: 22
; COMPUTE_PGM_RSRC3_GFX90A:TG_SPLIT: 0
	.section	.text._Z16wvSplitK_hf_big_I6__halfLi64ELi2ELi16ELi8ELi2ELi5EEviiiiiiPKT_S3_S3_PS1_ii,"axG",@progbits,_Z16wvSplitK_hf_big_I6__halfLi64ELi2ELi16ELi8ELi2ELi5EEviiiiiiPKT_S3_S3_PS1_ii,comdat
	.protected	_Z16wvSplitK_hf_big_I6__halfLi64ELi2ELi16ELi8ELi2ELi5EEviiiiiiPKT_S3_S3_PS1_ii ; -- Begin function _Z16wvSplitK_hf_big_I6__halfLi64ELi2ELi16ELi8ELi2ELi5EEviiiiiiPKT_S3_S3_PS1_ii
	.globl	_Z16wvSplitK_hf_big_I6__halfLi64ELi2ELi16ELi8ELi2ELi5EEviiiiiiPKT_S3_S3_PS1_ii
	.p2align	8
	.type	_Z16wvSplitK_hf_big_I6__halfLi64ELi2ELi16ELi8ELi2ELi5EEviiiiiiPKT_S3_S3_PS1_ii,@function
_Z16wvSplitK_hf_big_I6__halfLi64ELi2ELi16ELi8ELi2ELi5EEviiiiiiPKT_S3_S3_PS1_ii: ; @_Z16wvSplitK_hf_big_I6__halfLi64ELi2ELi16ELi8ELi2ELi5EEviiiiiiPKT_S3_S3_PS1_ii
; %bb.0:
	s_load_dwordx2 s[4:5], s[0:1], 0x38
	v_bfe_u32 v1, v0, 10, 10
	s_waitcnt lgkmcnt(0)
	v_cmp_gt_u32_e32 vcc, s4, v1
	s_and_saveexec_b64 s[6:7], vcc
	s_cbranch_execz .LBB148_60
; %bb.1:
	s_load_dwordx4 s[20:23], s[0:1], 0x0
	s_mul_i32 s2, s2, s4
	v_add_lshl_u32 v58, s2, v1, 1
	s_mov_b32 s6, 1
	v_add_u32_e32 v2, 2, v58
	s_waitcnt lgkmcnt(0)
	v_cmp_gt_u32_e32 vcc, s23, v58
	v_cmp_le_u32_e64 s[2:3], s23, v2
	s_mov_b32 s7, s6
	s_and_b64 s[8:9], vcc, s[2:3]
	v_mov_b64_e32 v[56:57], s[6:7]
	s_and_saveexec_b64 s[2:3], s[8:9]
	s_cbranch_execz .LBB148_7
; %bb.2:
	s_add_i32 s14, s23, -2
	v_cmp_ne_u32_e32 vcc, s14, v58
	v_mov_b64_e32 v[56:57], s[6:7]
	s_and_saveexec_b64 s[6:7], vcc
	s_cbranch_execz .LBB148_6
; %bb.3:
	v_subrev_u32_e32 v2, s14, v58
	s_mov_b32 s8, 1
	v_cmp_lt_u32_e32 vcc, 1, v2
	s_mov_b64 s[10:11], 0
	s_mov_b64 s[12:13], 0
	v_cndmask_b32_e32 v2, 1, v2, vcc
	s_mov_b32 s9, s8
.LBB148_4:                              ; =>This Inner Loop Header: Depth=1
	s_cmp_lg_u32 s12, 1
	s_cselect_b32 s9, s9, 0
	s_cmp_lg_u32 s12, 0
	s_cselect_b32 s8, s8, 0
	s_add_u32 s12, s12, 1
	s_addc_u32 s13, s13, 0
	v_cmp_eq_u32_e32 vcc, s12, v2
	s_or_b64 s[10:11], vcc, s[10:11]
	v_mov_b64_e32 v[56:57], s[8:9]
	s_andn2_b64 exec, exec, s[10:11]
	s_cbranch_execnz .LBB148_4
; %bb.5:
	s_or_b64 exec, exec, s[10:11]
	v_mov_b32_e32 v58, s14
.LBB148_6:
	s_or_b64 exec, exec, s[6:7]
.LBB148_7:
	s_or_b64 exec, exec, s[2:3]
	s_lshl_b32 s2, s4, 1
	s_abs_i32 s3, s2
	v_cvt_f32_u32_e32 v2, s3
	s_sub_i32 s8, 0, s3
	s_abs_i32 s7, s23
	s_ashr_i32 s6, s23, 31
	v_rcp_iflag_f32_e32 v2, v2
	s_nop 0
	v_mul_f32_e32 v2, 0x4f7ffffe, v2
	v_cvt_u32_f32_e32 v2, v2
	s_nop 0
	v_readfirstlane_b32 s9, v2
	s_mul_i32 s8, s8, s9
	s_mul_hi_u32 s8, s9, s8
	s_add_i32 s9, s9, s8
	s_mul_hi_u32 s8, s7, s9
	s_mul_i32 s8, s8, s3
	s_sub_i32 s7, s7, s8
	s_sub_i32 s8, s7, s3
	s_cmp_ge_u32 s7, s3
	s_cselect_b32 s7, s8, s7
	s_sub_i32 s8, s7, s3
	s_cmp_ge_u32 s7, s3
	s_cselect_b32 s3, s8, s7
	s_xor_b32 s3, s3, s6
	s_sub_i32 s3, s3, s6
	s_add_i32 s2, s2, s23
	s_sub_i32 s2, s2, s3
	s_cmp_eq_u32 s3, 0
	s_cselect_b32 s33, s23, s2
	v_cmp_gt_u32_e32 vcc, s33, v58
	s_and_b64 exec, exec, vcc
	s_cbranch_execz .LBB148_60
; %bb.8:
	s_load_dwordx8 s[12:19], s[0:1], 0x10
	s_min_u32 s40, s22, 0x1800
	s_cmp_lg_u32 s20, 0
	s_load_dwordx2 s[10:11], s[0:1], 0x30
	s_cselect_b64 s[2:3], -1, 0
	s_cmp_lg_u32 s22, 0
	s_mul_i32 s0, s5, s4
	s_cselect_b64 s[6:7], -1, 0
	s_lshl_b32 s41, s4, 9
	s_add_i32 s42, s20, -8
	s_add_i32 s43, s23, -1
	s_lshl_b32 s44, s0, 1
	s_waitcnt lgkmcnt(0)
	s_cmp_lg_u64 s[18:19], 0
	s_cselect_b64 s[26:27], -1, 0
	s_abs_i32 s5, s13
	v_cvt_f32_u32_e32 v2, s12
	v_cvt_f32_u32_e32 v3, s5
	s_sub_i32 s8, 0, s12
	s_add_i32 s13, s23, -2
	v_rcp_iflag_f32_e32 v2, v2
	v_rcp_iflag_f32_e32 v3, v3
	v_and_b32_e32 v0, 0x3ff, v0
	v_lshlrev_b32_e32 v63, 3, v0
	v_mul_f32_e32 v2, 0x4f7ffffe, v2
	v_mul_f32_e32 v3, 0x4f7ffffe, v3
	v_cvt_u32_f32_e32 v2, v2
	v_cvt_u32_f32_e32 v3, v3
	v_cmp_eq_u32_e64 s[0:1], 63, v0
	v_lshlrev_b32_e32 v0, 4, v0
	v_mul_lo_u32 v4, s8, v2
	s_sub_i32 s8, 0, s5
	v_readfirstlane_b32 s9, v3
	s_mul_i32 s8, s8, s9
	s_mul_hi_u32 s8, s9, s8
	s_add_i32 s9, s9, s8
	s_sub_i32 s8, 1, s5
	s_cmp_lt_u32 s5, 2
	s_cselect_b32 s8, s8, 1
	s_sub_i32 s28, s8, s5
	s_cmp_ge_u32 s8, s5
	s_cselect_b32 s45, s28, s8
	s_lshr_b32 s8, s9, 31
	s_mul_i32 s8, s8, s5
	s_sub_i32 s8, 2, s8
	s_sub_i32 s28, s8, s5
	s_cmp_ge_u32 s8, s5
	s_cselect_b32 s8, s28, s8
	s_sub_i32 s28, s8, s5
	s_cmp_ge_u32 s8, s5
	s_cselect_b32 s46, s28, s8
	s_mul_hi_u32 s8, s9, 3
	s_mul_i32 s8, s8, s5
	s_sub_i32 s8, 3, s8
	s_sub_i32 s28, s8, s5
	s_cmp_ge_u32 s8, s5
	s_cselect_b32 s8, s28, s8
	s_sub_i32 s28, s8, s5
	s_cmp_ge_u32 s8, s5
	s_cselect_b32 s47, s28, s8
	s_lshr_b32 s8, s9, 30
	s_mul_i32 s8, s8, s5
	s_sub_i32 s8, 4, s8
	s_sub_i32 s9, s8, s5
	s_cmp_ge_u32 s8, s5
	s_cselect_b32 s8, s9, s8
	s_sub_i32 s9, s8, s5
	s_cmp_ge_u32 s8, s5
	s_cselect_b32 s48, s9, s8
	s_add_u32 s28, s10, 2
	v_lshl_add_u32 v71, v1, 10, v0
	v_lshl_add_u32 v62, v1, 9, v63
	v_cndmask_b32_e64 v0, 0, 1, s[2:3]
	v_mul_hi_u32 v4, v2, v4
	s_addc_u32 s29, s11, 0
	s_lshl_b32 s50, s4, 10
	v_mad_u64_u32 v[64:65], s[4:5], s22, 3, v[62:63]
	v_cmp_ne_u32_e64 s[2:3], 1, v0
	v_cndmask_b32_e64 v0, 0, 1, s[6:7]
	s_mov_b64 s[24:25], 0
	v_add_u32_e32 v70, v2, v4
	v_mov_b32_e32 v61, 0
	s_mul_i32 s45, s45, s12
	s_mul_i32 s46, s46, s12
	;; [unrolled: 1-line block ×4, first 2 shown]
	s_lshl_b32 s49, s40, 3
	s_mul_i32 s51, s40, 6
	s_lshl_b32 s52, s40, 2
	s_lshl_b32 s53, s40, 1
	v_lshl_add_u32 v72, s22, 1, v62
	v_lshl_add_u32 v65, s22, 2, v62
	v_add_u32_e32 v73, s22, v62
	v_cmp_ne_u32_e64 s[4:5], 1, v0
	s_branch .LBB148_12
.LBB148_9:                              ;   in Loop: Header=BB148_12 Depth=1
	s_or_b64 exec, exec, s[34:35]
	v_mov_b32_e32 v58, s13
.LBB148_10:                             ;   in Loop: Header=BB148_12 Depth=1
	s_or_b64 exec, exec, s[30:31]
.LBB148_11:                             ;   in Loop: Header=BB148_12 Depth=1
	s_or_b64 exec, exec, s[8:9]
	v_cmp_le_u32_e32 vcc, s33, v58
	s_or_b64 s[24:25], vcc, s[24:25]
	s_andn2_b64 exec, exec, s[24:25]
	s_cbranch_execz .LBB148_60
.LBB148_12:                             ; =>This Loop Header: Depth=1
                                        ;     Child Loop BB148_17 Depth 2
                                        ;       Child Loop BB148_22 Depth 3
                                        ;     Child Loop BB148_49 Depth 2
	s_mov_b32 s36, 0
	s_and_b64 vcc, exec, s[2:3]
	v_mov_b32_e32 v82, v61
	v_mov_b32_e32 v81, v61
	;; [unrolled: 1-line block ×10, first 2 shown]
	s_cbranch_vccnz .LBB148_29
; %bb.13:                               ;   in Loop: Header=BB148_12 Depth=1
	v_min_u32_e32 v0, s43, v58
	v_mul_lo_u32 v60, v0, s21
	v_add_u32_e32 v0, 1, v58
	v_min_u32_e32 v0, s43, v0
	v_mul_lo_u32 v0, v0, s21
	v_mov_b32_e32 v1, v61
	v_cmp_gt_u32_e64 s[6:7], s23, v58
	v_mov_b32_e32 v78, 0
	v_lshlrev_b64 v[66:67], 1, v[60:61]
	v_lshlrev_b64 v[68:69], 1, v[0:1]
	v_mov_b32_e32 v77, 0
	v_mov_b32_e32 v76, 0
	;; [unrolled: 1-line block ×9, first 2 shown]
	s_mov_b32 s37, 0
	s_branch .LBB148_17
.LBB148_14:                             ;   in Loop: Header=BB148_17 Depth=2
	s_or_b64 exec, exec, s[34:35]
.LBB148_15:                             ;   in Loop: Header=BB148_17 Depth=2
	s_or_b64 exec, exec, s[30:31]
	s_waitcnt vmcnt(3) lgkmcnt(4)
	;;#ASMSTART
	v_dot2c_f32_f16 v82, v52, v28
	;;#ASMEND
	s_waitcnt vmcnt(2)
	;;#ASMSTART
	v_dot2c_f32_f16 v81, v52, v20
	;;#ASMEND
	s_waitcnt lgkmcnt(3)
	;;#ASMSTART
	v_dot2c_f32_f16 v80, v48, v28
	;;#ASMEND
	;;#ASMSTART
	v_dot2c_f32_f16 v79, v48, v20
	;;#ASMEND
	s_waitcnt lgkmcnt(2)
	;;#ASMSTART
	v_dot2c_f32_f16 v78, v44, v28
	;;#ASMEND
	;; [unrolled: 7-line block ×4, first 2 shown]
	;;#ASMSTART
	v_dot2c_f32_f16 v59, v36, v20
	;;#ASMEND
	;;#ASMSTART
	v_dot2c_f32_f16 v82, v53, v29
	;;#ASMEND
	;;#ASMSTART
	v_dot2c_f32_f16 v81, v53, v21
	;;#ASMEND
	;;#ASMSTART
	v_dot2c_f32_f16 v80, v49, v29
	;;#ASMEND
	;;#ASMSTART
	v_dot2c_f32_f16 v79, v49, v21
	;;#ASMEND
	;;#ASMSTART
	v_dot2c_f32_f16 v78, v45, v29
	;;#ASMEND
	;;#ASMSTART
	v_dot2c_f32_f16 v77, v45, v21
	;;#ASMEND
	;;#ASMSTART
	v_dot2c_f32_f16 v76, v41, v29
	;;#ASMEND
	;;#ASMSTART
	v_dot2c_f32_f16 v75, v41, v21
	;;#ASMEND
	s_nop 0
	;;#ASMSTART
	v_dot2c_f32_f16 v74, v37, v29
	;;#ASMEND
	;;#ASMSTART
	v_dot2c_f32_f16 v59, v37, v21
	;;#ASMEND
	;;#ASMSTART
	v_dot2c_f32_f16 v82, v54, v30
	;;#ASMEND
	;;#ASMSTART
	v_dot2c_f32_f16 v81, v54, v22
	;;#ASMEND
	;;#ASMSTART
	v_dot2c_f32_f16 v80, v50, v30
	;;#ASMEND
	;;#ASMSTART
	v_dot2c_f32_f16 v79, v50, v22
	;;#ASMEND
	;;#ASMSTART
	v_dot2c_f32_f16 v78, v46, v30
	;;#ASMEND
	;;#ASMSTART
	v_dot2c_f32_f16 v77, v46, v22
	;;#ASMEND
	;;#ASMSTART
	v_dot2c_f32_f16 v76, v42, v30
	;;#ASMEND
	;;#ASMSTART
	v_dot2c_f32_f16 v75, v42, v22
	;;#ASMEND
	s_nop 0
	;;#ASMSTART
	v_dot2c_f32_f16 v74, v38, v30
	;;#ASMEND
	;; [unrolled: 31-line block ×3, first 2 shown]
	;;#ASMSTART
	v_dot2c_f32_f16 v59, v39, v23
	;;#ASMEND
	s_waitcnt vmcnt(1)
	;;#ASMSTART
	v_dot2c_f32_f16 v82, v32, v4
	;;#ASMEND
	s_waitcnt vmcnt(0)
	;;#ASMSTART
	v_dot2c_f32_f16 v81, v32, v0
	;;#ASMEND
	;;#ASMSTART
	v_dot2c_f32_f16 v80, v24, v4
	;;#ASMEND
	;;#ASMSTART
	v_dot2c_f32_f16 v79, v24, v0
	;;#ASMEND
	;;#ASMSTART
	v_dot2c_f32_f16 v78, v16, v4
	;;#ASMEND
	;;#ASMSTART
	v_dot2c_f32_f16 v77, v16, v0
	;;#ASMEND
	;;#ASMSTART
	v_dot2c_f32_f16 v76, v12, v4
	;;#ASMEND
	;;#ASMSTART
	v_dot2c_f32_f16 v75, v12, v0
	;;#ASMEND
	;;#ASMSTART
	v_dot2c_f32_f16 v74, v8, v4
	;;#ASMEND
	;;#ASMSTART
	v_dot2c_f32_f16 v59, v8, v0
	;;#ASMEND
	;;#ASMSTART
	v_dot2c_f32_f16 v82, v33, v5
	;;#ASMEND
	s_nop 0
	;;#ASMSTART
	v_dot2c_f32_f16 v81, v33, v1
	;;#ASMEND
	;;#ASMSTART
	v_dot2c_f32_f16 v80, v25, v5
	;;#ASMEND
	;;#ASMSTART
	v_dot2c_f32_f16 v79, v25, v1
	;;#ASMEND
	;;#ASMSTART
	v_dot2c_f32_f16 v78, v17, v5
	;;#ASMEND
	;;#ASMSTART
	v_dot2c_f32_f16 v77, v17, v1
	;;#ASMEND
	;;#ASMSTART
	v_dot2c_f32_f16 v76, v13, v5
	;;#ASMEND
	;;#ASMSTART
	v_dot2c_f32_f16 v75, v13, v1
	;;#ASMEND
	;;#ASMSTART
	v_dot2c_f32_f16 v74, v9, v5
	;;#ASMEND
	;;#ASMSTART
	v_dot2c_f32_f16 v59, v9, v1
	;;#ASMEND
	;;#ASMSTART
	v_dot2c_f32_f16 v82, v34, v6
	;;#ASMEND
	s_nop 0
	;; [unrolled: 31-line block ×3, first 2 shown]
	;;#ASMSTART
	v_dot2c_f32_f16 v81, v35, v3
	;;#ASMEND
	;;#ASMSTART
	v_dot2c_f32_f16 v80, v27, v7
	;;#ASMEND
	;; [unrolled: 3-line block ×9, first 2 shown]
.LBB148_16:                             ;   in Loop: Header=BB148_17 Depth=2
	s_or_b64 exec, exec, s[8:9]
	s_addk_i32 s37, 0x400
	s_cmp_ge_u32 s37, s20
	s_cbranch_scc1 .LBB148_29
.LBB148_17:                             ;   Parent Loop BB148_12 Depth=1
                                        ; =>  This Loop Header: Depth=2
                                        ;       Child Loop BB148_22 Depth 3
	s_cmp_eq_u32 s37, 0
	s_cselect_b64 s[8:9], -1, 0
	s_add_i32 s30, s36, s40
	s_cmp_eq_u32 s37, s30
	s_cselect_b64 s[34:35], -1, 0
	s_or_b64 s[34:35], s[8:9], s[34:35]
	s_andn2_b64 vcc, exec, s[34:35]
	s_cbranch_vccz .LBB148_19
; %bb.18:                               ;   in Loop: Header=BB148_17 Depth=2
	s_and_saveexec_b64 s[8:9], s[6:7]
	s_cbranch_execz .LBB148_16
	s_branch .LBB148_26
.LBB148_19:                             ;   in Loop: Header=BB148_17 Depth=2
	s_and_b64 s[8:9], s[8:9], exec
	s_cselect_b32 s36, s36, s30
	s_and_b64 vcc, exec, s[4:5]
	s_barrier
	s_cbranch_vccnz .LBB148_25
; %bb.20:                               ;   in Loop: Header=BB148_17 Depth=2
	v_add_u32_e32 v0, s36, v72
	v_add_u32_e32 v1, s36, v64
	;; [unrolled: 1-line block ×5, first 2 shown]
	s_mov_b32 s38, 0
	s_mov_b64 s[30:31], 0
	v_mov_b32_e32 v5, v71
                                        ; implicit-def: $sgpr34_sgpr35
	s_branch .LBB148_22
.LBB148_21:                             ;   in Loop: Header=BB148_22 Depth=3
	s_or_b64 exec, exec, s[8:9]
	s_and_b64 s[8:9], exec, s[34:35]
	s_or_b64 s[30:31], s[8:9], s[30:31]
	s_andn2_b64 exec, exec, s[30:31]
	s_cbranch_execz .LBB148_24
.LBB148_22:                             ;   Parent Loop BB148_12 Depth=1
                                        ;     Parent Loop BB148_17 Depth=2
                                        ; =>    This Inner Loop Header: Depth=3
	v_add_u32_e32 v6, s38, v62
	v_add_u32_e32 v60, s38, v4
	v_cmp_gt_u32_e32 vcc, s22, v60
	v_cmp_gt_u32_e64 s[8:9], s40, v6
	s_and_b64 s[54:55], s[8:9], vcc
	s_or_b64 s[34:35], s[34:35], exec
	s_and_saveexec_b64 s[8:9], s[54:55]
	s_cbranch_execz .LBB148_21
; %bb.23:                               ;   in Loop: Header=BB148_22 Depth=3
	v_lshl_add_u64 v[6:7], v[60:61], 1, s[16:17]
	v_add_u32_e32 v60, s38, v3
	v_lshl_add_u64 v[10:11], v[60:61], 1, s[16:17]
	v_add_u32_e32 v60, s38, v0
	;; [unrolled: 2-line block ×3, first 2 shown]
	v_lshl_add_u64 v[18:19], v[60:61], 1, s[16:17]
	global_load_dwordx4 v[6:9], v[6:7], off
	s_nop 0
	global_load_dwordx4 v[10:13], v[10:11], off
	s_nop 0
	global_load_dwordx4 v[14:17], v[14:15], off
	s_nop 0
	global_load_dwordx4 v[18:21], v[18:19], off
	v_add_u32_e32 v60, s38, v2
	s_waitcnt vmcnt(6)
	v_lshl_add_u64 v[22:23], v[60:61], 1, s[16:17]
	global_load_dwordx4 v[22:25], v[22:23], off
	s_add_i32 s38, s38, s41
	s_cmp_ge_u32 s38, s40
	s_cselect_b64 s[54:55], -1, 0
	s_andn2_b64 s[34:35], s[34:35], exec
	s_and_b64 s[54:55], s[54:55], exec
	v_add_u32_e32 v26, s53, v5
	v_add_u32_e32 v27, s52, v5
	;; [unrolled: 1-line block ×4, first 2 shown]
	s_or_b64 s[34:35], s[34:35], s[54:55]
	s_waitcnt vmcnt(4)
	ds_write_b128 v5, v[6:9]
	v_add_u32_e32 v5, s50, v5
	s_waitcnt vmcnt(3)
	ds_write2_b64 v26, v[10:11], v[12:13] offset1:1
	s_waitcnt vmcnt(2)
	ds_write2_b32 v27, v14, v15 offset1:1
	ds_write2_b32 v27, v16, v17 offset0:2 offset1:3
	s_waitcnt vmcnt(1)
	ds_write2_b64 v28, v[18:19], v[20:21] offset1:1
	s_waitcnt vmcnt(0)
	ds_write2_b64 v29, v[22:23], v[24:25] offset1:1
	s_branch .LBB148_21
.LBB148_24:                             ;   in Loop: Header=BB148_17 Depth=2
	s_or_b64 exec, exec, s[30:31]
.LBB148_25:                             ;   in Loop: Header=BB148_17 Depth=2
	s_waitcnt lgkmcnt(0)
	s_barrier
	s_and_saveexec_b64 s[8:9], s[6:7]
	s_cbranch_execz .LBB148_16
.LBB148_26:                             ;   in Loop: Header=BB148_17 Depth=2
	v_add_u32_e32 v84, s37, v63
	v_min_u32_e32 v60, s42, v84
	v_lshl_add_u64 v[0:1], v[60:61], 1, s[14:15]
	v_add_u32_e32 v83, 0x200, v84
	v_lshl_add_u64 v[2:3], v[0:1], 0, v[66:67]
	v_lshl_add_u64 v[0:1], v[0:1], 0, v[68:69]
	v_min_u32_e32 v60, s42, v83
	global_load_dwordx4 v[28:31], v[2:3], off nt
	global_load_dwordx4 v[20:23], v[0:1], off nt
	v_lshl_add_u64 v[0:1], v[60:61], 1, s[14:15]
	v_lshl_add_u64 v[8:9], v[0:1], 0, v[66:67]
	;; [unrolled: 1-line block ×3, first 2 shown]
	global_load_dwordx4 v[4:7], v[8:9], off nt
	global_load_dwordx4 v[0:3], v[10:11], off nt
	v_cmp_gt_u32_e32 vcc, s20, v84
	v_mov_b32_e32 v52, 0
	v_mov_b32_e32 v53, 0
	;; [unrolled: 1-line block ×24, first 2 shown]
	s_waitcnt vmcnt(8)
	v_mov_b32_e32 v24, 0
	v_mov_b32_e32 v25, 0
	;; [unrolled: 1-line block ×16, first 2 shown]
	s_and_saveexec_b64 s[30:31], vcc
	s_cbranch_execz .LBB148_15
; %bb.27:                               ;   in Loop: Header=BB148_17 Depth=2
	v_subrev_u32_e32 v8, s36, v84
	v_lshlrev_b32_e32 v87, 1, v8
	v_add_u32_e32 v86, s53, v87
	v_add_u32_e32 v85, s53, v86
	;; [unrolled: 1-line block ×4, first 2 shown]
	ds_read_b128 v[52:55], v87
	ds_read_b128 v[48:51], v86
	;; [unrolled: 1-line block ×5, first 2 shown]
	v_cmp_gt_u32_e32 vcc, s20, v83
	v_mov_b32_e32 v11, 0
	v_mov_b32_e32 v10, 0
	;; [unrolled: 1-line block ×20, first 2 shown]
	s_and_saveexec_b64 s[34:35], vcc
	s_cbranch_execz .LBB148_14
; %bb.28:                               ;   in Loop: Header=BB148_17 Depth=2
	ds_read_b128 v[32:35], v87 offset:1024
	ds_read_b128 v[24:27], v86 offset:1024
	;; [unrolled: 1-line block ×4, first 2 shown]
	ds_read2_b64 v[8:11], v60 offset0:128 offset1:129
	s_branch .LBB148_14
.LBB148_29:                             ;   in Loop: Header=BB148_12 Depth=1
	v_cmp_le_u32_e32 vcc, s23, v58
	s_and_saveexec_b64 s[6:7], vcc
	s_xor_b64 s[6:7], exec, s[6:7]
; %bb.30:                               ;   in Loop: Header=BB148_12 Depth=1
	v_add_u32_e32 v58, s44, v58
                                        ; implicit-def: $vgpr82
                                        ; implicit-def: $vgpr81
                                        ; implicit-def: $vgpr80
                                        ; implicit-def: $vgpr79
                                        ; implicit-def: $vgpr59
                                        ; implicit-def: $vgpr74
                                        ; implicit-def: $vgpr75
                                        ; implicit-def: $vgpr76
                                        ; implicit-def: $vgpr77
                                        ; implicit-def: $vgpr78
; %bb.31:                               ;   in Loop: Header=BB148_12 Depth=1
	s_andn2_saveexec_b64 s[8:9], s[6:7]
	s_cbranch_execz .LBB148_11
; %bb.32:                               ;   in Loop: Header=BB148_12 Depth=1
	v_cvt_i32_f32_e32 v0, v82
	v_cvt_i32_f32_e32 v1, v81
	;; [unrolled: 1-line block ×4, first 2 shown]
	v_cvt_f32_i32_dpp v0, v0 row_shr:8 row_mask:0xf bank_mask:0xf bound_ctrl:1
	v_cvt_f32_i32_dpp v1, v1 row_shr:8 row_mask:0xf bank_mask:0xf bound_ctrl:1
	;; [unrolled: 1-line block ×4, first 2 shown]
	v_add_f32_e32 v0, v82, v0
	v_add_f32_e32 v1, v81, v1
	v_cvt_i32_f32_e32 v4, v0
	v_cvt_i32_f32_e32 v5, v1
	v_add_f32_e32 v2, v80, v2
	v_cvt_i32_f32_e32 v6, v2
	v_cvt_f32_i32_dpp v4, v4 row_shr:4 row_mask:0xf bank_mask:0xf bound_ctrl:1
	v_cvt_f32_i32_dpp v5, v5 row_shr:4 row_mask:0xf bank_mask:0xf bound_ctrl:1
	v_add_f32_e32 v3, v79, v3
	v_cvt_f32_i32_dpp v6, v6 row_shr:4 row_mask:0xf bank_mask:0xf bound_ctrl:1
	v_add_f32_e32 v0, v0, v4
	v_add_f32_e32 v1, v1, v5
	v_cvt_i32_f32_e32 v4, v0
	v_cvt_i32_f32_e32 v5, v1
	v_add_f32_e32 v2, v2, v6
	v_cvt_i32_f32_e32 v6, v2
	v_cvt_f32_i32_dpp v4, v4 row_shr:2 row_mask:0xf bank_mask:0xf bound_ctrl:1
	v_cvt_f32_i32_dpp v5, v5 row_shr:2 row_mask:0xf bank_mask:0xf bound_ctrl:1
	v_cvt_i32_f32_e32 v7, v3
	v_cvt_f32_i32_dpp v6, v6 row_shr:2 row_mask:0xf bank_mask:0xf bound_ctrl:1
	v_add_f32_e32 v0, v0, v4
	v_add_f32_e32 v1, v1, v5
	v_cvt_i32_f32_e32 v4, v0
	v_cvt_i32_f32_e32 v5, v1
	v_add_f32_e32 v2, v2, v6
	v_cvt_i32_f32_e32 v6, v2
	v_cvt_f32_i32_dpp v4, v4 row_shr:1 row_mask:0xf bank_mask:0xf bound_ctrl:1
	v_cvt_f32_i32_dpp v5, v5 row_shr:1 row_mask:0xf bank_mask:0xf bound_ctrl:1
	;; [unrolled: 1-line block ×4, first 2 shown]
	v_add_f32_e32 v0, v0, v4
	v_add_f32_e32 v5, v1, v5
	v_cvt_i32_f32_e32 v4, v0
	v_cvt_i32_f32_e32 v1, v5
	v_add_f32_e32 v6, v2, v6
	v_add_f32_e32 v3, v3, v7
	v_cvt_f32_i32_dpp v4, v4 row_bcast:15 row_mask:0xf bank_mask:0xf bound_ctrl:1
	v_cvt_f32_i32_dpp v8, v1 row_bcast:15 row_mask:0xf bank_mask:0xf bound_ctrl:1
	v_cvt_i32_f32_e32 v7, v3
	v_cvt_i32_f32_e32 v10, v77
	v_add_f32_e32 v1, v0, v4
	v_add_f32_e32 v0, v5, v8
	v_cvt_i32_f32_e32 v5, v78
	v_cvt_i32_f32_e32 v8, v6
	v_cvt_f32_i32_dpp v7, v7 row_shr:2 row_mask:0xf bank_mask:0xf bound_ctrl:1
	v_cvt_i32_f32_e32 v4, v1
	v_cvt_f32_i32_dpp v5, v5 row_shr:8 row_mask:0xf bank_mask:0xf bound_ctrl:1
	v_cvt_f32_i32_dpp v8, v8 row_bcast:15 row_mask:0xf bank_mask:0xf bound_ctrl:1
	v_add_f32_e32 v7, v3, v7
	v_cvt_i32_f32_e32 v11, v7
	v_add_f32_e32 v5, v78, v5
	v_cvt_i32_f32_e32 v9, v5
	v_add_f32_e32 v3, v6, v8
	v_cvt_f32_i32_dpp v6, v10 row_shr:8 row_mask:0xf bank_mask:0xf bound_ctrl:1
	v_cvt_f32_i32_dpp v8, v11 row_shr:1 row_mask:0xf bank_mask:0xf bound_ctrl:1
	v_cvt_f32_i32_dpp v9, v9 row_shr:4 row_mask:0xf bank_mask:0xf bound_ctrl:1
	v_cvt_i32_f32_e32 v11, v3
	v_add_f32_e32 v6, v77, v6
	v_cvt_i32_f32_e32 v10, v6
	v_add_f32_e32 v5, v5, v9
	;; [unrolled: 2-line block ×3, first 2 shown]
	v_cvt_f32_i32_dpp v8, v10 row_shr:4 row_mask:0xf bank_mask:0xf bound_ctrl:1
	v_cvt_i32_f32_e32 v10, v7
	v_cvt_f32_i32_dpp v9, v9 row_shr:2 row_mask:0xf bank_mask:0xf bound_ctrl:1
	v_cvt_i32_f32_e32 v2, v0
	v_add_f32_e32 v6, v6, v8
	v_cvt_i32_f32_e32 v8, v6
	v_add_f32_e32 v9, v5, v9
	v_cvt_i32_f32_e32 v5, v9
	v_cvt_f32_i32_dpp v12, v10 row_bcast:15 row_mask:0xf bank_mask:0xf bound_ctrl:1
	v_cvt_f32_i32_dpp v8, v8 row_shr:2 row_mask:0xf bank_mask:0xf bound_ctrl:1
	v_mov_b32_dpp v10, v11 row_bcast:31 row_mask:0xf bank_mask:0xf bound_ctrl:1
	v_cvt_f32_i32_dpp v13, v5 row_shr:1 row_mask:0xf bank_mask:0xf bound_ctrl:1
	v_add_f32_e32 v5, v7, v12
	v_add_f32_e32 v6, v6, v8
	v_cvt_i32_f32_e32 v8, v6
	v_add_f32_e32 v7, v9, v13
	v_cvt_i32_f32_e32 v9, v76
	v_cvt_i32_f32_e32 v11, v7
	v_cvt_f32_i32_dpp v8, v8 row_shr:1 row_mask:0xf bank_mask:0xf bound_ctrl:1
	v_cvt_i32_f32_e32 v12, v5
	v_cvt_f32_i32_dpp v9, v9 row_shr:8 row_mask:0xf bank_mask:0xf bound_ctrl:1
	v_cvt_f32_i32_dpp v11, v11 row_bcast:15 row_mask:0xf bank_mask:0xf bound_ctrl:1
	v_add_f32_e32 v8, v6, v8
	v_cvt_i32_f32_e32 v14, v8
	v_add_f32_e32 v9, v76, v9
	v_cvt_i32_f32_e32 v13, v9
	;; [unrolled: 2-line block ×3, first 2 shown]
	v_cvt_f32_i32_dpp v7, v14 row_bcast:15 row_mask:0xf bank_mask:0xf bound_ctrl:1
	v_cvt_f32_i32_dpp v13, v13 row_shr:4 row_mask:0xf bank_mask:0xf bound_ctrl:1
	v_cvt_i32_f32_e32 v14, v6
	v_cvt_f32_i32_dpp v11, v11 row_shr:8 row_mask:0xf bank_mask:0xf bound_ctrl:1
	v_add_f32_e32 v7, v8, v7
	v_add_f32_e32 v9, v9, v13
	v_cvt_i32_f32_e32 v13, v9
	v_add_f32_e32 v11, v75, v11
	v_cvt_i32_f32_e32 v15, v11
	v_mov_b32_dpp v4, v4 row_bcast:31 row_mask:0xf bank_mask:0xf bound_ctrl:1
	v_cvt_f32_i32_dpp v8, v13 row_shr:2 row_mask:0xf bank_mask:0xf bound_ctrl:1
	v_cvt_i32_f32_e32 v13, v7
	v_cvt_f32_i32_dpp v15, v15 row_shr:4 row_mask:0xf bank_mask:0xf bound_ctrl:1
	v_mov_b32_dpp v2, v2 row_bcast:31 row_mask:0xf bank_mask:0xf bound_ctrl:1
	v_add_f32_e32 v8, v9, v8
	v_cvt_i32_f32_e32 v16, v8
	v_mov_b32_dpp v9, v13 row_bcast:31 row_mask:0xf bank_mask:0xf bound_ctrl:1
	v_add_f32_e32 v11, v11, v15
	v_cvt_i32_f32_e32 v15, v59
	v_cvt_f32_i32_dpp v13, v16 row_shr:1 row_mask:0xf bank_mask:0xf bound_ctrl:1
	v_cvt_i32_f32_e32 v16, v74
	v_cvt_i32_f32_e32 v17, v11
	v_mov_b32_dpp v12, v12 row_bcast:31 row_mask:0xf bank_mask:0xf bound_ctrl:1
	v_add_f32_e32 v8, v8, v13
	v_cvt_f32_i32_dpp v16, v16 row_shr:8 row_mask:0xf bank_mask:0xf bound_ctrl:1
	v_cvt_f32_i32_dpp v13, v15 row_shr:8 row_mask:0xf bank_mask:0xf bound_ctrl:1
	;; [unrolled: 1-line block ×3, first 2 shown]
	v_cvt_i32_f32_e32 v19, v8
	v_add_f32_e32 v16, v74, v16
	v_add_f32_e32 v13, v59, v13
	v_cvt_i32_f32_e32 v17, v16
	v_cvt_i32_f32_e32 v18, v13
	v_add_f32_e32 v11, v11, v15
	v_cvt_f32_i32_dpp v19, v19 row_bcast:15 row_mask:0xf bank_mask:0xf bound_ctrl:1
	v_cvt_f32_i32_dpp v17, v17 row_shr:4 row_mask:0xf bank_mask:0xf bound_ctrl:1
	v_cvt_f32_i32_dpp v15, v18 row_shr:4 row_mask:0xf bank_mask:0xf bound_ctrl:1
	v_cvt_i32_f32_e32 v18, v11
	v_mov_b32_dpp v14, v14 row_bcast:31 row_mask:0xf bank_mask:0xf bound_ctrl:1
	v_add_f32_e32 v16, v16, v17
	v_add_f32_e32 v13, v13, v15
	v_cvt_i32_f32_e32 v17, v16
	v_cvt_i32_f32_e32 v15, v13
	v_cvt_f32_i32_dpp v18, v18 row_shr:1 row_mask:0xf bank_mask:0xf bound_ctrl:1
	v_cvt_f32_i32_dpp v17, v17 row_shr:2 row_mask:0xf bank_mask:0xf bound_ctrl:1
	;; [unrolled: 1-line block ×3, first 2 shown]
	v_add_f32_e32 v11, v11, v18
	v_cvt_i32_f32_e32 v18, v11
	v_add_f32_e32 v16, v16, v17
	v_add_f32_e32 v13, v13, v15
	v_cvt_i32_f32_e32 v17, v16
	v_cvt_i32_f32_e32 v15, v13
	s_waitcnt vmcnt(0)
	v_cvt_f32_i32_dpp v20, v17 row_shr:1 row_mask:0xf bank_mask:0xf bound_ctrl:1
	v_add_f32_e32 v17, v8, v19
	v_cvt_f32_i32_dpp v8, v15 row_shr:1 row_mask:0xf bank_mask:0xf bound_ctrl:1
	v_cvt_f32_i32_dpp v15, v18 row_bcast:15 row_mask:0xf bank_mask:0xf bound_ctrl:1
	v_add_f32_e32 v18, v16, v20
	v_cvt_i32_f32_e32 v16, v18
	v_add_f32_e32 v8, v13, v8
	v_cvt_i32_f32_e32 v13, v8
	v_cvt_i32_f32_e32 v19, v17
	v_cvt_f32_i32_dpp v20, v16 row_bcast:15 row_mask:0xf bank_mask:0xf bound_ctrl:1
	v_add_f32_e32 v16, v11, v15
	v_cvt_f32_i32_dpp v11, v13 row_bcast:15 row_mask:0xf bank_mask:0xf bound_ctrl:1
	v_cvt_i32_f32_e32 v15, v16
	v_add_f32_e32 v13, v18, v20
	v_cvt_i32_f32_e32 v20, v13
	v_add_f32_e32 v8, v8, v11
	v_cvt_i32_f32_e32 v11, v8
	v_mov_b32_dpp v19, v19 row_bcast:31 row_mask:0xf bank_mask:0xf bound_ctrl:1
	v_mov_b32_dpp v18, v15 row_bcast:31 row_mask:0xf bank_mask:0xf bound_ctrl:1
	v_mov_b32_dpp v15, v20 row_bcast:31 row_mask:0xf bank_mask:0xf bound_ctrl:1
	v_mov_b32_dpp v11, v11 row_bcast:31 row_mask:0xf bank_mask:0xf bound_ctrl:1
	s_and_saveexec_b64 s[30:31], s[0:1]
	s_cbranch_execz .LBB148_46
; %bb.33:                               ;   in Loop: Header=BB148_12 Depth=1
	s_andn2_b64 vcc, exec, s[26:27]
	v_mov_b32_e32 v29, 0
	v_mov_b32_e32 v28, 0
	;; [unrolled: 1-line block ×10, first 2 shown]
	s_cbranch_vccnz .LBB148_35
; %bb.34:                               ;   in Loop: Header=BB148_12 Depth=1
	v_mul_hi_u32 v20, v58, v70
	v_mul_lo_u32 v20, v20, s12
	v_sub_u32_e32 v20, v58, v20
	v_add_u32_e32 v22, 1, v58
	v_subrev_u32_e32 v21, s12, v20
	v_cmp_le_u32_e32 vcc, s12, v20
	v_mul_hi_u32 v23, v22, v70
	v_mul_lo_u32 v23, v23, s12
	v_cndmask_b32_e32 v20, v20, v21, vcc
	v_subrev_u32_e32 v21, s12, v20
	v_cmp_le_u32_e32 vcc, s12, v20
	v_sub_u32_e32 v22, v22, v23
	v_subrev_u32_e32 v23, s12, v22
	v_cndmask_b32_e32 v60, v20, v21, vcc
	v_cmp_le_u32_e32 vcc, s12, v22
	v_lshl_add_u64 v[20:21], v[60:61], 1, s[18:19]
	v_mov_b32_e32 v31, v61
	v_cndmask_b32_e32 v22, v22, v23, vcc
	v_subrev_u32_e32 v23, s12, v22
	v_cmp_le_u32_e32 vcc, s12, v22
	s_nop 1
	v_cndmask_b32_e32 v30, v22, v23, vcc
	v_add_u32_e32 v22, s45, v60
	v_mov_b32_e32 v23, v61
	v_lshl_add_u64 v[34:35], v[22:23], 1, s[18:19]
	v_add_u32_e32 v22, s45, v30
	v_lshl_add_u64 v[36:37], v[22:23], 1, s[18:19]
	v_add_u32_e32 v22, s46, v60
	;; [unrolled: 2-line block ×5, first 2 shown]
	v_lshl_add_u64 v[32:33], v[30:31], 1, s[18:19]
	v_lshl_add_u64 v[44:45], v[22:23], 1, s[18:19]
	global_load_ushort v29, v[20:21], off
	global_load_ushort v28, v[32:33], off
	;; [unrolled: 1-line block ×8, first 2 shown]
	v_add_u32_e32 v60, s48, v60
	v_lshl_add_u64 v[32:33], v[60:61], 1, s[18:19]
	v_add_u32_e32 v60, s48, v30
	v_lshl_add_u64 v[30:31], v[60:61], 1, s[18:19]
	global_load_ushort v21, v[32:33], off
	global_load_ushort v20, v[30:31], off
.LBB148_35:                             ;   in Loop: Header=BB148_12 Depth=1
	v_cmp_ne_u32_e32 vcc, 0, v56
	s_and_saveexec_b64 s[6:7], vcc
	s_cbranch_execnz .LBB148_51
; %bb.36:                               ;   in Loop: Header=BB148_12 Depth=1
	s_or_b64 exec, exec, s[6:7]
	v_cmp_ne_u32_e64 s[6:7], 0, v57
	s_and_saveexec_b64 s[34:35], s[6:7]
	s_cbranch_execnz .LBB148_52
.LBB148_37:                             ;   in Loop: Header=BB148_12 Depth=1
	s_or_b64 exec, exec, s[34:35]
	v_add_u32_e32 v60, s23, v58
	s_and_saveexec_b64 s[34:35], vcc
	s_cbranch_execnz .LBB148_53
.LBB148_38:                             ;   in Loop: Header=BB148_12 Depth=1
	s_or_b64 exec, exec, s[34:35]
	s_and_saveexec_b64 s[34:35], s[6:7]
	s_cbranch_execnz .LBB148_54
.LBB148_39:                             ;   in Loop: Header=BB148_12 Depth=1
	s_or_b64 exec, exec, s[34:35]
	v_add_u32_e32 v60, s23, v60
	s_and_saveexec_b64 s[34:35], vcc
	s_cbranch_execnz .LBB148_55
.LBB148_40:                             ;   in Loop: Header=BB148_12 Depth=1
	s_or_b64 exec, exec, s[34:35]
	s_and_saveexec_b64 s[34:35], s[6:7]
	s_cbranch_execnz .LBB148_56
.LBB148_41:                             ;   in Loop: Header=BB148_12 Depth=1
	s_or_b64 exec, exec, s[34:35]
	v_add_u32_e32 v60, s23, v60
	s_and_saveexec_b64 s[34:35], vcc
	s_cbranch_execnz .LBB148_57
.LBB148_42:                             ;   in Loop: Header=BB148_12 Depth=1
	s_or_b64 exec, exec, s[34:35]
	s_and_saveexec_b64 s[34:35], s[6:7]
	s_cbranch_execnz .LBB148_58
.LBB148_43:                             ;   in Loop: Header=BB148_12 Depth=1
	s_or_b64 exec, exec, s[34:35]
	v_add_u32_e32 v60, s23, v60
	s_and_saveexec_b64 s[34:35], vcc
	s_cbranch_execnz .LBB148_59
.LBB148_44:                             ;   in Loop: Header=BB148_12 Depth=1
	s_or_b64 exec, exec, s[34:35]
	s_and_b64 exec, exec, s[6:7]
	s_cbranch_execz .LBB148_46
.LBB148_45:                             ;   in Loop: Header=BB148_12 Depth=1
	v_cvt_f32_i32_e32 v0, v11
	s_waitcnt vmcnt(0)
	v_cvt_f32_f16_e32 v1, v20
	v_add_u32_e32 v60, 1, v60
	v_add_f32_e32 v0, v8, v0
	v_add_f32_e32 v0, v0, v1
	v_cvt_f16_f32_e32 v2, v0
	v_lshl_add_u64 v[0:1], v[60:61], 1, s[10:11]
	global_store_short v[0:1], v2, off
.LBB148_46:                             ;   in Loop: Header=BB148_12 Depth=1
	s_or_b64 exec, exec, s[30:31]
	v_add_u32_e32 v58, s44, v58
	v_add_u32_e32 v0, 2, v58
	v_cmp_gt_u32_e32 vcc, s23, v58
	v_cmp_le_u32_e64 s[6:7], s23, v0
	s_and_b64 s[6:7], vcc, s[6:7]
	s_and_saveexec_b64 s[30:31], s[6:7]
	s_cbranch_execz .LBB148_10
; %bb.47:                               ;   in Loop: Header=BB148_12 Depth=1
	v_cmp_ne_u32_e32 vcc, s13, v58
	s_and_saveexec_b64 s[34:35], vcc
	s_cbranch_execz .LBB148_9
; %bb.48:                               ;   in Loop: Header=BB148_12 Depth=1
	v_subrev_u32_e32 v0, s13, v58
	v_cmp_lt_u32_e32 vcc, 1, v0
	s_mov_b64 s[36:37], 0
	s_mov_b64 s[38:39], 0
	v_cndmask_b32_e32 v0, 1, v0, vcc
.LBB148_49:                             ;   Parent Loop BB148_12 Depth=1
                                        ; =>  This Inner Loop Header: Depth=2
	s_cmp_lg_u32 s38, 1
	s_cselect_b64 vcc, -1, 0
	s_cmp_lg_u32 s38, 0
	v_cndmask_b32_e32 v57, 0, v57, vcc
	s_cselect_b64 vcc, -1, 0
	s_add_u32 s38, s38, 1
	s_addc_u32 s39, s39, 0
	v_cmp_eq_u32_e64 s[6:7], s38, v0
	s_or_b64 s[36:37], s[6:7], s[36:37]
	v_cndmask_b32_e32 v56, 0, v56, vcc
	s_andn2_b64 exec, exec, s[36:37]
	s_cbranch_execnz .LBB148_49
; %bb.50:                               ;   in Loop: Header=BB148_12 Depth=1
	s_or_b64 exec, exec, s[36:37]
	s_branch .LBB148_9
.LBB148_51:                             ;   in Loop: Header=BB148_12 Depth=1
	v_cvt_f32_i32_e32 v4, v4
	s_waitcnt vmcnt(9)
	v_cvt_f32_f16_e32 v29, v29
	v_mov_b32_e32 v59, v61
	v_lshl_add_u64 v[30:31], v[58:59], 1, s[10:11]
	v_add_f32_e32 v1, v1, v4
	v_add_f32_e32 v1, v1, v29
	v_cvt_f16_f32_e32 v1, v1
	global_store_short v[30:31], v1, off
	s_or_b64 exec, exec, s[6:7]
	v_cmp_ne_u32_e64 s[6:7], 0, v57
	s_and_saveexec_b64 s[34:35], s[6:7]
	s_cbranch_execz .LBB148_37
.LBB148_52:                             ;   in Loop: Header=BB148_12 Depth=1
	v_cvt_f32_i32_e32 v1, v2
	s_waitcnt vmcnt(8)
	v_cvt_f32_f16_e32 v2, v28
	v_mov_b32_e32 v59, v61
	v_add_f32_e32 v0, v0, v1
	v_add_f32_e32 v0, v0, v2
	v_cvt_f16_f32_e32 v2, v0
	v_lshl_add_u64 v[0:1], v[58:59], 1, s[28:29]
	global_store_short v[0:1], v2, off
	s_or_b64 exec, exec, s[34:35]
	v_add_u32_e32 v60, s23, v58
	s_and_saveexec_b64 s[34:35], vcc
	s_cbranch_execz .LBB148_38
.LBB148_53:                             ;   in Loop: Header=BB148_12 Depth=1
	v_cvt_f32_i32_e32 v0, v10
	s_waitcnt vmcnt(7)
	v_cvt_f32_f16_e32 v1, v27
	v_add_f32_e32 v0, v3, v0
	v_add_f32_e32 v0, v0, v1
	v_cvt_f16_f32_e32 v2, v0
	v_lshl_add_u64 v[0:1], v[60:61], 1, s[10:11]
	global_store_short v[0:1], v2, off
	s_or_b64 exec, exec, s[34:35]
	s_and_saveexec_b64 s[34:35], s[6:7]
	s_cbranch_execz .LBB148_39
.LBB148_54:                             ;   in Loop: Header=BB148_12 Depth=1
	v_cvt_f32_i32_e32 v0, v12
	s_waitcnt vmcnt(6)
	v_cvt_f32_f16_e32 v1, v26
	v_add_f32_e32 v0, v5, v0
	v_add_f32_e32 v0, v0, v1
	v_cvt_f16_f32_e32 v2, v0
	v_add_u32_e32 v0, 1, v60
	v_mov_b32_e32 v1, v61
	v_lshl_add_u64 v[0:1], v[0:1], 1, s[10:11]
	global_store_short v[0:1], v2, off
	s_or_b64 exec, exec, s[34:35]
	v_add_u32_e32 v60, s23, v60
	s_and_saveexec_b64 s[34:35], vcc
	s_cbranch_execz .LBB148_40
.LBB148_55:                             ;   in Loop: Header=BB148_12 Depth=1
	v_cvt_f32_i32_e32 v0, v14
	s_waitcnt vmcnt(5)
	v_cvt_f32_f16_e32 v1, v25
	v_add_f32_e32 v0, v6, v0
	v_add_f32_e32 v0, v0, v1
	v_cvt_f16_f32_e32 v2, v0
	v_lshl_add_u64 v[0:1], v[60:61], 1, s[10:11]
	global_store_short v[0:1], v2, off
	s_or_b64 exec, exec, s[34:35]
	s_and_saveexec_b64 s[34:35], s[6:7]
	s_cbranch_execz .LBB148_41
.LBB148_56:                             ;   in Loop: Header=BB148_12 Depth=1
	v_cvt_f32_i32_e32 v0, v9
	s_waitcnt vmcnt(4)
	v_cvt_f32_f16_e32 v1, v24
	v_add_f32_e32 v0, v7, v0
	v_add_f32_e32 v0, v0, v1
	v_cvt_f16_f32_e32 v2, v0
	v_add_u32_e32 v0, 1, v60
	v_mov_b32_e32 v1, v61
	v_lshl_add_u64 v[0:1], v[0:1], 1, s[10:11]
	global_store_short v[0:1], v2, off
	s_or_b64 exec, exec, s[34:35]
	v_add_u32_e32 v60, s23, v60
	s_and_saveexec_b64 s[34:35], vcc
	s_cbranch_execz .LBB148_42
.LBB148_57:                             ;   in Loop: Header=BB148_12 Depth=1
	v_cvt_f32_i32_e32 v0, v19
	s_waitcnt vmcnt(3)
	v_cvt_f32_f16_e32 v1, v23
	v_add_f32_e32 v0, v17, v0
	v_add_f32_e32 v0, v0, v1
	v_cvt_f16_f32_e32 v2, v0
	v_lshl_add_u64 v[0:1], v[60:61], 1, s[10:11]
	global_store_short v[0:1], v2, off
	s_or_b64 exec, exec, s[34:35]
	s_and_saveexec_b64 s[34:35], s[6:7]
	s_cbranch_execz .LBB148_43
.LBB148_58:                             ;   in Loop: Header=BB148_12 Depth=1
	v_cvt_f32_i32_e32 v0, v18
	s_waitcnt vmcnt(2)
	v_cvt_f32_f16_e32 v1, v22
	v_add_f32_e32 v0, v16, v0
	v_add_f32_e32 v0, v0, v1
	v_cvt_f16_f32_e32 v2, v0
	v_add_u32_e32 v0, 1, v60
	v_mov_b32_e32 v1, v61
	v_lshl_add_u64 v[0:1], v[0:1], 1, s[10:11]
	global_store_short v[0:1], v2, off
	s_or_b64 exec, exec, s[34:35]
	v_add_u32_e32 v60, s23, v60
	s_and_saveexec_b64 s[34:35], vcc
	s_cbranch_execz .LBB148_44
.LBB148_59:                             ;   in Loop: Header=BB148_12 Depth=1
	v_cvt_f32_i32_e32 v0, v15
	s_waitcnt vmcnt(1)
	v_cvt_f32_f16_e32 v1, v21
	v_add_f32_e32 v0, v13, v0
	v_add_f32_e32 v0, v0, v1
	v_cvt_f16_f32_e32 v2, v0
	v_lshl_add_u64 v[0:1], v[60:61], 1, s[10:11]
	global_store_short v[0:1], v2, off
	s_or_b64 exec, exec, s[34:35]
	s_and_b64 exec, exec, s[6:7]
	s_cbranch_execnz .LBB148_45
	s_branch .LBB148_46
.LBB148_60:
	s_endpgm
	.section	.rodata,"a",@progbits
	.p2align	6, 0x0
	.amdhsa_kernel _Z16wvSplitK_hf_big_I6__halfLi64ELi2ELi16ELi8ELi2ELi5EEviiiiiiPKT_S3_S3_PS1_ii
		.amdhsa_group_segment_fixed_size 65536
		.amdhsa_private_segment_fixed_size 0
		.amdhsa_kernarg_size 64
		.amdhsa_user_sgpr_count 2
		.amdhsa_user_sgpr_dispatch_ptr 0
		.amdhsa_user_sgpr_queue_ptr 0
		.amdhsa_user_sgpr_kernarg_segment_ptr 1
		.amdhsa_user_sgpr_dispatch_id 0
		.amdhsa_user_sgpr_kernarg_preload_length 0
		.amdhsa_user_sgpr_kernarg_preload_offset 0
		.amdhsa_user_sgpr_private_segment_size 0
		.amdhsa_uses_dynamic_stack 0
		.amdhsa_enable_private_segment 0
		.amdhsa_system_sgpr_workgroup_id_x 1
		.amdhsa_system_sgpr_workgroup_id_y 0
		.amdhsa_system_sgpr_workgroup_id_z 0
		.amdhsa_system_sgpr_workgroup_info 0
		.amdhsa_system_vgpr_workitem_id 1
		.amdhsa_next_free_vgpr 88
		.amdhsa_next_free_sgpr 56
		.amdhsa_accum_offset 88
		.amdhsa_reserve_vcc 1
		.amdhsa_float_round_mode_32 0
		.amdhsa_float_round_mode_16_64 0
		.amdhsa_float_denorm_mode_32 3
		.amdhsa_float_denorm_mode_16_64 3
		.amdhsa_dx10_clamp 1
		.amdhsa_ieee_mode 1
		.amdhsa_fp16_overflow 0
		.amdhsa_tg_split 0
		.amdhsa_exception_fp_ieee_invalid_op 0
		.amdhsa_exception_fp_denorm_src 0
		.amdhsa_exception_fp_ieee_div_zero 0
		.amdhsa_exception_fp_ieee_overflow 0
		.amdhsa_exception_fp_ieee_underflow 0
		.amdhsa_exception_fp_ieee_inexact 0
		.amdhsa_exception_int_div_zero 0
	.end_amdhsa_kernel
	.section	.text._Z16wvSplitK_hf_big_I6__halfLi64ELi2ELi16ELi8ELi2ELi5EEviiiiiiPKT_S3_S3_PS1_ii,"axG",@progbits,_Z16wvSplitK_hf_big_I6__halfLi64ELi2ELi16ELi8ELi2ELi5EEviiiiiiPKT_S3_S3_PS1_ii,comdat
.Lfunc_end148:
	.size	_Z16wvSplitK_hf_big_I6__halfLi64ELi2ELi16ELi8ELi2ELi5EEviiiiiiPKT_S3_S3_PS1_ii, .Lfunc_end148-_Z16wvSplitK_hf_big_I6__halfLi64ELi2ELi16ELi8ELi2ELi5EEviiiiiiPKT_S3_S3_PS1_ii
                                        ; -- End function
	.section	.AMDGPU.csdata,"",@progbits
; Kernel info:
; codeLenInByte = 4728
; NumSgprs: 62
; NumVgprs: 88
; NumAgprs: 0
; TotalNumVgprs: 88
; ScratchSize: 0
; MemoryBound: 0
; FloatMode: 240
; IeeeMode: 1
; LDSByteSize: 65536 bytes/workgroup (compile time only)
; SGPRBlocks: 7
; VGPRBlocks: 10
; NumSGPRsForWavesPerEU: 62
; NumVGPRsForWavesPerEU: 88
; AccumOffset: 88
; Occupancy: 4
; WaveLimiterHint : 0
; COMPUTE_PGM_RSRC2:SCRATCH_EN: 0
; COMPUTE_PGM_RSRC2:USER_SGPR: 2
; COMPUTE_PGM_RSRC2:TRAP_HANDLER: 0
; COMPUTE_PGM_RSRC2:TGID_X_EN: 1
; COMPUTE_PGM_RSRC2:TGID_Y_EN: 0
; COMPUTE_PGM_RSRC2:TGID_Z_EN: 0
; COMPUTE_PGM_RSRC2:TIDIG_COMP_CNT: 1
; COMPUTE_PGM_RSRC3_GFX90A:ACCUM_OFFSET: 21
; COMPUTE_PGM_RSRC3_GFX90A:TG_SPLIT: 0
	.section	.text._Z16wvSplitK_hf_sml_I6__halfLi64ELi3ELi16ELi8ELi2ELi5EEviiiiiiPKT_S3_S3_PS1_ii,"axG",@progbits,_Z16wvSplitK_hf_sml_I6__halfLi64ELi3ELi16ELi8ELi2ELi5EEviiiiiiPKT_S3_S3_PS1_ii,comdat
	.protected	_Z16wvSplitK_hf_sml_I6__halfLi64ELi3ELi16ELi8ELi2ELi5EEviiiiiiPKT_S3_S3_PS1_ii ; -- Begin function _Z16wvSplitK_hf_sml_I6__halfLi64ELi3ELi16ELi8ELi2ELi5EEviiiiiiPKT_S3_S3_PS1_ii
	.globl	_Z16wvSplitK_hf_sml_I6__halfLi64ELi3ELi16ELi8ELi2ELi5EEviiiiiiPKT_S3_S3_PS1_ii
	.p2align	8
	.type	_Z16wvSplitK_hf_sml_I6__halfLi64ELi3ELi16ELi8ELi2ELi5EEviiiiiiPKT_S3_S3_PS1_ii,@function
_Z16wvSplitK_hf_sml_I6__halfLi64ELi3ELi16ELi8ELi2ELi5EEviiiiiiPKT_S3_S3_PS1_ii: ; @_Z16wvSplitK_hf_sml_I6__halfLi64ELi3ELi16ELi8ELi2ELi5EEviiiiiiPKT_S3_S3_PS1_ii
; %bb.0:
	s_load_dwordx4 s[4:7], s[0:1], 0x0
	s_load_dwordx2 s[8:9], s[0:1], 0x10
	s_load_dwordx2 s[10:11], s[0:1], 0x28
	v_and_b32_e32 v2, 0x3ff, v0
	v_bfe_u32 v3, v0, 10, 10
	v_lshlrev_b32_e32 v78, 3, v2
	s_waitcnt lgkmcnt(0)
	s_mul_i32 s3, s6, 5
	v_lshl_add_u32 v4, v3, 9, v78
	s_min_u32 s3, s3, 0x8000
	v_cmp_gt_u32_e32 vcc, s3, v4
	s_and_saveexec_b64 s[12:13], vcc
	s_cbranch_execz .LBB149_3
; %bb.1:
	s_load_dwordx2 s[14:15], s[0:1], 0x20
	v_mov_b32_e32 v7, 0
	v_lshlrev_b32_e32 v6, 10, v3
	v_lshlrev_b32_e32 v8, 4, v2
	v_mov_b32_e32 v9, v7
	v_lshl_add_u64 v[0:1], v[6:7], 0, v[8:9]
	s_waitcnt lgkmcnt(0)
	v_lshl_add_u64 v[0:1], s[14:15], 0, v[0:1]
	v_add_u32_e32 v5, v6, v8
	s_mov_b64 s[14:15], 0
	s_mov_b64 s[16:17], 0x4000
.LBB149_2:                              ; =>This Inner Loop Header: Depth=1
	global_load_dwordx4 v[6:9], v[0:1], off
	v_add_u32_e32 v4, 0x2000, v4
	v_cmp_le_u32_e32 vcc, s3, v4
	v_lshl_add_u64 v[0:1], v[0:1], 0, s[16:17]
	s_or_b64 s[14:15], vcc, s[14:15]
	s_waitcnt vmcnt(0)
	ds_write_b128 v5, v[6:9]
	v_add_u32_e32 v5, 0x4000, v5
	s_andn2_b64 exec, exec, s[14:15]
	s_cbranch_execnz .LBB149_2
.LBB149_3:
	s_or_b64 exec, exec, s[12:13]
	s_load_dwordx2 s[16:17], s[0:1], 0x38
	s_waitcnt lgkmcnt(0)
	s_barrier
	v_cmp_gt_u32_e32 vcc, s16, v3
	s_and_saveexec_b64 s[12:13], vcc
	s_cbranch_execz .LBB149_20
; %bb.4:
	s_mul_i32 s2, s2, s16
	v_add_u32_e32 v0, s2, v3
	v_lshl_add_u32 v56, v0, 1, v0
	v_cmp_gt_u32_e32 vcc, s7, v56
	s_and_b64 exec, exec, vcc
	s_cbranch_execz .LBB149_20
; %bb.5:
	s_cmp_lg_u32 s4, 0
	s_cselect_b64 s[2:3], -1, 0
	s_add_i32 s24, s4, -8
	s_add_i32 s25, s7, -1
	s_cmp_lg_u64 s[10:11], 0
	s_mul_i32 s20, s16, s17
	s_cselect_b64 s[16:17], -1, 0
	s_abs_i32 s21, s9
	v_cvt_f32_u32_e32 v0, s8
	v_cvt_f32_u32_e32 v1, s21
	s_mul_i32 s9, s20, 3
	s_sub_i32 s20, 0, s8
	v_rcp_iflag_f32_e32 v0, v0
	v_rcp_iflag_f32_e32 v1, v1
	s_load_dwordx2 s[12:13], s[0:1], 0x18
	s_load_dwordx2 s[14:15], s[0:1], 0x30
	v_cmp_eq_u32_e64 s[0:1], 63, v2
	v_mul_f32_e32 v0, 0x4f7ffffe, v0
	v_mul_f32_e32 v1, 0x4f7ffffe, v1
	v_cvt_u32_f32_e32 v0, v0
	v_cvt_u32_f32_e32 v1, v1
	s_mov_b64 s[18:19], 0
	v_lshlrev_b32_e32 v80, 4, v2
	v_mul_lo_u32 v3, s20, v0
	s_sub_i32 s20, 0, s21
	v_readfirstlane_b32 s22, v1
	s_mul_i32 s20, s20, s22
	s_mul_hi_u32 s20, s22, s20
	s_add_i32 s22, s22, s20
	s_sub_i32 s20, 1, s21
	s_cmp_lt_u32 s21, 2
	s_cselect_b32 s20, s20, 1
	s_sub_i32 s23, s20, s21
	s_cmp_ge_u32 s20, s21
	s_cselect_b32 s26, s23, s20
	s_lshr_b32 s20, s22, 31
	s_mul_i32 s20, s20, s21
	s_sub_i32 s20, 2, s20
	s_sub_i32 s23, s20, s21
	s_cmp_ge_u32 s20, s21
	s_cselect_b32 s20, s23, s20
	s_sub_i32 s23, s20, s21
	s_cmp_ge_u32 s20, s21
	s_cselect_b32 s27, s23, s20
	s_mul_hi_u32 s20, s22, 3
	s_mul_i32 s20, s20, s21
	s_sub_i32 s20, 3, s20
	s_sub_i32 s23, s20, s21
	s_cmp_ge_u32 s20, s21
	s_cselect_b32 s20, s23, s20
	s_sub_i32 s23, s20, s21
	s_cmp_ge_u32 s20, s21
	s_cselect_b32 s28, s23, s20
	s_lshr_b32 s20, s22, 30
	s_mul_i32 s20, s20, s21
	s_sub_i32 s20, 4, s20
	s_sub_i32 s22, s20, s21
	s_cmp_ge_u32 s20, s21
	s_cselect_b32 s20, s22, s20
	s_sub_i32 s22, s20, s21
	v_mul_hi_u32 v3, v0, v3
	s_cmp_ge_u32 s20, s21
	v_add_u32_e32 v79, v0, v3
	s_cselect_b32 s29, s22, s20
	v_cndmask_b32_e64 v0, 0, 1, s[2:3]
	s_mul_i32 s26, s26, s8
	s_mul_i32 s27, s27, s8
	s_mul_i32 s28, s28, s8
	s_mul_i32 s29, s29, s8
	s_lshl_b32 s30, s6, 3
	s_mul_i32 s31, s6, 6
	s_lshl_b32 s33, s6, 2
	s_lshl_b32 s6, s6, 1
	v_cmp_ne_u32_e64 s[2:3], 1, v0
	v_mov_b32_e32 v59, 0
	s_branch .LBB149_8
.LBB149_6:                              ;   in Loop: Header=BB149_8 Depth=1
	v_cvt_f32_i32_e32 v2, v2
	v_cvt_f32_i32_e32 v4, v4
	;; [unrolled: 1-line block ×4, first 2 shown]
	v_add_f32_e32 v0, v0, v2
	v_add_f32_e32 v2, v1, v4
	v_cvt_f32_i32_e32 v1, v10
	v_add_f32_e32 v4, v5, v8
	v_cvt_f32_i32_e32 v5, v12
	v_cvt_f32_i32_e32 v8, v18
	v_add_f32_e32 v7, v7, v1
	v_cvt_f32_i32_e32 v1, v16
	v_add_f32_e32 v5, v9, v5
	v_add_f32_e32 v8, v15, v8
	;; [unrolled: 1-line block ×4, first 2 shown]
	v_cvt_f32_i32_e32 v1, v20
	s_waitcnt vmcnt(14)
	v_cvt_f32_f16_e32 v14, v44
	v_add_u32_e32 v58, s7, v56
	v_cvt_f32_i32_e32 v6, v13
	v_add_f32_e32 v12, v17, v1
	v_cvt_f32_i32_e32 v1, v28
	v_add_f32_e32 v0, v0, v14
	v_cvt_f16_f32_e32 v14, v0
	s_waitcnt vmcnt(13)
	v_cvt_f32_f16_e32 v17, v43
	v_add_f32_e32 v15, v23, v1
	v_cvt_f32_i32_e32 v1, v26
	v_add_f32_e32 v6, v11, v6
	v_cvt_f32_i32_e32 v10, v21
	v_cvt_f32_i32_e32 v11, v29
	v_add_f32_e32 v16, v24, v1
	s_waitcnt lgkmcnt(0)
	v_lshl_add_u64 v[0:1], v[56:57], 1, s[14:15]
	global_store_short v[0:1], v14, off
	s_waitcnt vmcnt(13)
	v_cvt_f32_f16_e32 v14, v42
	v_add_f32_e32 v0, v2, v17
	v_cvt_f16_f32_e32 v2, v0
	v_lshl_add_u64 v[0:1], v[62:63], 1, s[14:15]
	v_add_f32_e32 v3, v3, v14
	v_cvt_f16_f32_e32 v3, v3
	s_waitcnt vmcnt(12)
	v_cvt_f32_f16_e32 v14, v41
	global_store_short v[0:1], v2, off
	v_lshl_add_u64 v[0:1], v[60:61], 1, s[14:15]
	global_store_short v[0:1], v3, off
	v_add_f32_e32 v0, v4, v14
	v_cvt_f16_f32_e32 v2, v0
	s_waitcnt vmcnt(13)
	v_cvt_f32_f16_e32 v3, v39
	v_lshl_add_u64 v[0:1], v[58:59], 1, s[14:15]
	v_add_f32_e32 v10, v19, v10
	global_store_short v[0:1], v2, off
	v_add_f32_e32 v0, v7, v3
	v_cvt_f16_f32_e32 v2, v0
	s_waitcnt vmcnt(13)
	v_cvt_f32_f16_e32 v3, v37
	v_add_u32_e32 v0, 1, v58
	v_mov_b32_e32 v1, v59
	v_lshl_add_u64 v[0:1], v[0:1], 1, s[14:15]
	global_store_short v[0:1], v2, off
	v_add_f32_e32 v0, v5, v3
	v_cvt_f16_f32_e32 v2, v0
	s_waitcnt vmcnt(13)
	v_cvt_f32_f16_e32 v3, v35
	v_add_u32_e32 v0, 2, v58
	v_mov_b32_e32 v1, v59
	v_lshl_add_u64 v[0:1], v[0:1], 1, s[14:15]
	global_store_short v[0:1], v2, off
	v_add_f32_e32 v0, v6, v3
	v_cvt_f16_f32_e32 v2, v0
	s_waitcnt vmcnt(13)
	v_cvt_f32_f16_e32 v3, v33
	v_add_u32_e32 v58, s7, v58
	v_lshl_add_u64 v[0:1], v[58:59], 1, s[14:15]
	global_store_short v[0:1], v2, off
	v_add_f32_e32 v0, v9, v3
	v_cvt_f16_f32_e32 v2, v0
	s_waitcnt vmcnt(13)
	v_cvt_f32_f16_e32 v3, v40
	v_add_u32_e32 v0, 1, v58
	v_mov_b32_e32 v1, v59
	v_lshl_add_u64 v[0:1], v[0:1], 1, s[14:15]
	global_store_short v[0:1], v2, off
	v_add_f32_e32 v0, v8, v3
	v_cvt_f16_f32_e32 v2, v0
	s_waitcnt vmcnt(13)
	v_cvt_f32_f16_e32 v3, v38
	v_add_u32_e32 v0, 2, v58
	v_mov_b32_e32 v1, v59
	v_lshl_add_u64 v[0:1], v[0:1], 1, s[14:15]
	global_store_short v[0:1], v2, off
	v_add_f32_e32 v0, v12, v3
	v_cvt_f16_f32_e32 v2, v0
	s_waitcnt vmcnt(13)
	v_cvt_f32_f16_e32 v3, v36
	v_add_u32_e32 v58, s7, v58
	v_lshl_add_u64 v[0:1], v[58:59], 1, s[14:15]
	global_store_short v[0:1], v2, off
	v_add_f32_e32 v0, v10, v3
	v_cvt_f16_f32_e32 v2, v0
	s_waitcnt vmcnt(13)
	v_cvt_f32_f16_e32 v3, v34
	v_add_u32_e32 v0, 1, v58
	v_mov_b32_e32 v1, v59
	v_add_f32_e32 v11, v22, v11
	v_lshl_add_u64 v[0:1], v[0:1], 1, s[14:15]
	global_store_short v[0:1], v2, off
	v_add_f32_e32 v0, v11, v3
	v_cvt_f16_f32_e32 v2, v0
	s_waitcnt vmcnt(13)
	v_cvt_f32_f16_e32 v3, v32
	v_add_u32_e32 v0, 2, v58
	v_mov_b32_e32 v1, v59
	v_lshl_add_u64 v[0:1], v[0:1], 1, s[14:15]
	v_cvt_f32_i32_e32 v13, v27
	global_store_short v[0:1], v2, off
	v_add_f32_e32 v0, v15, v3
	v_cvt_f16_f32_e32 v2, v0
	s_waitcnt vmcnt(13)
	v_cvt_f32_f16_e32 v3, v31
	v_add_u32_e32 v58, s7, v58
	v_add_f32_e32 v13, v25, v13
	v_lshl_add_u64 v[0:1], v[58:59], 1, s[14:15]
	global_store_short v[0:1], v2, off
	v_add_f32_e32 v0, v13, v3
	s_waitcnt vmcnt(13)
	v_cvt_f32_f16_e32 v3, v30
	v_cvt_f16_f32_e32 v2, v0
	v_add_u32_e32 v0, 1, v58
	v_mov_b32_e32 v1, v59
	v_add_f32_e32 v3, v16, v3
	v_cvt_f16_f32_e32 v3, v3
	v_lshl_add_u64 v[0:1], v[0:1], 1, s[14:15]
	v_add_u32_e32 v58, 2, v58
	global_store_short v[0:1], v2, off
	v_lshl_add_u64 v[0:1], v[58:59], 1, s[14:15]
	global_store_short v[0:1], v3, off
.LBB149_7:                              ;   in Loop: Header=BB149_8 Depth=1
	s_or_b64 exec, exec, s[20:21]
	v_add_u32_e32 v56, s9, v56
	v_cmp_le_u32_e32 vcc, s7, v56
	s_or_b64 s[18:19], vcc, s[18:19]
	s_andn2_b64 exec, exec, s[18:19]
	s_cbranch_execz .LBB149_20
.LBB149_8:                              ; =>This Loop Header: Depth=1
                                        ;     Child Loop BB149_12 Depth 2
	s_mov_b32 s34, 0
	s_and_b64 vcc, exec, s[2:3]
	v_add_u32_e32 v62, 1, v56
	v_add_u32_e32 v60, 2, v56
	v_mov_b32_e32 v92, v59
	v_mov_b32_e32 v91, v59
	;; [unrolled: 1-line block ×15, first 2 shown]
	s_cbranch_vccnz .LBB149_15
; %bb.9:                                ;   in Loop: Header=BB149_8 Depth=1
	v_min_u32_e32 v0, s25, v56
	v_mul_lo_u32 v58, v0, s5
	v_min_u32_e32 v0, s25, v62
	v_min_u32_e32 v2, s25, v60
	v_mul_lo_u32 v0, v0, s5
	v_mov_b32_e32 v1, v59
	v_mul_lo_u32 v2, v2, s5
	v_mov_b32_e32 v3, v59
	v_mov_b32_e32 v86, 0
	v_lshlrev_b64 v[64:65], 1, v[58:59]
	v_lshlrev_b64 v[66:67], 1, v[0:1]
	;; [unrolled: 1-line block ×3, first 2 shown]
	v_mov_b32_e32 v93, v80
	v_mov_b32_e32 v85, 0
	;; [unrolled: 1-line block ×15, first 2 shown]
	s_branch .LBB149_12
.LBB149_10:                             ;   in Loop: Header=BB149_12 Depth=2
	s_or_b64 exec, exec, s[22:23]
.LBB149_11:                             ;   in Loop: Header=BB149_12 Depth=2
	s_or_b64 exec, exec, s[20:21]
	s_waitcnt vmcnt(5) lgkmcnt(1)
	;;#ASMSTART
	v_dot2c_f32_f16 v92, v52, v32
	;;#ASMEND
	s_waitcnt vmcnt(4)
	;;#ASMSTART
	v_dot2c_f32_f16 v91, v52, v24
	;;#ASMEND
	s_waitcnt vmcnt(3)
	;;#ASMSTART
	v_dot2c_f32_f16 v90, v52, v28
	;;#ASMEND
	;;#ASMSTART
	v_dot2c_f32_f16 v89, v48, v32
	;;#ASMEND
	;; [unrolled: 3-line block ×10, first 2 shown]
	s_waitcnt lgkmcnt(0)
	;;#ASMSTART
	v_dot2c_f32_f16 v63, v40, v32
	;;#ASMEND
	;;#ASMSTART
	v_dot2c_f32_f16 v61, v40, v24
	;;#ASMEND
	;;#ASMSTART
	v_dot2c_f32_f16 v57, v40, v28
	;;#ASMEND
	;;#ASMSTART
	v_dot2c_f32_f16 v92, v53, v33
	;;#ASMEND
	;;#ASMSTART
	v_dot2c_f32_f16 v91, v53, v25
	;;#ASMEND
	;;#ASMSTART
	v_dot2c_f32_f16 v90, v53, v29
	;;#ASMEND
	;;#ASMSTART
	v_dot2c_f32_f16 v89, v49, v33
	;;#ASMEND
	;;#ASMSTART
	v_dot2c_f32_f16 v88, v49, v25
	;;#ASMEND
	;;#ASMSTART
	v_dot2c_f32_f16 v87, v49, v29
	;;#ASMEND
	;;#ASMSTART
	v_dot2c_f32_f16 v86, v75, v33
	;;#ASMEND
	;;#ASMSTART
	v_dot2c_f32_f16 v85, v75, v25
	;;#ASMEND
	;;#ASMSTART
	v_dot2c_f32_f16 v84, v75, v29
	;;#ASMEND
	;;#ASMSTART
	v_dot2c_f32_f16 v83, v45, v33
	;;#ASMEND
	;;#ASMSTART
	v_dot2c_f32_f16 v82, v45, v25
	;;#ASMEND
	;;#ASMSTART
	v_dot2c_f32_f16 v81, v45, v29
	;;#ASMEND
	s_nop 0
	;;#ASMSTART
	v_dot2c_f32_f16 v63, v41, v33
	;;#ASMEND
	;;#ASMSTART
	v_dot2c_f32_f16 v61, v41, v25
	;;#ASMEND
	;;#ASMSTART
	v_dot2c_f32_f16 v57, v41, v29
	;;#ASMEND
	;;#ASMSTART
	v_dot2c_f32_f16 v92, v54, v34
	;;#ASMEND
	;;#ASMSTART
	v_dot2c_f32_f16 v91, v54, v26
	;;#ASMEND
	;;#ASMSTART
	v_dot2c_f32_f16 v90, v54, v30
	;;#ASMEND
	;;#ASMSTART
	v_dot2c_f32_f16 v89, v50, v34
	;;#ASMEND
	;;#ASMSTART
	v_dot2c_f32_f16 v88, v50, v26
	;;#ASMEND
	;;#ASMSTART
	v_dot2c_f32_f16 v87, v50, v30
	;;#ASMEND
	;;#ASMSTART
	v_dot2c_f32_f16 v86, v76, v34
	;;#ASMEND
	;;#ASMSTART
	v_dot2c_f32_f16 v85, v76, v26
	;;#ASMEND
	;;#ASMSTART
	v_dot2c_f32_f16 v84, v76, v30
	;;#ASMEND
	;;#ASMSTART
	v_dot2c_f32_f16 v83, v46, v34
	;;#ASMEND
	;;#ASMSTART
	v_dot2c_f32_f16 v82, v46, v26
	;;#ASMEND
	;;#ASMSTART
	v_dot2c_f32_f16 v81, v46, v30
	;;#ASMEND
	s_nop 0
	;; [unrolled: 46-line block ×3, first 2 shown]
	;;#ASMSTART
	v_dot2c_f32_f16 v63, v43, v35
	;;#ASMEND
	;;#ASMSTART
	v_dot2c_f32_f16 v61, v43, v27
	;;#ASMEND
	;; [unrolled: 3-line block ×3, first 2 shown]
	s_waitcnt vmcnt(2)
	;;#ASMSTART
	v_dot2c_f32_f16 v92, v36, v8
	;;#ASMEND
	s_waitcnt vmcnt(1)
	;;#ASMSTART
	v_dot2c_f32_f16 v91, v36, v4
	;;#ASMEND
	;; [unrolled: 4-line block ×3, first 2 shown]
	;;#ASMSTART
	v_dot2c_f32_f16 v89, v20, v8
	;;#ASMEND
	;;#ASMSTART
	v_dot2c_f32_f16 v88, v20, v4
	;;#ASMEND
	;; [unrolled: 3-line block ×14, first 2 shown]
	s_nop 0
	;;#ASMSTART
	v_dot2c_f32_f16 v90, v37, v1
	;;#ASMEND
	;;#ASMSTART
	v_dot2c_f32_f16 v89, v21, v9
	;;#ASMEND
	;; [unrolled: 3-line block ×13, first 2 shown]
	s_addk_i32 s34, 0x400
	;;#ASMSTART
	v_dot2c_f32_f16 v92, v38, v10
	;;#ASMEND
	;;#ASMSTART
	v_dot2c_f32_f16 v91, v38, v6
	;;#ASMEND
	;; [unrolled: 3-line block ×15, first 2 shown]
	s_cmp_ge_u32 s34, s4
	v_add_u32_e32 v93, 0x800, v93
	;;#ASMSTART
	v_dot2c_f32_f16 v92, v39, v11
	;;#ASMEND
	;;#ASMSTART
	v_dot2c_f32_f16 v91, v39, v7
	;;#ASMEND
	;; [unrolled: 3-line block ×15, first 2 shown]
	s_cbranch_scc1 .LBB149_15
.LBB149_12:                             ;   Parent Loop BB149_8 Depth=1
                                        ; =>  This Inner Loop Header: Depth=2
	v_add_u32_e32 v16, s34, v78
	v_min_u32_e32 v58, s24, v16
	s_waitcnt lgkmcnt(0)
	v_lshl_add_u64 v[0:1], v[58:59], 1, s[12:13]
	v_add_u32_e32 v94, 0x200, v16
	v_lshl_add_u64 v[2:3], v[0:1], 0, v[64:65]
	v_min_u32_e32 v58, s24, v94
	v_lshl_add_u64 v[4:5], v[0:1], 0, v[66:67]
	global_load_dwordx4 v[32:35], v[2:3], off nt
	global_load_dwordx4 v[24:27], v[4:5], off nt
	v_lshl_add_u64 v[2:3], v[58:59], 1, s[12:13]
	v_lshl_add_u64 v[0:1], v[0:1], 0, v[68:69]
	;; [unrolled: 1-line block ×4, first 2 shown]
	global_load_dwordx4 v[28:31], v[0:1], off nt
	global_load_dwordx4 v[8:11], v[4:5], off nt
	v_lshl_add_u64 v[14:15], v[2:3], 0, v[68:69]
	global_load_dwordx4 v[4:7], v[12:13], off nt
	global_load_dwordx4 v[0:3], v[14:15], off nt
	v_cmp_gt_u32_e32 vcc, s4, v16
	v_mov_b32_e32 v52, 0
	v_mov_b32_e32 v53, 0
	;; [unrolled: 1-line block ×40, first 2 shown]
	s_and_saveexec_b64 s[20:21], vcc
	s_cbranch_execz .LBB149_11
; %bb.13:                               ;   in Loop: Header=BB149_12 Depth=2
	v_add_u32_e32 v58, s6, v93
	v_add_u32_e32 v96, s33, v93
	ds_read_b128 v[48:51], v58
	ds_read2_b32 v[74:75], v96 offset1:1
	v_add_u32_e32 v97, s31, v93
	ds_read2_b32 v[76:77], v96 offset0:2 offset1:3
	ds_read_b128 v[44:47], v97
	v_add_u32_e32 v95, s30, v93
	ds_read_b128 v[52:55], v93
	ds_read2_b64 v[40:43], v95 offset1:1
	v_cmp_gt_u32_e32 vcc, s4, v94
	v_mov_b32_e32 v15, 0
	v_mov_b32_e32 v14, 0
	;; [unrolled: 1-line block ×20, first 2 shown]
	s_and_saveexec_b64 s[22:23], vcc
	s_cbranch_execz .LBB149_10
; %bb.14:                               ;   in Loop: Header=BB149_12 Depth=2
	v_add_u32_e32 v12, 0x400, v96
	v_add_u32_e32 v13, 0x408, v96
	ds_read_b128 v[36:39], v93 offset:1024
	ds_read2_b32 v[70:71], v13 offset1:1
	ds_read_b128 v[20:23], v58 offset:1024
	ds_read_b128 v[16:19], v97 offset:1024
	ds_read2_b32 v[72:73], v12 offset1:1
	ds_read2_b64 v[12:15], v95 offset0:128 offset1:129
	s_branch .LBB149_10
.LBB149_15:                             ;   in Loop: Header=BB149_8 Depth=1
	; sched_barrier mask(0x00000000)
	v_cvt_i32_f32_e32 v0, v92
	v_cvt_i32_f32_e32 v1, v91
	;; [unrolled: 1-line block ×4, first 2 shown]
	v_cvt_f32_i32_dpp v0, v0 row_shr:8 row_mask:0xf bank_mask:0xf bound_ctrl:1
	v_cvt_f32_i32_dpp v1, v1 row_shr:8 row_mask:0xf bank_mask:0xf bound_ctrl:1
	;; [unrolled: 1-line block ×4, first 2 shown]
	v_add_f32_e32 v0, v92, v0
	v_cvt_i32_f32_e32 v5, v0
	v_add_f32_e32 v1, v91, v1
	v_cvt_i32_f32_e32 v6, v1
	v_add_f32_e32 v2, v90, v2
	v_cvt_f32_i32_dpp v5, v5 row_shr:4 row_mask:0xf bank_mask:0xf bound_ctrl:1
	v_cvt_i32_f32_e32 v7, v2
	v_cvt_f32_i32_dpp v6, v6 row_shr:4 row_mask:0xf bank_mask:0xf bound_ctrl:1
	v_add_f32_e32 v3, v89, v3
	v_add_f32_e32 v0, v0, v5
	v_cvt_i32_f32_e32 v5, v0
	v_add_f32_e32 v1, v1, v6
	v_cvt_i32_f32_e32 v6, v1
	v_cvt_f32_i32_dpp v7, v7 row_shr:4 row_mask:0xf bank_mask:0xf bound_ctrl:1
	v_cvt_f32_i32_dpp v5, v5 row_shr:2 row_mask:0xf bank_mask:0xf bound_ctrl:1
	v_cvt_i32_f32_e32 v8, v3
	v_cvt_f32_i32_dpp v6, v6 row_shr:2 row_mask:0xf bank_mask:0xf bound_ctrl:1
	v_add_f32_e32 v2, v2, v7
	v_add_f32_e32 v0, v0, v5
	v_cvt_i32_f32_e32 v5, v0
	v_cvt_i32_f32_e32 v7, v2
	v_add_f32_e32 v1, v1, v6
	v_cvt_i32_f32_e32 v6, v1
	v_cvt_f32_i32_dpp v5, v5 row_shr:1 row_mask:0xf bank_mask:0xf bound_ctrl:1
	v_cvt_f32_i32_dpp v7, v7 row_shr:2 row_mask:0xf bank_mask:0xf bound_ctrl:1
	v_cvt_i32_f32_e32 v4, v88
	v_cvt_f32_i32_dpp v6, v6 row_shr:1 row_mask:0xf bank_mask:0xf bound_ctrl:1
	v_add_f32_e32 v0, v0, v5
	v_cvt_i32_f32_e32 v5, v0
	v_add_f32_e32 v7, v2, v7
	v_cvt_i32_f32_e32 v2, v7
	v_add_f32_e32 v1, v1, v6
	v_cvt_f32_i32_dpp v5, v5 row_bcast:15 row_mask:0xf bank_mask:0xf bound_ctrl:1
	v_cvt_f32_i32_dpp v8, v8 row_shr:4 row_mask:0xf bank_mask:0xf bound_ctrl:1
	v_cvt_i32_f32_e32 v6, v1
	v_cvt_f32_i32_dpp v9, v2 row_shr:1 row_mask:0xf bank_mask:0xf bound_ctrl:1
	v_add_f32_e32 v0, v0, v5
	v_cvt_i32_f32_e32 v5, v0
	v_cvt_f32_i32_dpp v6, v6 row_bcast:15 row_mask:0xf bank_mask:0xf bound_ctrl:1
	v_cvt_f32_i32_dpp v4, v4 row_shr:8 row_mask:0xf bank_mask:0xf bound_ctrl:1
	v_add_f32_e32 v3, v3, v8
	v_mov_b32_dpp v2, v5 row_bcast:31 row_mask:0xf bank_mask:0xf bound_ctrl:1
	v_add_f32_e32 v5, v7, v9
	v_cvt_i32_f32_e32 v7, v3
	v_add_f32_e32 v1, v1, v6
	v_add_f32_e32 v9, v88, v4
	v_cvt_i32_f32_e32 v6, v1
	v_cvt_i32_f32_e32 v8, v5
	;; [unrolled: 1-line block ×3, first 2 shown]
	v_cvt_f32_i32_dpp v7, v7 row_shr:2 row_mask:0xf bank_mask:0xf bound_ctrl:1
	v_mov_b32_dpp v4, v6 row_bcast:31 row_mask:0xf bank_mask:0xf bound_ctrl:1
	v_cvt_f32_i32_dpp v6, v8 row_bcast:15 row_mask:0xf bank_mask:0xf bound_ctrl:1
	v_cvt_f32_i32_dpp v8, v10 row_shr:4 row_mask:0xf bank_mask:0xf bound_ctrl:1
	v_add_f32_e32 v7, v3, v7
	v_cvt_i32_f32_e32 v10, v7
	v_add_f32_e32 v3, v5, v6
	v_add_f32_e32 v5, v9, v8
	v_cvt_i32_f32_e32 v6, v5
	v_cvt_f32_i32_dpp v8, v10 row_shr:1 row_mask:0xf bank_mask:0xf bound_ctrl:1
	v_cvt_i32_f32_e32 v9, v87
	v_cvt_i32_f32_e32 v10, v3
	v_cvt_f32_i32_dpp v6, v6 row_shr:2 row_mask:0xf bank_mask:0xf bound_ctrl:1
	v_add_f32_e32 v7, v7, v8
	v_cvt_f32_i32_dpp v8, v9 row_shr:8 row_mask:0xf bank_mask:0xf bound_ctrl:1
	v_cvt_i32_f32_e32 v9, v7
	v_add_f32_e32 v11, v5, v6
	v_cvt_i32_f32_e32 v5, v11
	v_add_f32_e32 v8, v87, v8
	v_cvt_i32_f32_e32 v12, v8
	v_cvt_f32_i32_dpp v9, v9 row_bcast:15 row_mask:0xf bank_mask:0xf bound_ctrl:1
	v_cvt_f32_i32_dpp v13, v5 row_shr:1 row_mask:0xf bank_mask:0xf bound_ctrl:1
	v_mov_b32_dpp v6, v10 row_bcast:31 row_mask:0xf bank_mask:0xf bound_ctrl:1
	v_cvt_f32_i32_dpp v10, v12 row_shr:4 row_mask:0xf bank_mask:0xf bound_ctrl:1
	v_add_f32_e32 v5, v7, v9
	v_cvt_i32_f32_e32 v9, v86
	v_add_f32_e32 v7, v11, v13
	v_add_f32_e32 v8, v8, v10
	v_cvt_i32_f32_e32 v10, v8
	v_cvt_f32_i32_dpp v9, v9 row_shr:8 row_mask:0xf bank_mask:0xf bound_ctrl:1
	v_cvt_i32_f32_e32 v12, v5
	v_cvt_i32_f32_e32 v11, v7
	v_cvt_f32_i32_dpp v10, v10 row_shr:2 row_mask:0xf bank_mask:0xf bound_ctrl:1
	v_add_f32_e32 v9, v86, v9
	v_cvt_i32_f32_e32 v13, v9
	v_cvt_f32_i32_dpp v11, v11 row_bcast:15 row_mask:0xf bank_mask:0xf bound_ctrl:1
	v_add_f32_e32 v10, v8, v10
	v_mov_b32_dpp v8, v12 row_bcast:31 row_mask:0xf bank_mask:0xf bound_ctrl:1
	v_cvt_f32_i32_dpp v12, v13 row_shr:4 row_mask:0xf bank_mask:0xf bound_ctrl:1
	v_cvt_i32_f32_e32 v14, v10
	v_cvt_i32_f32_e32 v13, v85
	v_add_f32_e32 v7, v7, v11
	v_add_f32_e32 v9, v9, v12
	v_cvt_f32_i32_dpp v11, v14 row_shr:1 row_mask:0xf bank_mask:0xf bound_ctrl:1
	v_cvt_i32_f32_e32 v12, v9
	v_cvt_f32_i32_dpp v13, v13 row_shr:8 row_mask:0xf bank_mask:0xf bound_ctrl:1
	v_cvt_i32_f32_e32 v14, v7
	v_add_f32_e32 v11, v10, v11
	v_cvt_f32_i32_dpp v10, v12 row_shr:2 row_mask:0xf bank_mask:0xf bound_ctrl:1
	v_add_f32_e32 v13, v85, v13
	v_cvt_i32_f32_e32 v12, v11
	v_cvt_i32_f32_e32 v15, v13
	v_add_f32_e32 v16, v9, v10
	v_cvt_i32_f32_e32 v9, v16
	v_cvt_f32_i32_dpp v12, v12 row_bcast:15 row_mask:0xf bank_mask:0xf bound_ctrl:1
	v_cvt_f32_i32_dpp v15, v15 row_shr:4 row_mask:0xf bank_mask:0xf bound_ctrl:1
	v_mov_b32_dpp v10, v14 row_bcast:31 row_mask:0xf bank_mask:0xf bound_ctrl:1
	v_cvt_f32_i32_dpp v14, v9 row_shr:1 row_mask:0xf bank_mask:0xf bound_ctrl:1
	v_add_f32_e32 v9, v11, v12
	v_add_f32_e32 v11, v13, v15
	v_cvt_i32_f32_e32 v12, v11
	v_add_f32_e32 v13, v16, v14
	v_cvt_i32_f32_e32 v14, v84
	v_cvt_i32_f32_e32 v15, v13
	v_cvt_f32_i32_dpp v12, v12 row_shr:2 row_mask:0xf bank_mask:0xf bound_ctrl:1
	v_cvt_i32_f32_e32 v16, v9
	v_cvt_f32_i32_dpp v14, v14 row_shr:8 row_mask:0xf bank_mask:0xf bound_ctrl:1
	v_cvt_f32_i32_dpp v15, v15 row_bcast:15 row_mask:0xf bank_mask:0xf bound_ctrl:1
	v_add_f32_e32 v17, v11, v12
	v_cvt_i32_f32_e32 v11, v17
	v_add_f32_e32 v14, v84, v14
	v_cvt_i32_f32_e32 v18, v14
	v_mov_b32_dpp v12, v16 row_bcast:31 row_mask:0xf bank_mask:0xf bound_ctrl:1
	v_cvt_f32_i32_dpp v16, v11 row_shr:1 row_mask:0xf bank_mask:0xf bound_ctrl:1
	v_add_f32_e32 v11, v13, v15
	v_cvt_f32_i32_dpp v13, v18 row_shr:4 row_mask:0xf bank_mask:0xf bound_ctrl:1
	v_cvt_i32_f32_e32 v15, v11
	v_add_f32_e32 v16, v17, v16
	v_cvt_i32_f32_e32 v17, v83
	v_add_f32_e32 v14, v14, v13
	v_cvt_i32_f32_e32 v18, v14
	v_cvt_i32_f32_e32 v19, v16
	v_cvt_f32_i32_dpp v17, v17 row_shr:8 row_mask:0xf bank_mask:0xf bound_ctrl:1
	v_mov_b32_dpp v13, v15 row_bcast:31 row_mask:0xf bank_mask:0xf bound_ctrl:1
	v_cvt_f32_i32_dpp v15, v18 row_shr:2 row_mask:0xf bank_mask:0xf bound_ctrl:1
	v_cvt_f32_i32_dpp v18, v19 row_bcast:15 row_mask:0xf bank_mask:0xf bound_ctrl:1
	v_add_f32_e32 v17, v83, v17
	v_cvt_i32_f32_e32 v19, v17
	v_cvt_i32_f32_e32 v20, v82
	v_add_f32_e32 v15, v14, v15
	v_add_f32_e32 v14, v16, v18
	v_cvt_f32_i32_dpp v19, v19 row_shr:4 row_mask:0xf bank_mask:0xf bound_ctrl:1
	v_cvt_f32_i32_dpp v16, v20 row_shr:8 row_mask:0xf bank_mask:0xf bound_ctrl:1
	v_cvt_i32_f32_e32 v21, v15
	v_add_f32_e32 v17, v17, v19
	v_cvt_i32_f32_e32 v19, v17
	v_add_f32_e32 v16, v82, v16
	v_cvt_f32_i32_dpp v18, v21 row_shr:1 row_mask:0xf bank_mask:0xf bound_ctrl:1
	v_cvt_i32_f32_e32 v20, v16
	v_cvt_f32_i32_dpp v19, v19 row_shr:2 row_mask:0xf bank_mask:0xf bound_ctrl:1
	v_cvt_i32_f32_e32 v21, v14
	v_add_f32_e32 v15, v15, v18
	v_cvt_f32_i32_dpp v18, v20 row_shr:4 row_mask:0xf bank_mask:0xf bound_ctrl:1
	v_add_f32_e32 v17, v17, v19
	v_cvt_i32_f32_e32 v19, v17
	v_cvt_i32_f32_e32 v20, v15
	v_add_f32_e32 v18, v16, v18
	v_cvt_i32_f32_e32 v22, v18
	v_cvt_f32_i32_dpp v19, v19 row_shr:1 row_mask:0xf bank_mask:0xf bound_ctrl:1
	v_mov_b32_dpp v16, v21 row_bcast:31 row_mask:0xf bank_mask:0xf bound_ctrl:1
	v_cvt_f32_i32_dpp v20, v20 row_bcast:15 row_mask:0xf bank_mask:0xf bound_ctrl:1
	v_cvt_f32_i32_dpp v21, v22 row_shr:2 row_mask:0xf bank_mask:0xf bound_ctrl:1
	v_add_f32_e32 v17, v17, v19
	v_cvt_i32_f32_e32 v19, v81
	v_add_f32_e32 v15, v15, v20
	v_add_f32_e32 v18, v18, v21
	v_cvt_i32_f32_e32 v20, v18
	v_cvt_f32_i32_dpp v19, v19 row_shr:8 row_mask:0xf bank_mask:0xf bound_ctrl:1
	v_cvt_i32_f32_e32 v22, v15
	v_cvt_i32_f32_e32 v21, v17
	v_cvt_f32_i32_dpp v20, v20 row_shr:1 row_mask:0xf bank_mask:0xf bound_ctrl:1
	v_add_f32_e32 v19, v81, v19
	v_cvt_i32_f32_e32 v23, v19
	v_cvt_f32_i32_dpp v21, v21 row_bcast:15 row_mask:0xf bank_mask:0xf bound_ctrl:1
	v_add_f32_e32 v20, v18, v20
	v_mov_b32_dpp v18, v22 row_bcast:31 row_mask:0xf bank_mask:0xf bound_ctrl:1
	v_cvt_f32_i32_dpp v22, v23 row_shr:4 row_mask:0xf bank_mask:0xf bound_ctrl:1
	v_cvt_i32_f32_e32 v24, v20
	v_cvt_i32_f32_e32 v23, v63
	v_add_f32_e32 v17, v17, v21
	v_add_f32_e32 v22, v19, v22
	v_cvt_f32_i32_dpp v21, v24 row_bcast:15 row_mask:0xf bank_mask:0xf bound_ctrl:1
	v_cvt_i32_f32_e32 v24, v22
	v_cvt_f32_i32_dpp v23, v23 row_shr:8 row_mask:0xf bank_mask:0xf bound_ctrl:1
	v_cvt_i32_f32_e32 v25, v17
	v_add_f32_e32 v19, v20, v21
	v_cvt_f32_i32_dpp v20, v24 row_shr:2 row_mask:0xf bank_mask:0xf bound_ctrl:1
	v_add_f32_e32 v23, v63, v23
	v_cvt_i32_f32_e32 v24, v23
	v_cvt_i32_f32_e32 v21, v19
	v_add_f32_e32 v22, v22, v20
	v_cvt_i32_f32_e32 v26, v22
	v_cvt_f32_i32_dpp v24, v24 row_shr:4 row_mask:0xf bank_mask:0xf bound_ctrl:1
	v_mov_b32_dpp v20, v25 row_bcast:31 row_mask:0xf bank_mask:0xf bound_ctrl:1
	v_mov_b32_dpp v21, v21 row_bcast:31 row_mask:0xf bank_mask:0xf bound_ctrl:1
	v_cvt_f32_i32_dpp v25, v26 row_shr:1 row_mask:0xf bank_mask:0xf bound_ctrl:1
	v_cvt_i32_f32_e32 v26, v61
	v_add_f32_e32 v23, v23, v24
	v_cvt_i32_f32_e32 v24, v57
	v_cvt_i32_f32_e32 v27, v23
	v_cvt_f32_i32_dpp v26, v26 row_shr:8 row_mask:0xf bank_mask:0xf bound_ctrl:1
	v_add_f32_e32 v22, v22, v25
	v_cvt_f32_i32_dpp v24, v24 row_shr:8 row_mask:0xf bank_mask:0xf bound_ctrl:1
	v_cvt_f32_i32_dpp v25, v27 row_shr:2 row_mask:0xf bank_mask:0xf bound_ctrl:1
	v_add_f32_e32 v26, v61, v26
	v_cvt_i32_f32_e32 v27, v26
	v_add_f32_e32 v24, v57, v24
	v_cvt_i32_f32_e32 v28, v24
	v_add_f32_e32 v23, v23, v25
	v_cvt_f32_i32_dpp v27, v27 row_shr:4 row_mask:0xf bank_mask:0xf bound_ctrl:1
	v_cvt_i32_f32_e32 v29, v22
	v_cvt_f32_i32_dpp v25, v28 row_shr:4 row_mask:0xf bank_mask:0xf bound_ctrl:1
	v_cvt_i32_f32_e32 v28, v23
	v_add_f32_e32 v26, v26, v27
	v_cvt_i32_f32_e32 v27, v26
	v_add_f32_e32 v24, v24, v25
	v_cvt_i32_f32_e32 v25, v24
	v_cvt_f32_i32_dpp v28, v28 row_shr:1 row_mask:0xf bank_mask:0xf bound_ctrl:1
	v_cvt_f32_i32_dpp v27, v27 row_shr:2 row_mask:0xf bank_mask:0xf bound_ctrl:1
	v_cvt_f32_i32_dpp v29, v29 row_bcast:15 row_mask:0xf bank_mask:0xf bound_ctrl:1
	v_cvt_f32_i32_dpp v25, v25 row_shr:2 row_mask:0xf bank_mask:0xf bound_ctrl:1
	v_add_f32_e32 v23, v23, v28
	v_add_f32_e32 v26, v26, v27
	v_cvt_i32_f32_e32 v27, v26
	v_add_f32_e32 v24, v24, v25
	v_cvt_i32_f32_e32 v25, v24
	v_cvt_i32_f32_e32 v28, v23
	v_cvt_f32_i32_dpp v27, v27 row_shr:1 row_mask:0xf bank_mask:0xf bound_ctrl:1
	v_add_f32_e32 v22, v22, v29
	v_cvt_f32_i32_dpp v25, v25 row_shr:1 row_mask:0xf bank_mask:0xf bound_ctrl:1
	v_cvt_f32_i32_dpp v28, v28 row_bcast:15 row_mask:0xf bank_mask:0xf bound_ctrl:1
	v_add_f32_e32 v26, v26, v27
	v_cvt_i32_f32_e32 v27, v26
	v_add_f32_e32 v24, v24, v25
	v_cvt_i32_f32_e32 v25, v24
	v_add_f32_e32 v23, v23, v28
	v_cvt_f32_i32_dpp v27, v27 row_bcast:15 row_mask:0xf bank_mask:0xf bound_ctrl:1
	v_cvt_i32_f32_e32 v29, v22
	v_cvt_f32_i32_dpp v28, v25 row_bcast:15 row_mask:0xf bank_mask:0xf bound_ctrl:1
	v_cvt_i32_f32_e32 v30, v23
	v_add_f32_e32 v25, v26, v27
	v_cvt_i32_f32_e32 v26, v25
	v_add_f32_e32 v24, v24, v28
	v_cvt_i32_f32_e32 v31, v24
	v_mov_b32_dpp v29, v29 row_bcast:31 row_mask:0xf bank_mask:0xf bound_ctrl:1
	v_mov_b32_dpp v28, v30 row_bcast:31 row_mask:0xf bank_mask:0xf bound_ctrl:1
	;; [unrolled: 1-line block ×4, first 2 shown]
	s_and_saveexec_b64 s[20:21], s[0:1]
	s_cbranch_execz .LBB149_7
; %bb.16:                               ;   in Loop: Header=BB149_8 Depth=1
	s_and_b64 vcc, exec, s[16:17]
	s_cbranch_vccz .LBB149_18
; %bb.17:                               ;   in Loop: Header=BB149_8 Depth=1
	v_mul_hi_u32 v30, v56, v79
	v_mul_lo_u32 v30, v30, s8
	v_sub_u32_e32 v30, v56, v30
	v_subrev_u32_e32 v31, s8, v30
	v_cmp_le_u32_e32 vcc, s8, v30
	v_mul_hi_u32 v32, v62, v79
	v_mul_lo_u32 v32, v32, s8
	v_cndmask_b32_e32 v30, v30, v31, vcc
	v_subrev_u32_e32 v31, s8, v30
	v_cmp_le_u32_e32 vcc, s8, v30
	v_sub_u32_e32 v32, v62, v32
	v_subrev_u32_e32 v33, s8, v32
	v_cndmask_b32_e32 v58, v30, v31, vcc
	v_cmp_le_u32_e32 vcc, s8, v32
	v_add_u32_e32 v36, s26, v58
	v_mov_b32_e32 v37, v59
	v_cndmask_b32_e32 v32, v32, v33, vcc
	v_subrev_u32_e32 v33, s8, v32
	v_cmp_le_u32_e32 vcc, s8, v32
	v_lshl_add_u64 v[50:51], v[36:37], 1, s[10:11]
	v_lshl_add_u64 v[30:31], v[58:59], 1, s[10:11]
	v_cndmask_b32_e32 v32, v32, v33, vcc
	v_mov_b32_e32 v33, v59
	v_lshl_add_u64 v[46:47], v[32:33], 1, s[10:11]
	v_mul_hi_u32 v33, v60, v79
	v_mul_lo_u32 v33, v33, s8
	v_sub_u32_e32 v33, v60, v33
	v_subrev_u32_e32 v34, s8, v33
	v_cmp_le_u32_e32 vcc, s8, v33
	v_add_u32_e32 v36, s26, v32
	v_lshl_add_u64 v[52:53], v[36:37], 1, s[10:11]
	v_cndmask_b32_e32 v33, v33, v34, vcc
	v_subrev_u32_e32 v34, s8, v33
	v_cmp_le_u32_e32 vcc, s8, v33
	v_mov_b32_e32 v35, v59
	v_mov_b32_e32 v57, v59
	v_cndmask_b32_e32 v34, v33, v34, vcc
	v_add_u32_e32 v36, s26, v34
	v_lshl_add_u64 v[54:55], v[36:37], 1, s[10:11]
	v_add_u32_e32 v36, s27, v58
	v_lshl_add_u64 v[64:65], v[36:37], 1, s[10:11]
	;; [unrolled: 2-line block ×3, first 2 shown]
	v_lshl_add_u64 v[66:67], v[36:37], 1, s[10:11]
	global_load_ushort v44, v[30:31], off
	global_load_ushort v43, v[46:47], off
	;; [unrolled: 1-line block ×8, first 2 shown]
	v_add_u32_e32 v46, s28, v58
	v_add_u32_e32 v58, s29, v58
	;; [unrolled: 1-line block ×3, first 2 shown]
	v_mov_b32_e32 v31, v59
	v_lshl_add_u64 v[52:53], v[58:59], 1, s[10:11]
	v_add_u32_e32 v58, s29, v32
	v_lshl_add_u64 v[30:31], v[30:31], 1, s[10:11]
	v_mov_b32_e32 v47, v59
	v_add_u32_e32 v48, s28, v32
	v_mov_b32_e32 v49, v59
	v_add_u32_e32 v50, s28, v34
	v_mov_b32_e32 v51, v59
	v_lshl_add_u64 v[54:55], v[58:59], 1, s[10:11]
	v_add_u32_e32 v58, s29, v34
	v_lshl_add_u64 v[46:47], v[46:47], 1, s[10:11]
	v_lshl_add_u64 v[48:49], v[48:49], 1, s[10:11]
	;; [unrolled: 1-line block ×4, first 2 shown]
	global_load_ushort v40, v[30:31], off
	global_load_ushort v38, v[46:47], off
	global_load_ushort v36, v[48:49], off
	global_load_ushort v34, v[50:51], off
	global_load_ushort v32, v[52:53], off
                                        ; kill: killed $vgpr46_vgpr47
                                        ; kill: killed $vgpr48_vgpr49
                                        ; kill: killed $vgpr50_vgpr51
                                        ; kill: killed $vgpr52_vgpr53
                                        ; kill: killed $vgpr30_vgpr31
	s_nop 0
	global_load_ushort v31, v[54:55], off
	global_load_ushort v30, v[64:65], off
	v_mov_b32_e32 v63, v59
	v_mov_b32_e32 v61, v59
	s_cbranch_execnz .LBB149_6
	s_branch .LBB149_19
.LBB149_18:                             ;   in Loop: Header=BB149_8 Depth=1
                                        ; implicit-def: $vgpr30
                                        ; implicit-def: $vgpr31
                                        ; implicit-def: $vgpr32
                                        ; implicit-def: $vgpr34
                                        ; implicit-def: $vgpr36
                                        ; implicit-def: $vgpr38
                                        ; implicit-def: $vgpr40
                                        ; implicit-def: $vgpr33
                                        ; implicit-def: $vgpr35
                                        ; implicit-def: $vgpr37
                                        ; implicit-def: $vgpr39
                                        ; implicit-def: $vgpr41
                                        ; implicit-def: $vgpr42
                                        ; implicit-def: $vgpr43
                                        ; implicit-def: $vgpr44
.LBB149_19:                             ;   in Loop: Header=BB149_8 Depth=1
	v_mov_b32_e32 v57, v59
	v_mov_b32_e32 v63, v59
	;; [unrolled: 1-line block ×3, first 2 shown]
	s_waitcnt vmcnt(14)
	v_mov_b32_e32 v44, 0
	s_waitcnt vmcnt(13)
	v_mov_b32_e32 v43, 0
	;; [unrolled: 2-line block ×15, first 2 shown]
	s_branch .LBB149_6
.LBB149_20:
	s_endpgm
	.section	.rodata,"a",@progbits
	.p2align	6, 0x0
	.amdhsa_kernel _Z16wvSplitK_hf_sml_I6__halfLi64ELi3ELi16ELi8ELi2ELi5EEviiiiiiPKT_S3_S3_PS1_ii
		.amdhsa_group_segment_fixed_size 65536
		.amdhsa_private_segment_fixed_size 0
		.amdhsa_kernarg_size 64
		.amdhsa_user_sgpr_count 2
		.amdhsa_user_sgpr_dispatch_ptr 0
		.amdhsa_user_sgpr_queue_ptr 0
		.amdhsa_user_sgpr_kernarg_segment_ptr 1
		.amdhsa_user_sgpr_dispatch_id 0
		.amdhsa_user_sgpr_kernarg_preload_length 0
		.amdhsa_user_sgpr_kernarg_preload_offset 0
		.amdhsa_user_sgpr_private_segment_size 0
		.amdhsa_uses_dynamic_stack 0
		.amdhsa_enable_private_segment 0
		.amdhsa_system_sgpr_workgroup_id_x 1
		.amdhsa_system_sgpr_workgroup_id_y 0
		.amdhsa_system_sgpr_workgroup_id_z 0
		.amdhsa_system_sgpr_workgroup_info 0
		.amdhsa_system_vgpr_workitem_id 1
		.amdhsa_next_free_vgpr 98
		.amdhsa_next_free_sgpr 35
		.amdhsa_accum_offset 100
		.amdhsa_reserve_vcc 1
		.amdhsa_float_round_mode_32 0
		.amdhsa_float_round_mode_16_64 0
		.amdhsa_float_denorm_mode_32 3
		.amdhsa_float_denorm_mode_16_64 3
		.amdhsa_dx10_clamp 1
		.amdhsa_ieee_mode 1
		.amdhsa_fp16_overflow 0
		.amdhsa_tg_split 0
		.amdhsa_exception_fp_ieee_invalid_op 0
		.amdhsa_exception_fp_denorm_src 0
		.amdhsa_exception_fp_ieee_div_zero 0
		.amdhsa_exception_fp_ieee_overflow 0
		.amdhsa_exception_fp_ieee_underflow 0
		.amdhsa_exception_fp_ieee_inexact 0
		.amdhsa_exception_int_div_zero 0
	.end_amdhsa_kernel
	.section	.text._Z16wvSplitK_hf_sml_I6__halfLi64ELi3ELi16ELi8ELi2ELi5EEviiiiiiPKT_S3_S3_PS1_ii,"axG",@progbits,_Z16wvSplitK_hf_sml_I6__halfLi64ELi3ELi16ELi8ELi2ELi5EEviiiiiiPKT_S3_S3_PS1_ii,comdat
.Lfunc_end149:
	.size	_Z16wvSplitK_hf_sml_I6__halfLi64ELi3ELi16ELi8ELi2ELi5EEviiiiiiPKT_S3_S3_PS1_ii, .Lfunc_end149-_Z16wvSplitK_hf_sml_I6__halfLi64ELi3ELi16ELi8ELi2ELi5EEviiiiiiPKT_S3_S3_PS1_ii
                                        ; -- End function
	.section	.AMDGPU.csdata,"",@progbits
; Kernel info:
; codeLenInByte = 5092
; NumSgprs: 41
; NumVgprs: 98
; NumAgprs: 0
; TotalNumVgprs: 98
; ScratchSize: 0
; MemoryBound: 0
; FloatMode: 240
; IeeeMode: 1
; LDSByteSize: 65536 bytes/workgroup (compile time only)
; SGPRBlocks: 5
; VGPRBlocks: 12
; NumSGPRsForWavesPerEU: 41
; NumVGPRsForWavesPerEU: 98
; AccumOffset: 100
; Occupancy: 4
; WaveLimiterHint : 0
; COMPUTE_PGM_RSRC2:SCRATCH_EN: 0
; COMPUTE_PGM_RSRC2:USER_SGPR: 2
; COMPUTE_PGM_RSRC2:TRAP_HANDLER: 0
; COMPUTE_PGM_RSRC2:TGID_X_EN: 1
; COMPUTE_PGM_RSRC2:TGID_Y_EN: 0
; COMPUTE_PGM_RSRC2:TGID_Z_EN: 0
; COMPUTE_PGM_RSRC2:TIDIG_COMP_CNT: 1
; COMPUTE_PGM_RSRC3_GFX90A:ACCUM_OFFSET: 24
; COMPUTE_PGM_RSRC3_GFX90A:TG_SPLIT: 0
	.section	.text._Z12wvSplitK_hf_I6__halfLi64ELi3ELi16ELi8ELi2ELi5EEviiiiiiPKT_S3_S3_PS1_ii,"axG",@progbits,_Z12wvSplitK_hf_I6__halfLi64ELi3ELi16ELi8ELi2ELi5EEviiiiiiPKT_S3_S3_PS1_ii,comdat
	.protected	_Z12wvSplitK_hf_I6__halfLi64ELi3ELi16ELi8ELi2ELi5EEviiiiiiPKT_S3_S3_PS1_ii ; -- Begin function _Z12wvSplitK_hf_I6__halfLi64ELi3ELi16ELi8ELi2ELi5EEviiiiiiPKT_S3_S3_PS1_ii
	.globl	_Z12wvSplitK_hf_I6__halfLi64ELi3ELi16ELi8ELi2ELi5EEviiiiiiPKT_S3_S3_PS1_ii
	.p2align	8
	.type	_Z12wvSplitK_hf_I6__halfLi64ELi3ELi16ELi8ELi2ELi5EEviiiiiiPKT_S3_S3_PS1_ii,@function
_Z12wvSplitK_hf_I6__halfLi64ELi3ELi16ELi8ELi2ELi5EEviiiiiiPKT_S3_S3_PS1_ii: ; @_Z12wvSplitK_hf_I6__halfLi64ELi3ELi16ELi8ELi2ELi5EEviiiiiiPKT_S3_S3_PS1_ii
; %bb.0:
	s_load_dwordx2 s[22:23], s[0:1], 0x38
	s_load_dwordx4 s[8:11], s[0:1], 0x0
	s_load_dwordx2 s[16:17], s[0:1], 0x10
	v_bfe_u32 v3, v0, 10, 10
	s_mov_b32 s4, 1
	s_waitcnt lgkmcnt(0)
	s_mul_i32 s2, s2, s22
	v_add_u32_e32 v1, s2, v3
	v_lshl_add_u32 v68, v1, 1, v1
	v_add_u32_e32 v1, 3, v68
	s_mov_b32 s6, s4
	v_cmp_gt_u32_e32 vcc, s11, v68
	v_cmp_le_u32_e64 s[2:3], s11, v1
	s_mov_b32 s5, s4
	v_mov_b32_e32 v66, s6
	s_and_b64 s[12:13], vcc, s[2:3]
	v_mov_b32_e32 v65, s5
	v_mov_b32_e32 v64, s4
	s_and_saveexec_b64 s[2:3], s[12:13]
	s_cbranch_execz .LBB150_6
; %bb.1:
	s_add_i32 s7, s11, -3
	v_mov_b32_e32 v66, s6
	v_cmp_ne_u32_e32 vcc, s7, v68
	v_mov_b32_e32 v65, s5
	v_mov_b32_e32 v64, s4
	s_and_saveexec_b64 s[12:13], vcc
	s_cbranch_execz .LBB150_5
; %bb.2:
	v_subrev_u32_e32 v1, s7, v68
	v_cmp_lt_u32_e32 vcc, 1, v1
	s_mov_b64 s[14:15], 0
	s_mov_b64 s[18:19], 0
	v_cndmask_b32_e32 v2, 1, v1, vcc
	s_mov_b32 s5, s4
	s_mov_b32 s6, s4
.LBB150_3:                              ; =>This Inner Loop Header: Depth=1
	s_cmp_lg_u32 s18, 2
	s_cselect_b32 s6, s6, 0
	s_cmp_lg_u32 s18, 1
	s_cselect_b32 s5, s5, 0
	;; [unrolled: 2-line block ×3, first 2 shown]
	s_add_u32 s18, s18, 1
	s_addc_u32 s19, s19, 0
	v_cmp_eq_u32_e32 vcc, s18, v2
	v_mov_b32_e32 v66, s6
	s_or_b64 s[14:15], vcc, s[14:15]
	v_mov_b32_e32 v65, s5
	v_mov_b32_e32 v64, s4
	s_andn2_b64 exec, exec, s[14:15]
	s_cbranch_execnz .LBB150_3
; %bb.4:
	s_or_b64 exec, exec, s[14:15]
	v_mov_b32_e32 v68, s7
.LBB150_5:
	s_or_b64 exec, exec, s[12:13]
.LBB150_6:
	s_or_b64 exec, exec, s[2:3]
	s_load_dwordx4 s[12:15], s[0:1], 0x20
	v_and_b32_e32 v2, 0x3ff, v0
	v_lshlrev_b32_e32 v70, 3, v2
	s_mul_i32 s2, s10, 5
	v_lshl_add_u32 v4, v3, 9, v70
	s_min_u32 s18, s2, 0x8000
	v_cmp_gt_u32_e32 vcc, s18, v4
	s_and_saveexec_b64 s[2:3], vcc
	s_cbranch_execz .LBB150_9
; %bb.7:
	v_mov_b32_e32 v7, 0
	v_lshlrev_b32_e32 v6, 10, v3
	v_lshlrev_b32_e32 v8, 4, v2
	v_mov_b32_e32 v9, v7
	v_lshl_add_u64 v[0:1], v[6:7], 0, v[8:9]
	s_waitcnt lgkmcnt(0)
	v_lshl_add_u64 v[0:1], s[12:13], 0, v[0:1]
	v_add_u32_e32 v5, v6, v8
	s_mov_b64 s[4:5], 0
	s_mov_b64 s[6:7], 0x4000
.LBB150_8:                              ; =>This Inner Loop Header: Depth=1
	global_load_dwordx4 v[6:9], v[0:1], off
	v_add_u32_e32 v4, 0x2000, v4
	v_cmp_le_u32_e32 vcc, s18, v4
	v_lshl_add_u64 v[0:1], v[0:1], 0, s[6:7]
	s_or_b64 s[4:5], vcc, s[4:5]
	s_waitcnt vmcnt(0)
	ds_write_b128 v5, v[6:9]
	v_add_u32_e32 v5, 0x4000, v5
	s_andn2_b64 exec, exec, s[4:5]
	s_cbranch_execnz .LBB150_8
.LBB150_9:
	s_or_b64 exec, exec, s[2:3]
	v_cmp_gt_u32_e32 vcc, s22, v3
	v_cmp_gt_u32_e64 s[2:3], s11, v68
	s_and_b64 s[2:3], vcc, s[2:3]
	s_waitcnt lgkmcnt(0)
	s_barrier
	s_and_saveexec_b64 s[4:5], s[2:3]
	s_cbranch_execz .LBB150_98
; %bb.10:
	s_cmp_lg_u32 s8, 0
	s_cselect_b64 s[2:3], -1, 0
	s_add_i32 s33, s8, -8
	s_add_i32 s36, s11, -1
	s_cmp_lg_u64 s[14:15], 0
	s_cselect_b64 s[24:25], -1, 0
	s_abs_i32 s4, s17
	v_cvt_f32_u32_e32 v0, s16
	v_cvt_f32_u32_e32 v1, s4
	s_sub_i32 s5, 0, s16
	s_add_i32 s38, s11, -3
	v_rcp_iflag_f32_e32 v0, v0
	v_rcp_iflag_f32_e32 v1, v1
	s_lshl_b32 s17, s10, 1
	s_load_dwordx2 s[18:19], s[0:1], 0x18
	s_load_dwordx2 s[20:21], s[0:1], 0x30
	v_mul_f32_e32 v0, 0x4f7ffffe, v0
	v_mul_f32_e32 v1, 0x4f7ffffe, v1
	v_cvt_u32_f32_e32 v0, v0
	v_cvt_u32_f32_e32 v1, v1
	v_lshlrev_b32_e32 v71, 4, v2
	s_mul_i32 s37, s22, s23
	v_mul_lo_u32 v3, s5, v0
	s_sub_i32 s5, 0, s4
	v_readfirstlane_b32 s6, v1
	s_mul_i32 s5, s5, s6
	s_mul_hi_u32 s5, s6, s5
	s_add_i32 s6, s6, s5
	s_sub_i32 s5, 1, s4
	s_cmp_lt_u32 s4, 2
	s_cselect_b32 s5, s5, 1
	s_sub_i32 s7, s5, s4
	s_cmp_ge_u32 s5, s4
	s_cselect_b32 s39, s7, s5
	s_lshr_b32 s5, s6, 31
	s_mul_i32 s5, s5, s4
	s_sub_i32 s5, 2, s5
	s_sub_i32 s7, s5, s4
	s_cmp_ge_u32 s5, s4
	s_cselect_b32 s5, s7, s5
	s_sub_i32 s7, s5, s4
	s_cmp_ge_u32 s5, s4
	s_cselect_b32 s40, s7, s5
	s_mul_hi_u32 s5, s6, 3
	s_mul_i32 s5, s5, s4
	s_sub_i32 s5, 3, s5
	s_sub_i32 s7, s5, s4
	s_cmp_ge_u32 s5, s4
	s_cselect_b32 s5, s7, s5
	s_sub_i32 s7, s5, s4
	s_cmp_ge_u32 s5, s4
	s_cselect_b32 s41, s7, s5
	s_lshr_b32 s5, s6, 30
	s_mul_i32 s5, s5, s4
	s_sub_i32 s5, 4, s5
	s_sub_i32 s6, s5, s4
	s_cmp_ge_u32 s5, s4
	s_cselect_b32 s5, s6, s5
	s_sub_i32 s6, s5, s4
	v_mul_hi_u32 v3, v0, v3
	s_cmp_ge_u32 s5, s4
	v_add_u32_e32 v67, v0, v3
	s_cselect_b32 s42, s6, s5
	s_lshl_b32 s43, s10, 2
	v_mad_u64_u32 v[74:75], s[4:5], s10, 3, v[70:71]
	v_cndmask_b32_e64 v0, 0, 1, s[2:3]
	v_cmp_eq_u32_e64 s[0:1], 63, v2
	s_mov_b64 s[22:23], 0
	s_mul_i32 s37, s37, 3
	v_mov_b32_e32 v73, 0
	s_mul_i32 s39, s39, s16
	s_mul_i32 s40, s40, s16
	;; [unrolled: 1-line block ×4, first 2 shown]
	v_add_u32_e32 v94, s17, v70
	s_mul_i32 s44, s10, 6
	s_lshl_b32 s45, s10, 3
	v_add_u32_e32 v75, s43, v70
	v_add_u32_e32 v95, s10, v70
	v_cmp_ne_u32_e64 s[2:3], 1, v0
	s_movk_i32 s10, 0x7fff
	s_mov_b32 s26, 0
	s_branch .LBB150_13
.LBB150_11:                             ;   in Loop: Header=BB150_13 Depth=1
	s_or_b64 exec, exec, s[28:29]
	v_mov_b32_e32 v68, s38
.LBB150_12:                             ;   in Loop: Header=BB150_13 Depth=1
	s_or_b64 exec, exec, s[6:7]
	v_cmp_le_u32_e32 vcc, s11, v68
	s_or_b64 s[22:23], vcc, s[22:23]
	s_andn2_b64 exec, exec, s[22:23]
	s_cbranch_execz .LBB150_98
.LBB150_13:                             ; =>This Loop Header: Depth=1
                                        ;     Child Loop BB150_18 Depth 2
                                        ;     Child Loop BB150_82 Depth 2
	s_and_b64 vcc, exec, s[2:3]
	v_add_u32_e32 v78, 1, v68
	v_add_u32_e32 v76, 2, v68
	v_mov_b32_e32 v107, v73
	v_mov_b32_e32 v106, v73
	;; [unrolled: 1-line block ×15, first 2 shown]
	s_cbranch_vccnz .LBB150_60
; %bb.14:                               ;   in Loop: Header=BB150_13 Depth=1
	v_min_u32_e32 v0, s36, v68
	v_mul_lo_u32 v72, v0, s9
	v_min_u32_e32 v0, s36, v78
	v_min_u32_e32 v2, s36, v76
	v_mul_lo_u32 v0, v0, s9
	v_mov_b32_e32 v1, v73
	v_mul_lo_u32 v2, v2, s9
	v_mov_b32_e32 v3, v73
	v_mov_b32_e32 v101, 0
	v_lshlrev_b64 v[80:81], 1, v[72:73]
	v_lshlrev_b64 v[82:83], 1, v[0:1]
	;; [unrolled: 1-line block ×3, first 2 shown]
	v_mov_b32_e32 v108, v71
	v_mov_b32_e32 v100, 0
	;; [unrolled: 1-line block ×15, first 2 shown]
	s_mov_b32 s30, s26
	s_branch .LBB150_18
.LBB150_15:                             ;   in Loop: Header=BB150_18 Depth=2
	s_or_b64 exec, exec, s[28:29]
.LBB150_16:                             ;   in Loop: Header=BB150_18 Depth=2
	s_or_b64 exec, exec, s[6:7]
.LBB150_17:                             ;   in Loop: Header=BB150_18 Depth=2
	s_or_b64 exec, exec, s[4:5]
	s_waitcnt vmcnt(0) lgkmcnt(0)
	;;#ASMSTART
	v_dot2c_f32_f16 v107, v40, v20
	;;#ASMEND
	;;#ASMSTART
	v_dot2c_f32_f16 v106, v40, v12
	;;#ASMEND
	;;#ASMSTART
	v_dot2c_f32_f16 v105, v40, v16
	;;#ASMEND
	;;#ASMSTART
	v_dot2c_f32_f16 v104, v36, v20
	;;#ASMEND
	;;#ASMSTART
	v_dot2c_f32_f16 v103, v36, v12
	;;#ASMEND
	;;#ASMSTART
	v_dot2c_f32_f16 v102, v36, v16
	;;#ASMEND
	;;#ASMSTART
	v_dot2c_f32_f16 v101, v32, v20
	;;#ASMEND
	;;#ASMSTART
	v_dot2c_f32_f16 v100, v32, v12
	;;#ASMEND
	;;#ASMSTART
	v_dot2c_f32_f16 v99, v32, v16
	;;#ASMEND
	;;#ASMSTART
	v_dot2c_f32_f16 v98, v28, v20
	;;#ASMEND
	;;#ASMSTART
	v_dot2c_f32_f16 v97, v28, v12
	;;#ASMEND
	;;#ASMSTART
	v_dot2c_f32_f16 v96, v28, v16
	;;#ASMEND
	;;#ASMSTART
	v_dot2c_f32_f16 v79, v24, v20
	;;#ASMEND
	;;#ASMSTART
	v_dot2c_f32_f16 v77, v24, v12
	;;#ASMEND
	;;#ASMSTART
	v_dot2c_f32_f16 v69, v24, v16
	;;#ASMEND
	s_nop 0
	;;#ASMSTART
	v_dot2c_f32_f16 v107, v41, v21
	;;#ASMEND
	;;#ASMSTART
	v_dot2c_f32_f16 v106, v41, v13
	;;#ASMEND
	;;#ASMSTART
	v_dot2c_f32_f16 v105, v41, v17
	;;#ASMEND
	;;#ASMSTART
	v_dot2c_f32_f16 v104, v37, v21
	;;#ASMEND
	;;#ASMSTART
	v_dot2c_f32_f16 v103, v37, v13
	;;#ASMEND
	;;#ASMSTART
	v_dot2c_f32_f16 v102, v37, v17
	;;#ASMEND
	;;#ASMSTART
	v_dot2c_f32_f16 v101, v33, v21
	;;#ASMEND
	;;#ASMSTART
	v_dot2c_f32_f16 v100, v33, v13
	;;#ASMEND
	;;#ASMSTART
	v_dot2c_f32_f16 v99, v33, v17
	;;#ASMEND
	;;#ASMSTART
	v_dot2c_f32_f16 v98, v29, v21
	;;#ASMEND
	;;#ASMSTART
	v_dot2c_f32_f16 v97, v29, v13
	;;#ASMEND
	;;#ASMSTART
	v_dot2c_f32_f16 v96, v29, v17
	;;#ASMEND
	;;#ASMSTART
	v_dot2c_f32_f16 v79, v25, v21
	;;#ASMEND
	;;#ASMSTART
	v_dot2c_f32_f16 v77, v25, v13
	;;#ASMEND
	;;#ASMSTART
	v_dot2c_f32_f16 v69, v25, v17
	;;#ASMEND
	s_nop 0
	;; [unrolled: 46-line block ×5, first 2 shown]
	;;#ASMSTART
	v_dot2c_f32_f16 v107, v61, v9
	;;#ASMEND
	;;#ASMSTART
	v_dot2c_f32_f16 v106, v61, v5
	;;#ASMEND
	;; [unrolled: 3-line block ×15, first 2 shown]
	s_addk_i32 s30, 0x400
	;;#ASMSTART
	v_dot2c_f32_f16 v107, v62, v10
	;;#ASMEND
	;;#ASMSTART
	v_dot2c_f32_f16 v106, v62, v6
	;;#ASMEND
	;; [unrolled: 3-line block ×15, first 2 shown]
	s_cmp_ge_u32 s30, s8
	v_add_u32_e32 v108, 0x800, v108
	;;#ASMSTART
	v_dot2c_f32_f16 v107, v63, v11
	;;#ASMEND
	;;#ASMSTART
	v_dot2c_f32_f16 v106, v63, v7
	;;#ASMEND
	;; [unrolled: 3-line block ×15, first 2 shown]
	s_cbranch_scc1 .LBB150_60
.LBB150_18:                             ;   Parent Loop BB150_13 Depth=1
                                        ; =>  This Inner Loop Header: Depth=2
	v_add_u32_e32 v88, s30, v70
	v_min_u32_e32 v72, s33, v88
	s_waitcnt lgkmcnt(0)
	v_lshl_add_u64 v[0:1], v[72:73], 1, s[18:19]
	v_add_u32_e32 v86, 0x200, v88
	v_lshl_add_u64 v[2:3], v[0:1], 0, v[80:81]
	v_min_u32_e32 v72, s33, v86
	v_lshl_add_u64 v[4:5], v[0:1], 0, v[82:83]
	global_load_dwordx4 v[20:23], v[2:3], off nt
	global_load_dwordx4 v[12:15], v[4:5], off nt
	v_lshl_add_u64 v[0:1], v[0:1], 0, v[84:85]
	v_lshl_add_u64 v[2:3], v[72:73], 1, s[18:19]
	;; [unrolled: 1-line block ×3, first 2 shown]
	global_load_dwordx4 v[16:19], v[0:1], off nt
	global_load_dwordx4 v[8:11], v[4:5], off nt
	v_lshl_add_u64 v[0:1], v[2:3], 0, v[82:83]
	v_lshl_add_u64 v[2:3], v[2:3], 0, v[84:85]
	global_load_dwordx4 v[4:7], v[0:1], off nt
	s_nop 0
	global_load_dwordx4 v[0:3], v[2:3], off nt
	s_mov_b32 s27, s26
	v_cmp_gt_u32_e32 vcc, s8, v88
	v_mov_b64_e32 v[50:51], s[26:27]
	v_mov_b32_e32 v47, 0
	v_mov_b32_e32 v46, 0
	;; [unrolled: 1-line block ×3, first 2 shown]
	s_waitcnt vmcnt(20)
	v_mov_b32_e32 v44, 0
	v_mov_b64_e32 v[48:49], s[26:27]
	v_mov_b64_e32 v[54:55], s[26:27]
	;; [unrolled: 1-line block ×9, first 2 shown]
	s_waitcnt vmcnt(6)
	v_mov_b64_e32 v[30:31], s[26:27]
	v_mov_b64_e32 v[28:29], s[26:27]
	;; [unrolled: 1-line block ×8, first 2 shown]
	s_and_saveexec_b64 s[4:5], vcc
	s_cbranch_execz .LBB150_17
; %bb.19:                               ;   in Loop: Header=BB150_18 Depth=2
	v_cmp_lt_u32_e32 vcc, s10, v88
                                        ; implicit-def: $vgpr42_vgpr43
	s_and_saveexec_b64 s[6:7], vcc
	s_xor_b64 s[6:7], exec, s[6:7]
	s_cbranch_execz .LBB150_21
; %bb.20:                               ;   in Loop: Header=BB150_18 Depth=2
	v_mov_b32_e32 v89, v73
	v_lshl_add_u64 v[24:25], v[88:89], 1, s[12:13]
	global_load_dwordx4 v[40:43], v[24:25], off
.LBB150_21:                             ;   in Loop: Header=BB150_18 Depth=2
	s_andn2_saveexec_b64 s[6:7], s[6:7]
	s_cbranch_execz .LBB150_23
; %bb.22:                               ;   in Loop: Header=BB150_18 Depth=2
	s_waitcnt vmcnt(0)
	ds_read_b128 v[40:43], v108
.LBB150_23:                             ;   in Loop: Header=BB150_18 Depth=2
	s_or_b64 exec, exec, s[6:7]
	v_add_u32_e32 v72, s30, v95
	v_cmp_lt_u32_e32 vcc, s10, v72
                                        ; implicit-def: $vgpr38_vgpr39
	s_and_saveexec_b64 s[6:7], vcc
	s_xor_b64 s[6:7], exec, s[6:7]
	s_cbranch_execz .LBB150_25
; %bb.24:                               ;   in Loop: Header=BB150_18 Depth=2
	v_lshl_add_u64 v[24:25], v[72:73], 1, s[12:13]
	global_load_dwordx4 v[36:39], v[24:25], off
.LBB150_25:                             ;   in Loop: Header=BB150_18 Depth=2
	s_andn2_saveexec_b64 s[6:7], s[6:7]
	s_cbranch_execz .LBB150_27
; %bb.26:                               ;   in Loop: Header=BB150_18 Depth=2
	v_add_u32_e32 v24, s17, v108
	s_waitcnt vmcnt(0)
	ds_read_b128 v[36:39], v24
.LBB150_27:                             ;   in Loop: Header=BB150_18 Depth=2
	s_or_b64 exec, exec, s[6:7]
	v_add_u32_e32 v92, s30, v94
	v_cmp_lt_u32_e32 vcc, s10, v92
                                        ; implicit-def: $vgpr34_vgpr35
	s_and_saveexec_b64 s[6:7], vcc
	s_xor_b64 s[6:7], exec, s[6:7]
	s_cbranch_execz .LBB150_29
; %bb.28:                               ;   in Loop: Header=BB150_18 Depth=2
	v_mov_b32_e32 v93, v73
	v_lshl_add_u64 v[24:25], v[92:93], 1, s[12:13]
	global_load_dwordx4 v[32:35], v[24:25], off
.LBB150_29:                             ;   in Loop: Header=BB150_18 Depth=2
	s_andn2_saveexec_b64 s[6:7], s[6:7]
	s_cbranch_execz .LBB150_31
; %bb.30:                               ;   in Loop: Header=BB150_18 Depth=2
	v_add_u32_e32 v24, s43, v108
	s_waitcnt vmcnt(0)
	ds_read2_b32 v[32:33], v24 offset1:1
	ds_read2_b32 v[34:35], v24 offset0:2 offset1:3
.LBB150_31:                             ;   in Loop: Header=BB150_18 Depth=2
	s_or_b64 exec, exec, s[6:7]
	v_add_u32_e32 v90, s30, v74
	v_cmp_lt_u32_e32 vcc, s10, v90
                                        ; implicit-def: $vgpr30_vgpr31
	s_and_saveexec_b64 s[6:7], vcc
	s_xor_b64 s[6:7], exec, s[6:7]
	s_cbranch_execz .LBB150_33
; %bb.32:                               ;   in Loop: Header=BB150_18 Depth=2
	v_mov_b32_e32 v91, v73
	v_lshl_add_u64 v[24:25], v[90:91], 1, s[12:13]
	global_load_dwordx4 v[28:31], v[24:25], off
.LBB150_33:                             ;   in Loop: Header=BB150_18 Depth=2
	s_andn2_saveexec_b64 s[6:7], s[6:7]
	s_cbranch_execz .LBB150_35
; %bb.34:                               ;   in Loop: Header=BB150_18 Depth=2
	v_add_u32_e32 v24, s44, v108
	s_waitcnt vmcnt(0)
	ds_read_b128 v[28:31], v24
.LBB150_35:                             ;   in Loop: Header=BB150_18 Depth=2
	s_or_b64 exec, exec, s[6:7]
	v_add_u32_e32 v88, s30, v75
	v_cmp_lt_u32_e32 vcc, s10, v88
                                        ; implicit-def: $vgpr26_vgpr27
	s_and_saveexec_b64 s[6:7], vcc
	s_xor_b64 s[6:7], exec, s[6:7]
	s_cbranch_execz .LBB150_37
; %bb.36:                               ;   in Loop: Header=BB150_18 Depth=2
	v_mov_b32_e32 v89, v73
	v_lshl_add_u64 v[24:25], v[88:89], 1, s[12:13]
	global_load_dwordx4 v[24:27], v[24:25], off
.LBB150_37:                             ;   in Loop: Header=BB150_18 Depth=2
	s_andn2_saveexec_b64 s[6:7], s[6:7]
	s_cbranch_execz .LBB150_39
; %bb.38:                               ;   in Loop: Header=BB150_18 Depth=2
	s_waitcnt vmcnt(0)
	v_add_u32_e32 v24, s45, v108
	ds_read2_b64 v[24:27], v24 offset1:1
.LBB150_39:                             ;   in Loop: Header=BB150_18 Depth=2
	s_or_b64 exec, exec, s[6:7]
	s_mov_b32 s27, s26
	v_cmp_gt_u32_e32 vcc, s8, v86
	v_mov_b32_e32 v47, 0
	v_mov_b64_e32 v[50:51], s[26:27]
	v_mov_b32_e32 v46, 0
	v_mov_b32_e32 v45, 0
	;; [unrolled: 1-line block ×3, first 2 shown]
	v_mov_b64_e32 v[48:49], s[26:27]
	v_mov_b64_e32 v[54:55], s[26:27]
	;; [unrolled: 1-line block ×7, first 2 shown]
	s_and_saveexec_b64 s[6:7], vcc
	s_cbranch_execz .LBB150_16
; %bb.40:                               ;   in Loop: Header=BB150_18 Depth=2
	v_cmp_lt_u32_e32 vcc, s10, v86
                                        ; implicit-def: $vgpr62_vgpr63
	s_and_saveexec_b64 s[28:29], vcc
	s_xor_b64 s[28:29], exec, s[28:29]
	s_cbranch_execz .LBB150_42
; %bb.41:                               ;   in Loop: Header=BB150_18 Depth=2
	v_mov_b32_e32 v87, v73
	v_lshl_add_u64 v[44:45], v[86:87], 1, s[12:13]
	global_load_dwordx4 v[60:63], v[44:45], off
.LBB150_42:                             ;   in Loop: Header=BB150_18 Depth=2
	s_andn2_saveexec_b64 s[28:29], s[28:29]
	s_cbranch_execz .LBB150_44
; %bb.43:                               ;   in Loop: Header=BB150_18 Depth=2
	s_waitcnt vmcnt(0)
	ds_read_b128 v[60:63], v108 offset:1024
.LBB150_44:                             ;   in Loop: Header=BB150_18 Depth=2
	s_or_b64 exec, exec, s[28:29]
	v_add_u32_e32 v72, 0x200, v72
	v_cmp_lt_u32_e32 vcc, s10, v72
                                        ; implicit-def: $vgpr58_vgpr59
	s_and_saveexec_b64 s[28:29], vcc
	s_xor_b64 s[28:29], exec, s[28:29]
	s_cbranch_execz .LBB150_46
; %bb.45:                               ;   in Loop: Header=BB150_18 Depth=2
	v_lshl_add_u64 v[44:45], v[72:73], 1, s[12:13]
	global_load_dwordx4 v[56:59], v[44:45], off
.LBB150_46:                             ;   in Loop: Header=BB150_18 Depth=2
	s_andn2_saveexec_b64 s[28:29], s[28:29]
	s_cbranch_execz .LBB150_48
; %bb.47:                               ;   in Loop: Header=BB150_18 Depth=2
	v_add_u32_e32 v44, s17, v108
	s_waitcnt vmcnt(0)
	ds_read_b128 v[56:59], v44 offset:1024
.LBB150_48:                             ;   in Loop: Header=BB150_18 Depth=2
	s_or_b64 exec, exec, s[28:29]
	v_add_u32_e32 v72, 0x200, v92
	v_cmp_lt_u32_e32 vcc, s10, v72
                                        ; implicit-def: $vgpr54_vgpr55
	s_and_saveexec_b64 s[28:29], vcc
	s_xor_b64 s[28:29], exec, s[28:29]
	s_cbranch_execz .LBB150_50
; %bb.49:                               ;   in Loop: Header=BB150_18 Depth=2
	v_lshl_add_u64 v[44:45], v[72:73], 1, s[12:13]
	global_load_dwordx4 v[52:55], v[44:45], off
.LBB150_50:                             ;   in Loop: Header=BB150_18 Depth=2
	s_andn2_saveexec_b64 s[28:29], s[28:29]
	s_cbranch_execz .LBB150_52
; %bb.51:                               ;   in Loop: Header=BB150_18 Depth=2
	v_add_u32_e32 v44, s43, v108
	v_add_u32_e32 v45, 0x400, v44
	;; [unrolled: 1-line block ×3, first 2 shown]
	s_waitcnt vmcnt(0)
	ds_read2_b32 v[52:53], v45 offset1:1
	ds_read2_b32 v[54:55], v44 offset1:1
.LBB150_52:                             ;   in Loop: Header=BB150_18 Depth=2
	s_or_b64 exec, exec, s[28:29]
	v_add_u32_e32 v72, 0x200, v90
	v_cmp_lt_u32_e32 vcc, s10, v72
                                        ; implicit-def: $vgpr50_vgpr51
	s_and_saveexec_b64 s[28:29], vcc
	s_xor_b64 s[28:29], exec, s[28:29]
	s_cbranch_execz .LBB150_54
; %bb.53:                               ;   in Loop: Header=BB150_18 Depth=2
	v_lshl_add_u64 v[44:45], v[72:73], 1, s[12:13]
	global_load_dwordx4 v[48:51], v[44:45], off
.LBB150_54:                             ;   in Loop: Header=BB150_18 Depth=2
	s_andn2_saveexec_b64 s[28:29], s[28:29]
	s_cbranch_execz .LBB150_56
; %bb.55:                               ;   in Loop: Header=BB150_18 Depth=2
	v_add_u32_e32 v44, s44, v108
	s_waitcnt vmcnt(0)
	ds_read_b128 v[48:51], v44 offset:1024
.LBB150_56:                             ;   in Loop: Header=BB150_18 Depth=2
	s_or_b64 exec, exec, s[28:29]
	v_add_u32_e32 v72, 0x200, v88
	v_cmp_lt_u32_e32 vcc, s10, v72
                                        ; implicit-def: $vgpr47
	s_and_saveexec_b64 s[28:29], vcc
	s_xor_b64 s[28:29], exec, s[28:29]
	s_cbranch_execz .LBB150_58
; %bb.57:                               ;   in Loop: Header=BB150_18 Depth=2
	v_lshl_add_u64 v[44:45], v[72:73], 1, s[12:13]
	global_load_dwordx4 v[44:47], v[44:45], off
.LBB150_58:                             ;   in Loop: Header=BB150_18 Depth=2
	s_andn2_saveexec_b64 s[28:29], s[28:29]
	s_cbranch_execz .LBB150_15
; %bb.59:                               ;   in Loop: Header=BB150_18 Depth=2
	s_waitcnt vmcnt(0)
	v_add_u32_e32 v44, s45, v108
	ds_read2_b64 v[44:47], v44 offset0:128 offset1:129
	s_branch .LBB150_15
.LBB150_60:                             ;   in Loop: Header=BB150_13 Depth=1
	v_cvt_i32_f32_e32 v0, v107
	v_cvt_i32_f32_e32 v1, v106
	;; [unrolled: 1-line block ×4, first 2 shown]
	v_cvt_f32_i32_dpp v0, v0 row_shr:8 row_mask:0xf bank_mask:0xf bound_ctrl:1
	v_cvt_f32_i32_dpp v1, v1 row_shr:8 row_mask:0xf bank_mask:0xf bound_ctrl:1
	;; [unrolled: 1-line block ×4, first 2 shown]
	v_add_f32_e32 v0, v107, v0
	v_cvt_i32_f32_e32 v4, v0
	v_add_f32_e32 v1, v106, v1
	v_cvt_i32_f32_e32 v6, v1
	v_add_f32_e32 v2, v105, v2
	v_cvt_f32_i32_dpp v4, v4 row_shr:4 row_mask:0xf bank_mask:0xf bound_ctrl:1
	v_cvt_i32_f32_e32 v7, v2
	v_cvt_f32_i32_dpp v6, v6 row_shr:4 row_mask:0xf bank_mask:0xf bound_ctrl:1
	v_add_f32_e32 v3, v104, v3
	v_add_f32_e32 v0, v0, v4
	v_cvt_i32_f32_e32 v4, v0
	v_add_f32_e32 v1, v1, v6
	v_cvt_i32_f32_e32 v6, v1
	v_cvt_f32_i32_dpp v7, v7 row_shr:4 row_mask:0xf bank_mask:0xf bound_ctrl:1
	v_cvt_f32_i32_dpp v4, v4 row_shr:2 row_mask:0xf bank_mask:0xf bound_ctrl:1
	v_cvt_i32_f32_e32 v8, v3
	v_cvt_f32_i32_dpp v6, v6 row_shr:2 row_mask:0xf bank_mask:0xf bound_ctrl:1
	v_add_f32_e32 v2, v2, v7
	v_add_f32_e32 v0, v0, v4
	v_cvt_i32_f32_e32 v4, v0
	v_add_f32_e32 v1, v1, v6
	v_cvt_i32_f32_e32 v6, v1
	v_cvt_i32_f32_e32 v7, v2
	v_cvt_f32_i32_dpp v4, v4 row_shr:1 row_mask:0xf bank_mask:0xf bound_ctrl:1
	v_cvt_i32_f32_e32 v5, v103
	v_cvt_f32_i32_dpp v6, v6 row_shr:1 row_mask:0xf bank_mask:0xf bound_ctrl:1
	v_cvt_f32_i32_dpp v7, v7 row_shr:2 row_mask:0xf bank_mask:0xf bound_ctrl:1
	v_add_f32_e32 v0, v0, v4
	v_cvt_i32_f32_e32 v4, v0
	v_add_f32_e32 v1, v1, v6
	v_add_f32_e32 v2, v2, v7
	v_cvt_i32_f32_e32 v6, v1
	v_cvt_f32_i32_dpp v4, v4 row_bcast:15 row_mask:0xf bank_mask:0xf bound_ctrl:1
	v_cvt_i32_f32_e32 v7, v2
	v_cvt_f32_i32_dpp v8, v8 row_shr:4 row_mask:0xf bank_mask:0xf bound_ctrl:1
	v_cvt_f32_i32_dpp v6, v6 row_bcast:15 row_mask:0xf bank_mask:0xf bound_ctrl:1
	v_add_f32_e32 v4, v0, v4
	v_cvt_i32_f32_e32 v0, v4
	v_cvt_f32_i32_dpp v7, v7 row_shr:1 row_mask:0xf bank_mask:0xf bound_ctrl:1
	v_add_f32_e32 v1, v1, v6
	v_cvt_i32_f32_e32 v9, v1
	v_mov_b32_dpp v6, v0 row_bcast:31 row_mask:0xf bank_mask:0xf bound_ctrl:1
	v_add_f32_e32 v0, v2, v7
	v_cvt_f32_i32_dpp v2, v5 row_shr:8 row_mask:0xf bank_mask:0xf bound_ctrl:1
	v_add_f32_e32 v5, v3, v8
	v_cvt_i32_f32_e32 v3, v5
	v_cvt_i32_f32_e32 v7, v0
	v_add_f32_e32 v2, v103, v2
	v_cvt_i32_f32_e32 v8, v2
	v_cvt_f32_i32_dpp v10, v3 row_shr:2 row_mask:0xf bank_mask:0xf bound_ctrl:1
	v_mov_b32_dpp v3, v9 row_bcast:31 row_mask:0xf bank_mask:0xf bound_ctrl:1
	v_cvt_f32_i32_dpp v7, v7 row_bcast:15 row_mask:0xf bank_mask:0xf bound_ctrl:1
	v_cvt_f32_i32_dpp v8, v8 row_shr:4 row_mask:0xf bank_mask:0xf bound_ctrl:1
	v_add_f32_e32 v5, v5, v10
	v_cvt_i32_f32_e32 v9, v5
	v_add_f32_e32 v0, v0, v7
	v_add_f32_e32 v2, v2, v8
	v_cvt_i32_f32_e32 v7, v2
	v_cvt_f32_i32_dpp v8, v9 row_shr:1 row_mask:0xf bank_mask:0xf bound_ctrl:1
	v_cvt_i32_f32_e32 v9, v102
	v_cvt_i32_f32_e32 v10, v0
	v_cvt_f32_i32_dpp v7, v7 row_shr:2 row_mask:0xf bank_mask:0xf bound_ctrl:1
	v_add_f32_e32 v5, v5, v8
	v_cvt_f32_i32_dpp v8, v9 row_shr:8 row_mask:0xf bank_mask:0xf bound_ctrl:1
	v_cvt_i32_f32_e32 v9, v5
	v_add_f32_e32 v11, v2, v7
	v_cvt_i32_f32_e32 v2, v11
	v_add_f32_e32 v8, v102, v8
	v_cvt_i32_f32_e32 v12, v8
	v_cvt_f32_i32_dpp v9, v9 row_bcast:15 row_mask:0xf bank_mask:0xf bound_ctrl:1
	v_mov_b32_dpp v7, v10 row_bcast:31 row_mask:0xf bank_mask:0xf bound_ctrl:1
	v_cvt_f32_i32_dpp v13, v2 row_shr:1 row_mask:0xf bank_mask:0xf bound_ctrl:1
	v_cvt_f32_i32_dpp v10, v12 row_shr:4 row_mask:0xf bank_mask:0xf bound_ctrl:1
	v_add_f32_e32 v2, v5, v9
	v_cvt_i32_f32_e32 v9, v101
	v_add_f32_e32 v5, v11, v13
	v_add_f32_e32 v8, v8, v10
	v_cvt_i32_f32_e32 v10, v8
	v_cvt_f32_i32_dpp v9, v9 row_shr:8 row_mask:0xf bank_mask:0xf bound_ctrl:1
	v_cvt_i32_f32_e32 v11, v5
	v_cvt_i32_f32_e32 v12, v2
	v_cvt_f32_i32_dpp v10, v10 row_shr:2 row_mask:0xf bank_mask:0xf bound_ctrl:1
	v_add_f32_e32 v9, v101, v9
	v_cvt_i32_f32_e32 v13, v9
	v_cvt_f32_i32_dpp v11, v11 row_bcast:15 row_mask:0xf bank_mask:0xf bound_ctrl:1
	v_add_f32_e32 v8, v8, v10
	v_cvt_i32_f32_e32 v14, v8
	v_mov_b32_dpp v10, v12 row_bcast:31 row_mask:0xf bank_mask:0xf bound_ctrl:1
	v_cvt_f32_i32_dpp v12, v13 row_shr:4 row_mask:0xf bank_mask:0xf bound_ctrl:1
	v_cvt_i32_f32_e32 v13, v100
	v_add_f32_e32 v5, v5, v11
	v_cvt_f32_i32_dpp v11, v14 row_shr:1 row_mask:0xf bank_mask:0xf bound_ctrl:1
	v_add_f32_e32 v9, v9, v12
	v_cvt_f32_i32_dpp v13, v13 row_shr:8 row_mask:0xf bank_mask:0xf bound_ctrl:1
	v_cvt_i32_f32_e32 v12, v9
	v_add_f32_e32 v8, v8, v11
	v_cvt_i32_f32_e32 v14, v5
	v_add_f32_e32 v13, v100, v13
	v_cvt_f32_i32_dpp v11, v12 row_shr:2 row_mask:0xf bank_mask:0xf bound_ctrl:1
	v_cvt_i32_f32_e32 v12, v8
	v_cvt_i32_f32_e32 v15, v13
	;; [unrolled: 1-line block ×3, first 2 shown]
	v_add_f32_e32 v9, v9, v11
	v_cvt_f32_i32_dpp v12, v12 row_bcast:15 row_mask:0xf bank_mask:0xf bound_ctrl:1
	v_cvt_f32_i32_dpp v15, v15 row_shr:4 row_mask:0xf bank_mask:0xf bound_ctrl:1
	v_cvt_i32_f32_e32 v16, v9
	v_mov_b32_dpp v11, v14 row_bcast:31 row_mask:0xf bank_mask:0xf bound_ctrl:1
	v_add_f32_e32 v8, v8, v12
	v_add_f32_e32 v12, v13, v15
	v_cvt_i32_f32_e32 v13, v12
	v_cvt_f32_i32_dpp v14, v16 row_shr:1 row_mask:0xf bank_mask:0xf bound_ctrl:1
	v_cvt_i32_f32_e32 v16, v8
	v_cvt_f32_i32_dpp v13, v13 row_shr:2 row_mask:0xf bank_mask:0xf bound_ctrl:1
	v_add_f32_e32 v9, v9, v14
	v_cvt_i32_f32_e32 v14, v99
	v_cvt_i32_f32_e32 v15, v9
	v_add_f32_e32 v13, v12, v13
	v_cvt_i32_f32_e32 v17, v13
	v_cvt_f32_i32_dpp v14, v14 row_shr:8 row_mask:0xf bank_mask:0xf bound_ctrl:1
	v_mov_b32_dpp v12, v16 row_bcast:31 row_mask:0xf bank_mask:0xf bound_ctrl:1
	v_cvt_f32_i32_dpp v15, v15 row_bcast:15 row_mask:0xf bank_mask:0xf bound_ctrl:1
	v_cvt_f32_i32_dpp v16, v17 row_shr:1 row_mask:0xf bank_mask:0xf bound_ctrl:1
	v_add_f32_e32 v14, v99, v14
	v_cvt_i32_f32_e32 v18, v14
	v_add_f32_e32 v9, v9, v15
	v_add_f32_e32 v16, v13, v16
	v_cvt_i32_f32_e32 v13, v98
	v_cvt_f32_i32_dpp v15, v18 row_shr:4 row_mask:0xf bank_mask:0xf bound_ctrl:1
	v_cvt_i32_f32_e32 v17, v9
	v_cvt_i32_f32_e32 v18, v16
	v_cvt_f32_i32_dpp v19, v13 row_shr:8 row_mask:0xf bank_mask:0xf bound_ctrl:1
	v_add_f32_e32 v14, v14, v15
	v_mov_b32_dpp v13, v17 row_bcast:31 row_mask:0xf bank_mask:0xf bound_ctrl:1
	v_cvt_f32_i32_dpp v17, v18 row_bcast:15 row_mask:0xf bank_mask:0xf bound_ctrl:1
	v_add_f32_e32 v18, v98, v19
	v_cvt_i32_f32_e32 v15, v14
	v_cvt_i32_f32_e32 v19, v18
	s_nop 0
	v_cvt_f32_i32_dpp v15, v15 row_shr:2 row_mask:0xf bank_mask:0xf bound_ctrl:1
	v_cvt_f32_i32_dpp v19, v19 row_shr:4 row_mask:0xf bank_mask:0xf bound_ctrl:1
	v_add_f32_e32 v15, v14, v15
	v_add_f32_e32 v14, v16, v17
	v_cvt_f32_i32_dpp v16, v20 row_shr:8 row_mask:0xf bank_mask:0xf bound_ctrl:1
	v_add_f32_e32 v18, v18, v19
	v_cvt_i32_f32_e32 v21, v15
	v_cvt_i32_f32_e32 v19, v18
	v_add_f32_e32 v16, v97, v16
	v_cvt_i32_f32_e32 v20, v16
	v_cvt_f32_i32_dpp v17, v21 row_shr:1 row_mask:0xf bank_mask:0xf bound_ctrl:1
	v_cvt_f32_i32_dpp v19, v19 row_shr:2 row_mask:0xf bank_mask:0xf bound_ctrl:1
	v_cvt_i32_f32_e32 v21, v14
	v_add_f32_e32 v15, v15, v17
	v_cvt_f32_i32_dpp v17, v20 row_shr:4 row_mask:0xf bank_mask:0xf bound_ctrl:1
	v_add_f32_e32 v18, v18, v19
	v_cvt_i32_f32_e32 v19, v18
	v_cvt_i32_f32_e32 v20, v15
	v_add_f32_e32 v16, v16, v17
	v_cvt_i32_f32_e32 v17, v16
	v_cvt_f32_i32_dpp v19, v19 row_shr:1 row_mask:0xf bank_mask:0xf bound_ctrl:1
	v_cvt_f32_i32_dpp v22, v20 row_bcast:15 row_mask:0xf bank_mask:0xf bound_ctrl:1
	v_mov_b32_dpp v20, v21 row_bcast:31 row_mask:0xf bank_mask:0xf bound_ctrl:1
	v_cvt_f32_i32_dpp v17, v17 row_shr:2 row_mask:0xf bank_mask:0xf bound_ctrl:1
	v_add_f32_e32 v18, v18, v19
	v_cvt_i32_f32_e32 v19, v96
	v_cvt_i32_f32_e32 v21, v18
	v_add_f32_e32 v16, v16, v17
	v_cvt_i32_f32_e32 v17, v16
	v_cvt_f32_i32_dpp v19, v19 row_shr:8 row_mask:0xf bank_mask:0xf bound_ctrl:1
	v_cvt_f32_i32_dpp v21, v21 row_bcast:15 row_mask:0xf bank_mask:0xf bound_ctrl:1
	v_add_f32_e32 v15, v15, v22
	v_cvt_f32_i32_dpp v17, v17 row_shr:1 row_mask:0xf bank_mask:0xf bound_ctrl:1
	v_add_f32_e32 v19, v96, v19
	v_cvt_i32_f32_e32 v23, v19
	v_cvt_i32_f32_e32 v22, v15
	v_add_f32_e32 v17, v16, v17
	v_cvt_i32_f32_e32 v24, v17
	v_cvt_f32_i32_dpp v23, v23 row_shr:4 row_mask:0xf bank_mask:0xf bound_ctrl:1
	v_add_f32_e32 v16, v18, v21
	v_cvt_i32_f32_e32 v21, v79
	v_cvt_f32_i32_dpp v18, v24 row_bcast:15 row_mask:0xf bank_mask:0xf bound_ctrl:1
	v_add_f32_e32 v19, v19, v23
	v_cvt_i32_f32_e32 v23, v19
	v_cvt_f32_i32_dpp v21, v21 row_shr:8 row_mask:0xf bank_mask:0xf bound_ctrl:1
	v_add_f32_e32 v17, v17, v18
	v_cvt_i32_f32_e32 v24, v16
	v_cvt_f32_i32_dpp v18, v23 row_shr:2 row_mask:0xf bank_mask:0xf bound_ctrl:1
	v_add_f32_e32 v21, v79, v21
	v_cvt_i32_f32_e32 v25, v21
	v_cvt_i32_f32_e32 v23, v17
	v_add_f32_e32 v18, v19, v18
	v_cvt_i32_f32_e32 v26, v18
	v_cvt_f32_i32_dpp v25, v25 row_shr:4 row_mask:0xf bank_mask:0xf bound_ctrl:1
	v_mov_b32_dpp v19, v23 row_bcast:31 row_mask:0xf bank_mask:0xf bound_ctrl:1
	v_mov_b32_dpp v22, v22 row_bcast:31 row_mask:0xf bank_mask:0xf bound_ctrl:1
	v_cvt_f32_i32_dpp v23, v26 row_shr:1 row_mask:0xf bank_mask:0xf bound_ctrl:1
	v_cvt_i32_f32_e32 v26, v77
	v_add_f32_e32 v21, v21, v25
	v_cvt_i32_f32_e32 v25, v69
	v_add_f32_e32 v18, v18, v23
	v_cvt_f32_i32_dpp v26, v26 row_shr:8 row_mask:0xf bank_mask:0xf bound_ctrl:1
	v_cvt_i32_f32_e32 v27, v21
	v_cvt_f32_i32_dpp v23, v25 row_shr:8 row_mask:0xf bank_mask:0xf bound_ctrl:1
	v_cvt_i32_f32_e32 v29, v18
	v_add_f32_e32 v26, v77, v26
	v_cvt_f32_i32_dpp v25, v27 row_shr:2 row_mask:0xf bank_mask:0xf bound_ctrl:1
	v_add_f32_e32 v23, v69, v23
	v_cvt_i32_f32_e32 v27, v26
	v_cvt_i32_f32_e32 v28, v23
	v_add_f32_e32 v21, v21, v25
	v_cvt_f32_i32_dpp v29, v29 row_bcast:15 row_mask:0xf bank_mask:0xf bound_ctrl:1
	v_cvt_f32_i32_dpp v27, v27 row_shr:4 row_mask:0xf bank_mask:0xf bound_ctrl:1
	v_cvt_f32_i32_dpp v25, v28 row_shr:4 row_mask:0xf bank_mask:0xf bound_ctrl:1
	v_cvt_i32_f32_e32 v28, v21
	v_mov_b32_dpp v24, v24 row_bcast:31 row_mask:0xf bank_mask:0xf bound_ctrl:1
	v_add_f32_e32 v26, v26, v27
	v_add_f32_e32 v23, v23, v25
	v_cvt_i32_f32_e32 v27, v26
	v_cvt_i32_f32_e32 v25, v23
	v_cvt_f32_i32_dpp v28, v28 row_shr:1 row_mask:0xf bank_mask:0xf bound_ctrl:1
	v_cvt_f32_i32_dpp v27, v27 row_shr:2 row_mask:0xf bank_mask:0xf bound_ctrl:1
	;; [unrolled: 1-line block ×3, first 2 shown]
	v_add_f32_e32 v21, v21, v28
	v_cvt_i32_f32_e32 v28, v21
	v_add_f32_e32 v26, v26, v27
	v_add_f32_e32 v23, v23, v25
	v_cvt_i32_f32_e32 v27, v26
	v_cvt_i32_f32_e32 v25, v23
	s_waitcnt vmcnt(0)
	v_cvt_f32_i32_dpp v30, v27 row_shr:1 row_mask:0xf bank_mask:0xf bound_ctrl:1
	v_add_f32_e32 v27, v18, v29
	v_cvt_f32_i32_dpp v18, v25 row_shr:1 row_mask:0xf bank_mask:0xf bound_ctrl:1
	v_cvt_f32_i32_dpp v25, v28 row_bcast:15 row_mask:0xf bank_mask:0xf bound_ctrl:1
	v_add_f32_e32 v28, v26, v30
	v_cvt_i32_f32_e32 v26, v28
	v_add_f32_e32 v18, v23, v18
	v_cvt_i32_f32_e32 v23, v18
	v_cvt_i32_f32_e32 v29, v27
	v_cvt_f32_i32_dpp v30, v26 row_bcast:15 row_mask:0xf bank_mask:0xf bound_ctrl:1
	v_add_f32_e32 v26, v21, v25
	v_cvt_f32_i32_dpp v21, v23 row_bcast:15 row_mask:0xf bank_mask:0xf bound_ctrl:1
	v_cvt_i32_f32_e32 v25, v26
	v_add_f32_e32 v23, v28, v30
	v_cvt_i32_f32_e32 v30, v23
	v_add_f32_e32 v18, v18, v21
	v_cvt_i32_f32_e32 v21, v18
	v_mov_b32_dpp v29, v29 row_bcast:31 row_mask:0xf bank_mask:0xf bound_ctrl:1
	v_mov_b32_dpp v28, v25 row_bcast:31 row_mask:0xf bank_mask:0xf bound_ctrl:1
	;; [unrolled: 1-line block ×4, first 2 shown]
	s_and_saveexec_b64 s[28:29], s[0:1]
	s_cbranch_execz .LBB150_79
; %bb.61:                               ;   in Loop: Header=BB150_13 Depth=1
	s_andn2_b64 vcc, exec, s[24:25]
	v_mov_b32_e32 v44, 0
	v_mov_b32_e32 v43, 0
	;; [unrolled: 1-line block ×15, first 2 shown]
	s_cbranch_vccnz .LBB150_63
; %bb.62:                               ;   in Loop: Header=BB150_13 Depth=1
	v_mul_hi_u32 v30, v68, v67
	v_mul_lo_u32 v30, v30, s16
	v_sub_u32_e32 v30, v68, v30
	v_subrev_u32_e32 v31, s16, v30
	v_cmp_le_u32_e32 vcc, s16, v30
	v_mul_hi_u32 v32, v78, v67
	v_mul_lo_u32 v32, v32, s16
	v_cndmask_b32_e32 v30, v30, v31, vcc
	v_subrev_u32_e32 v31, s16, v30
	v_cmp_le_u32_e32 vcc, s16, v30
	v_sub_u32_e32 v32, v78, v32
	v_subrev_u32_e32 v33, s16, v32
	v_cndmask_b32_e32 v72, v30, v31, vcc
	v_cmp_le_u32_e32 vcc, s16, v32
	v_add_u32_e32 v40, s39, v72
	v_mov_b32_e32 v41, v73
	v_cndmask_b32_e32 v32, v32, v33, vcc
	v_subrev_u32_e32 v33, s16, v32
	v_cmp_le_u32_e32 vcc, s16, v32
	v_lshl_add_u64 v[46:47], v[40:41], 1, s[14:15]
	v_mov_b32_e32 v39, v73
	v_cndmask_b32_e32 v32, v32, v33, vcc
	v_mov_b32_e32 v33, v73
	v_lshl_add_u64 v[34:35], v[32:33], 1, s[14:15]
	v_mul_hi_u32 v33, v76, v67
	v_mul_lo_u32 v33, v33, s16
	v_sub_u32_e32 v33, v76, v33
	v_subrev_u32_e32 v36, s16, v33
	v_cmp_le_u32_e32 vcc, s16, v33
	v_add_u32_e32 v40, s39, v32
	v_lshl_add_u64 v[48:49], v[40:41], 1, s[14:15]
	v_cndmask_b32_e32 v33, v33, v36, vcc
	v_subrev_u32_e32 v36, s16, v33
	v_cmp_le_u32_e32 vcc, s16, v33
	v_lshl_add_u64 v[30:31], v[72:73], 1, s[14:15]
	s_nop 0
	v_cndmask_b32_e32 v38, v33, v36, vcc
	v_add_u32_e32 v40, s39, v38
	v_lshl_add_u64 v[50:51], v[40:41], 1, s[14:15]
	v_add_u32_e32 v40, s40, v72
	v_lshl_add_u64 v[36:37], v[38:39], 1, s[14:15]
	v_lshl_add_u64 v[52:53], v[40:41], 1, s[14:15]
	v_add_u32_e32 v40, s40, v32
	v_lshl_add_u64 v[54:55], v[40:41], 1, s[14:15]
	global_load_ushort v44, v[30:31], off
	global_load_ushort v43, v[34:35], off
	;; [unrolled: 1-line block ×3, first 2 shown]
                                        ; kill: killed $vgpr36_vgpr37
                                        ; kill: killed $vgpr34_vgpr35
	global_load_ushort v41, v[46:47], off
	global_load_ushort v40, v[48:49], off
	;; [unrolled: 1-line block ×3, first 2 shown]
	s_nop 0
	global_load_ushort v37, v[52:53], off
                                        ; kill: killed $vgpr46_vgpr47
                                        ; kill: killed $vgpr48_vgpr49
                                        ; kill: killed $vgpr50_vgpr51
                                        ; kill: killed $vgpr52_vgpr53
	global_load_ushort v36, v[54:55], off
	v_add_u32_e32 v34, s41, v72
	v_add_u32_e32 v72, s42, v72
	;; [unrolled: 1-line block ×3, first 2 shown]
	v_mov_b32_e32 v31, v73
	v_mov_b32_e32 v35, v73
	v_lshl_add_u64 v[50:51], v[72:73], 1, s[14:15]
	v_add_u32_e32 v72, s42, v32
	v_lshl_add_u64 v[30:31], v[30:31], 1, s[14:15]
	v_lshl_add_u64 v[34:35], v[34:35], 1, s[14:15]
	v_add_u32_e32 v46, s41, v32
	v_mov_b32_e32 v47, v73
	v_add_u32_e32 v48, s41, v38
	v_mov_b32_e32 v49, v73
	v_lshl_add_u64 v[52:53], v[72:73], 1, s[14:15]
	v_add_u32_e32 v72, s42, v38
	v_lshl_add_u64 v[46:47], v[46:47], 1, s[14:15]
	v_lshl_add_u64 v[48:49], v[48:49], 1, s[14:15]
	;; [unrolled: 1-line block ×3, first 2 shown]
	global_load_ushort v38, v[30:31], off
	s_nop 0
	global_load_ushort v35, v[34:35], off
	s_nop 0
	global_load_ushort v34, v[46:47], off
	global_load_ushort v33, v[48:49], off
	;; [unrolled: 1-line block ×4, first 2 shown]
                                        ; kill: killed $vgpr50_vgpr51
                                        ; kill: killed $vgpr52_vgpr53
	global_load_ushort v30, v[54:55], off
.LBB150_63:                             ;   in Loop: Header=BB150_13 Depth=1
	v_cmp_ne_u32_e32 vcc, 0, v64
	s_and_saveexec_b64 s[4:5], vcc
	s_cbranch_execnz .LBB150_84
; %bb.64:                               ;   in Loop: Header=BB150_13 Depth=1
	s_or_b64 exec, exec, s[4:5]
	v_cmp_ne_u32_e64 s[4:5], 0, v65
	s_and_saveexec_b64 s[6:7], s[4:5]
	s_cbranch_execnz .LBB150_85
.LBB150_65:                             ;   in Loop: Header=BB150_13 Depth=1
	s_or_b64 exec, exec, s[6:7]
	v_cmp_ne_u32_e64 s[6:7], 0, v66
	s_and_saveexec_b64 s[30:31], s[6:7]
	s_cbranch_execnz .LBB150_86
.LBB150_66:                             ;   in Loop: Header=BB150_13 Depth=1
	s_or_b64 exec, exec, s[30:31]
	v_add_u32_e32 v72, s11, v68
	s_and_saveexec_b64 s[30:31], vcc
	s_cbranch_execnz .LBB150_87
.LBB150_67:                             ;   in Loop: Header=BB150_13 Depth=1
	s_or_b64 exec, exec, s[30:31]
	s_and_saveexec_b64 s[30:31], s[4:5]
	s_cbranch_execnz .LBB150_88
.LBB150_68:                             ;   in Loop: Header=BB150_13 Depth=1
	s_or_b64 exec, exec, s[30:31]
	s_and_saveexec_b64 s[30:31], s[6:7]
	s_cbranch_execnz .LBB150_89
.LBB150_69:                             ;   in Loop: Header=BB150_13 Depth=1
	s_or_b64 exec, exec, s[30:31]
	v_add_u32_e32 v72, s11, v72
	s_and_saveexec_b64 s[30:31], vcc
	s_cbranch_execnz .LBB150_90
.LBB150_70:                             ;   in Loop: Header=BB150_13 Depth=1
	s_or_b64 exec, exec, s[30:31]
	s_and_saveexec_b64 s[30:31], s[4:5]
	s_cbranch_execnz .LBB150_91
.LBB150_71:                             ;   in Loop: Header=BB150_13 Depth=1
	s_or_b64 exec, exec, s[30:31]
	s_and_saveexec_b64 s[30:31], s[6:7]
	s_cbranch_execnz .LBB150_92
.LBB150_72:                             ;   in Loop: Header=BB150_13 Depth=1
	s_or_b64 exec, exec, s[30:31]
	v_add_u32_e32 v72, s11, v72
	s_and_saveexec_b64 s[30:31], vcc
	s_cbranch_execnz .LBB150_93
.LBB150_73:                             ;   in Loop: Header=BB150_13 Depth=1
	s_or_b64 exec, exec, s[30:31]
	s_and_saveexec_b64 s[30:31], s[4:5]
	s_cbranch_execnz .LBB150_94
.LBB150_74:                             ;   in Loop: Header=BB150_13 Depth=1
	s_or_b64 exec, exec, s[30:31]
	s_and_saveexec_b64 s[30:31], s[6:7]
	s_cbranch_execnz .LBB150_95
.LBB150_75:                             ;   in Loop: Header=BB150_13 Depth=1
	s_or_b64 exec, exec, s[30:31]
	v_add_u32_e32 v72, s11, v72
	s_and_saveexec_b64 s[30:31], vcc
	s_cbranch_execnz .LBB150_96
.LBB150_76:                             ;   in Loop: Header=BB150_13 Depth=1
	s_or_b64 exec, exec, s[30:31]
	s_and_saveexec_b64 s[30:31], s[4:5]
	s_cbranch_execnz .LBB150_97
.LBB150_77:                             ;   in Loop: Header=BB150_13 Depth=1
	s_or_b64 exec, exec, s[30:31]
	s_and_b64 exec, exec, s[6:7]
	s_cbranch_execz .LBB150_79
.LBB150_78:                             ;   in Loop: Header=BB150_13 Depth=1
	v_cvt_f32_i32_e32 v0, v21
	s_waitcnt vmcnt(0)
	v_cvt_f32_f16_e32 v1, v30
	v_add_u32_e32 v72, 2, v72
	v_add_f32_e32 v0, v18, v0
	v_add_f32_e32 v0, v0, v1
	v_cvt_f16_f32_e32 v2, v0
	s_waitcnt lgkmcnt(0)
	v_lshl_add_u64 v[0:1], v[72:73], 1, s[20:21]
	global_store_short v[0:1], v2, off
.LBB150_79:                             ;   in Loop: Header=BB150_13 Depth=1
	s_or_b64 exec, exec, s[28:29]
	v_add_u32_e32 v68, s37, v68
	v_add_u32_e32 v0, 3, v68
	v_cmp_gt_u32_e32 vcc, s11, v68
	v_cmp_le_u32_e64 s[4:5], s11, v0
	s_and_b64 s[4:5], vcc, s[4:5]
	s_and_saveexec_b64 s[6:7], s[4:5]
	s_cbranch_execz .LBB150_12
; %bb.80:                               ;   in Loop: Header=BB150_13 Depth=1
	v_cmp_ne_u32_e32 vcc, s38, v68
	s_and_saveexec_b64 s[28:29], vcc
	s_cbranch_execz .LBB150_11
; %bb.81:                               ;   in Loop: Header=BB150_13 Depth=1
	v_subrev_u32_e32 v0, s38, v68
	v_cmp_lt_u32_e32 vcc, 1, v0
	s_mov_b64 s[30:31], 0
	s_mov_b64 s[34:35], 0
	v_cndmask_b32_e32 v0, 1, v0, vcc
.LBB150_82:                             ;   Parent Loop BB150_13 Depth=1
                                        ; =>  This Inner Loop Header: Depth=2
	s_cmp_lg_u32 s34, 2
	s_cselect_b64 vcc, -1, 0
	s_cmp_lg_u32 s34, 1
	v_cndmask_b32_e32 v66, 0, v66, vcc
	s_cselect_b64 vcc, -1, 0
	s_cmp_lg_u32 s34, 0
	v_cndmask_b32_e32 v65, 0, v65, vcc
	s_cselect_b64 vcc, -1, 0
	s_add_u32 s34, s34, 1
	s_addc_u32 s35, s35, 0
	v_cmp_eq_u32_e64 s[4:5], s34, v0
	s_or_b64 s[30:31], s[4:5], s[30:31]
	v_cndmask_b32_e32 v64, 0, v64, vcc
	s_andn2_b64 exec, exec, s[30:31]
	s_cbranch_execnz .LBB150_82
; %bb.83:                               ;   in Loop: Header=BB150_13 Depth=1
	s_or_b64 exec, exec, s[30:31]
	s_branch .LBB150_11
.LBB150_84:                             ;   in Loop: Header=BB150_13 Depth=1
	v_cvt_f32_i32_e32 v6, v6
	s_waitcnt vmcnt(14)
	v_cvt_f32_f16_e32 v44, v44
	v_mov_b32_e32 v69, v73
	v_add_f32_e32 v4, v4, v6
	v_add_f32_e32 v4, v4, v44
	v_cvt_f16_f32_e32 v4, v4
	s_waitcnt lgkmcnt(0)
	v_lshl_add_u64 v[44:45], v[68:69], 1, s[20:21]
	global_store_short v[44:45], v4, off
	s_or_b64 exec, exec, s[4:5]
	v_cmp_ne_u32_e64 s[4:5], 0, v65
	s_and_saveexec_b64 s[6:7], s[4:5]
	s_cbranch_execz .LBB150_65
.LBB150_85:                             ;   in Loop: Header=BB150_13 Depth=1
	v_cvt_f32_i32_e32 v3, v3
	s_waitcnt vmcnt(13)
	v_cvt_f32_f16_e32 v4, v43
	v_mov_b32_e32 v79, v73
	s_waitcnt lgkmcnt(0)
	v_lshl_add_u64 v[44:45], v[78:79], 1, s[20:21]
	v_add_f32_e32 v1, v1, v3
	v_add_f32_e32 v1, v1, v4
	v_cvt_f16_f32_e32 v1, v1
	global_store_short v[44:45], v1, off
	s_or_b64 exec, exec, s[6:7]
	v_cmp_ne_u32_e64 s[6:7], 0, v66
	s_and_saveexec_b64 s[30:31], s[6:7]
	s_cbranch_execz .LBB150_66
.LBB150_86:                             ;   in Loop: Header=BB150_13 Depth=1
	v_cvt_f32_i32_e32 v1, v7
	s_waitcnt vmcnt(12)
	v_cvt_f32_f16_e32 v3, v42
	v_mov_b32_e32 v77, v73
	v_add_f32_e32 v0, v0, v1
	v_add_f32_e32 v0, v0, v3
	v_cvt_f16_f32_e32 v3, v0
	s_waitcnt lgkmcnt(0)
	v_lshl_add_u64 v[0:1], v[76:77], 1, s[20:21]
	global_store_short v[0:1], v3, off
	s_or_b64 exec, exec, s[30:31]
	v_add_u32_e32 v72, s11, v68
	s_and_saveexec_b64 s[30:31], vcc
	s_cbranch_execz .LBB150_67
.LBB150_87:                             ;   in Loop: Header=BB150_13 Depth=1
	v_cvt_f32_i32_e32 v0, v10
	s_waitcnt vmcnt(11)
	v_cvt_f32_f16_e32 v1, v41
	v_add_f32_e32 v0, v2, v0
	v_add_f32_e32 v0, v0, v1
	v_cvt_f16_f32_e32 v2, v0
	s_waitcnt lgkmcnt(0)
	v_lshl_add_u64 v[0:1], v[72:73], 1, s[20:21]
	global_store_short v[0:1], v2, off
	s_or_b64 exec, exec, s[30:31]
	s_and_saveexec_b64 s[30:31], s[4:5]
	s_cbranch_execz .LBB150_68
.LBB150_88:                             ;   in Loop: Header=BB150_13 Depth=1
	v_cvt_f32_i32_e32 v0, v11
	s_waitcnt vmcnt(10)
	v_cvt_f32_f16_e32 v1, v40
	v_add_f32_e32 v0, v5, v0
	v_add_f32_e32 v0, v0, v1
	v_cvt_f16_f32_e32 v2, v0
	v_add_u32_e32 v0, 1, v72
	v_mov_b32_e32 v1, v73
	s_waitcnt lgkmcnt(0)
	v_lshl_add_u64 v[0:1], v[0:1], 1, s[20:21]
	global_store_short v[0:1], v2, off
	s_or_b64 exec, exec, s[30:31]
	s_and_saveexec_b64 s[30:31], s[6:7]
	s_cbranch_execz .LBB150_69
.LBB150_89:                             ;   in Loop: Header=BB150_13 Depth=1
	v_cvt_f32_i32_e32 v0, v12
	s_waitcnt vmcnt(9)
	v_cvt_f32_f16_e32 v1, v39
	v_add_f32_e32 v0, v8, v0
	v_add_f32_e32 v0, v0, v1
	v_cvt_f16_f32_e32 v2, v0
	v_add_u32_e32 v0, 2, v72
	v_mov_b32_e32 v1, v73
	s_waitcnt lgkmcnt(0)
	v_lshl_add_u64 v[0:1], v[0:1], 1, s[20:21]
	global_store_short v[0:1], v2, off
	s_or_b64 exec, exec, s[30:31]
	v_add_u32_e32 v72, s11, v72
	s_and_saveexec_b64 s[30:31], vcc
	s_cbranch_execz .LBB150_70
.LBB150_90:                             ;   in Loop: Header=BB150_13 Depth=1
	v_cvt_f32_i32_e32 v0, v13
	s_waitcnt vmcnt(8)
	v_cvt_f32_f16_e32 v1, v37
	v_add_f32_e32 v0, v9, v0
	v_add_f32_e32 v0, v0, v1
	v_cvt_f16_f32_e32 v2, v0
	s_waitcnt lgkmcnt(0)
	v_lshl_add_u64 v[0:1], v[72:73], 1, s[20:21]
	global_store_short v[0:1], v2, off
	s_or_b64 exec, exec, s[30:31]
	s_and_saveexec_b64 s[30:31], s[4:5]
	s_cbranch_execz .LBB150_71
.LBB150_91:                             ;   in Loop: Header=BB150_13 Depth=1
	v_cvt_f32_i32_e32 v0, v20
	s_waitcnt vmcnt(7)
	v_cvt_f32_f16_e32 v1, v36
	v_add_f32_e32 v0, v14, v0
	v_add_f32_e32 v0, v0, v1
	v_cvt_f16_f32_e32 v2, v0
	v_add_u32_e32 v0, 1, v72
	v_mov_b32_e32 v1, v73
	s_waitcnt lgkmcnt(0)
	v_lshl_add_u64 v[0:1], v[0:1], 1, s[20:21]
	global_store_short v[0:1], v2, off
	s_or_b64 exec, exec, s[30:31]
	s_and_saveexec_b64 s[30:31], s[6:7]
	s_cbranch_execz .LBB150_72
.LBB150_92:                             ;   in Loop: Header=BB150_13 Depth=1
	v_cvt_f32_i32_e32 v0, v22
	s_waitcnt vmcnt(6)
	v_cvt_f32_f16_e32 v1, v38
	v_add_f32_e32 v0, v15, v0
	v_add_f32_e32 v0, v0, v1
	v_cvt_f16_f32_e32 v2, v0
	v_add_u32_e32 v0, 2, v72
	v_mov_b32_e32 v1, v73
	s_waitcnt lgkmcnt(0)
	v_lshl_add_u64 v[0:1], v[0:1], 1, s[20:21]
	global_store_short v[0:1], v2, off
	s_or_b64 exec, exec, s[30:31]
	v_add_u32_e32 v72, s11, v72
	s_and_saveexec_b64 s[30:31], vcc
	s_cbranch_execz .LBB150_73
.LBB150_93:                             ;   in Loop: Header=BB150_13 Depth=1
	v_cvt_f32_i32_e32 v0, v24
	s_waitcnt vmcnt(5)
	v_cvt_f32_f16_e32 v1, v35
	v_add_f32_e32 v0, v16, v0
	v_add_f32_e32 v0, v0, v1
	v_cvt_f16_f32_e32 v2, v0
	s_waitcnt lgkmcnt(0)
	v_lshl_add_u64 v[0:1], v[72:73], 1, s[20:21]
	global_store_short v[0:1], v2, off
	s_or_b64 exec, exec, s[30:31]
	s_and_saveexec_b64 s[30:31], s[4:5]
	s_cbranch_execz .LBB150_74
.LBB150_94:                             ;   in Loop: Header=BB150_13 Depth=1
	v_cvt_f32_i32_e32 v0, v19
	s_waitcnt vmcnt(4)
	v_cvt_f32_f16_e32 v1, v34
	v_add_f32_e32 v0, v17, v0
	v_add_f32_e32 v0, v0, v1
	v_cvt_f16_f32_e32 v2, v0
	v_add_u32_e32 v0, 1, v72
	v_mov_b32_e32 v1, v73
	s_waitcnt lgkmcnt(0)
	v_lshl_add_u64 v[0:1], v[0:1], 1, s[20:21]
	global_store_short v[0:1], v2, off
	s_or_b64 exec, exec, s[30:31]
	s_and_saveexec_b64 s[30:31], s[6:7]
	s_cbranch_execz .LBB150_75
.LBB150_95:                             ;   in Loop: Header=BB150_13 Depth=1
	v_cvt_f32_i32_e32 v0, v29
	s_waitcnt vmcnt(3)
	v_cvt_f32_f16_e32 v1, v33
	v_add_f32_e32 v0, v27, v0
	v_add_f32_e32 v0, v0, v1
	v_cvt_f16_f32_e32 v2, v0
	v_add_u32_e32 v0, 2, v72
	v_mov_b32_e32 v1, v73
	s_waitcnt lgkmcnt(0)
	v_lshl_add_u64 v[0:1], v[0:1], 1, s[20:21]
	global_store_short v[0:1], v2, off
	s_or_b64 exec, exec, s[30:31]
	v_add_u32_e32 v72, s11, v72
	s_and_saveexec_b64 s[30:31], vcc
	s_cbranch_execz .LBB150_76
.LBB150_96:                             ;   in Loop: Header=BB150_13 Depth=1
	v_cvt_f32_i32_e32 v0, v28
	s_waitcnt vmcnt(2)
	v_cvt_f32_f16_e32 v1, v32
	v_add_f32_e32 v0, v26, v0
	v_add_f32_e32 v0, v0, v1
	v_cvt_f16_f32_e32 v2, v0
	s_waitcnt lgkmcnt(0)
	v_lshl_add_u64 v[0:1], v[72:73], 1, s[20:21]
	global_store_short v[0:1], v2, off
	s_or_b64 exec, exec, s[30:31]
	s_and_saveexec_b64 s[30:31], s[4:5]
	s_cbranch_execz .LBB150_77
.LBB150_97:                             ;   in Loop: Header=BB150_13 Depth=1
	v_cvt_f32_i32_e32 v0, v25
	s_waitcnt vmcnt(1)
	v_cvt_f32_f16_e32 v1, v31
	v_add_f32_e32 v0, v23, v0
	v_add_f32_e32 v0, v0, v1
	v_cvt_f16_f32_e32 v2, v0
	v_add_u32_e32 v0, 1, v72
	v_mov_b32_e32 v1, v73
	s_waitcnt lgkmcnt(0)
	v_lshl_add_u64 v[0:1], v[0:1], 1, s[20:21]
	global_store_short v[0:1], v2, off
	s_or_b64 exec, exec, s[30:31]
	s_and_b64 exec, exec, s[6:7]
	s_cbranch_execnz .LBB150_78
	s_branch .LBB150_79
.LBB150_98:
	s_endpgm
	.section	.rodata,"a",@progbits
	.p2align	6, 0x0
	.amdhsa_kernel _Z12wvSplitK_hf_I6__halfLi64ELi3ELi16ELi8ELi2ELi5EEviiiiiiPKT_S3_S3_PS1_ii
		.amdhsa_group_segment_fixed_size 65536
		.amdhsa_private_segment_fixed_size 0
		.amdhsa_kernarg_size 64
		.amdhsa_user_sgpr_count 2
		.amdhsa_user_sgpr_dispatch_ptr 0
		.amdhsa_user_sgpr_queue_ptr 0
		.amdhsa_user_sgpr_kernarg_segment_ptr 1
		.amdhsa_user_sgpr_dispatch_id 0
		.amdhsa_user_sgpr_kernarg_preload_length 0
		.amdhsa_user_sgpr_kernarg_preload_offset 0
		.amdhsa_user_sgpr_private_segment_size 0
		.amdhsa_uses_dynamic_stack 0
		.amdhsa_enable_private_segment 0
		.amdhsa_system_sgpr_workgroup_id_x 1
		.amdhsa_system_sgpr_workgroup_id_y 0
		.amdhsa_system_sgpr_workgroup_id_z 0
		.amdhsa_system_sgpr_workgroup_info 0
		.amdhsa_system_vgpr_workitem_id 1
		.amdhsa_next_free_vgpr 109
		.amdhsa_next_free_sgpr 46
		.amdhsa_accum_offset 112
		.amdhsa_reserve_vcc 1
		.amdhsa_float_round_mode_32 0
		.amdhsa_float_round_mode_16_64 0
		.amdhsa_float_denorm_mode_32 3
		.amdhsa_float_denorm_mode_16_64 3
		.amdhsa_dx10_clamp 1
		.amdhsa_ieee_mode 1
		.amdhsa_fp16_overflow 0
		.amdhsa_tg_split 0
		.amdhsa_exception_fp_ieee_invalid_op 0
		.amdhsa_exception_fp_denorm_src 0
		.amdhsa_exception_fp_ieee_div_zero 0
		.amdhsa_exception_fp_ieee_overflow 0
		.amdhsa_exception_fp_ieee_underflow 0
		.amdhsa_exception_fp_ieee_inexact 0
		.amdhsa_exception_int_div_zero 0
	.end_amdhsa_kernel
	.section	.text._Z12wvSplitK_hf_I6__halfLi64ELi3ELi16ELi8ELi2ELi5EEviiiiiiPKT_S3_S3_PS1_ii,"axG",@progbits,_Z12wvSplitK_hf_I6__halfLi64ELi3ELi16ELi8ELi2ELi5EEviiiiiiPKT_S3_S3_PS1_ii,comdat
.Lfunc_end150:
	.size	_Z12wvSplitK_hf_I6__halfLi64ELi3ELi16ELi8ELi2ELi5EEviiiiiiPKT_S3_S3_PS1_ii, .Lfunc_end150-_Z12wvSplitK_hf_I6__halfLi64ELi3ELi16ELi8ELi2ELi5EEviiiiiiPKT_S3_S3_PS1_ii
                                        ; -- End function
	.section	.AMDGPU.csdata,"",@progbits
; Kernel info:
; codeLenInByte = 6296
; NumSgprs: 52
; NumVgprs: 109
; NumAgprs: 0
; TotalNumVgprs: 109
; ScratchSize: 0
; MemoryBound: 1
; FloatMode: 240
; IeeeMode: 1
; LDSByteSize: 65536 bytes/workgroup (compile time only)
; SGPRBlocks: 6
; VGPRBlocks: 13
; NumSGPRsForWavesPerEU: 52
; NumVGPRsForWavesPerEU: 109
; AccumOffset: 112
; Occupancy: 4
; WaveLimiterHint : 0
; COMPUTE_PGM_RSRC2:SCRATCH_EN: 0
; COMPUTE_PGM_RSRC2:USER_SGPR: 2
; COMPUTE_PGM_RSRC2:TRAP_HANDLER: 0
; COMPUTE_PGM_RSRC2:TGID_X_EN: 1
; COMPUTE_PGM_RSRC2:TGID_Y_EN: 0
; COMPUTE_PGM_RSRC2:TGID_Z_EN: 0
; COMPUTE_PGM_RSRC2:TIDIG_COMP_CNT: 1
; COMPUTE_PGM_RSRC3_GFX90A:ACCUM_OFFSET: 27
; COMPUTE_PGM_RSRC3_GFX90A:TG_SPLIT: 0
	.section	.text._Z16wvSplitK_hf_big_I6__halfLi64ELi3ELi16ELi8ELi2ELi5EEviiiiiiPKT_S3_S3_PS1_ii,"axG",@progbits,_Z16wvSplitK_hf_big_I6__halfLi64ELi3ELi16ELi8ELi2ELi5EEviiiiiiPKT_S3_S3_PS1_ii,comdat
	.protected	_Z16wvSplitK_hf_big_I6__halfLi64ELi3ELi16ELi8ELi2ELi5EEviiiiiiPKT_S3_S3_PS1_ii ; -- Begin function _Z16wvSplitK_hf_big_I6__halfLi64ELi3ELi16ELi8ELi2ELi5EEviiiiiiPKT_S3_S3_PS1_ii
	.globl	_Z16wvSplitK_hf_big_I6__halfLi64ELi3ELi16ELi8ELi2ELi5EEviiiiiiPKT_S3_S3_PS1_ii
	.p2align	8
	.type	_Z16wvSplitK_hf_big_I6__halfLi64ELi3ELi16ELi8ELi2ELi5EEviiiiiiPKT_S3_S3_PS1_ii,@function
_Z16wvSplitK_hf_big_I6__halfLi64ELi3ELi16ELi8ELi2ELi5EEviiiiiiPKT_S3_S3_PS1_ii: ; @_Z16wvSplitK_hf_big_I6__halfLi64ELi3ELi16ELi8ELi2ELi5EEviiiiiiPKT_S3_S3_PS1_ii
; %bb.0:
	s_load_dwordx2 s[8:9], s[0:1], 0x38
	v_bfe_u32 v1, v0, 10, 10
	s_waitcnt lgkmcnt(0)
	v_cmp_gt_u32_e32 vcc, s8, v1
	s_and_saveexec_b64 s[4:5], vcc
	s_cbranch_execz .LBB151_70
; %bb.1:
	s_load_dwordx4 s[20:23], s[0:1], 0x0
	s_mul_i32 s2, s2, s8
	v_add_u32_e32 v2, s2, v1
	v_lshl_add_u32 v68, v2, 1, v2
	s_mov_b32 s4, 1
	v_add_u32_e32 v2, 3, v68
	s_mov_b32 s6, s4
	s_waitcnt lgkmcnt(0)
	v_cmp_gt_u32_e32 vcc, s23, v68
	v_cmp_le_u32_e64 s[2:3], s23, v2
	s_mov_b32 s5, s4
	v_mov_b32_e32 v66, s6
	s_and_b64 s[10:11], vcc, s[2:3]
	v_mov_b32_e32 v65, s5
	v_mov_b32_e32 v64, s4
	s_and_saveexec_b64 s[2:3], s[10:11]
	s_cbranch_execz .LBB151_7
; %bb.2:
	s_add_i32 s7, s23, -3
	v_mov_b32_e32 v66, s6
	v_cmp_ne_u32_e32 vcc, s7, v68
	v_mov_b32_e32 v65, s5
	v_mov_b32_e32 v64, s4
	s_and_saveexec_b64 s[10:11], vcc
	s_cbranch_execz .LBB151_6
; %bb.3:
	v_subrev_u32_e32 v2, s7, v68
	v_cmp_lt_u32_e32 vcc, 1, v2
	s_mov_b64 s[12:13], 0
	s_mov_b64 s[14:15], 0
	v_cndmask_b32_e32 v2, 1, v2, vcc
	s_mov_b32 s5, s4
	s_mov_b32 s6, s4
.LBB151_4:                              ; =>This Inner Loop Header: Depth=1
	s_cmp_lg_u32 s14, 2
	s_cselect_b32 s6, s6, 0
	s_cmp_lg_u32 s14, 1
	s_cselect_b32 s5, s5, 0
	;; [unrolled: 2-line block ×3, first 2 shown]
	s_add_u32 s14, s14, 1
	s_addc_u32 s15, s15, 0
	v_cmp_eq_u32_e32 vcc, s14, v2
	v_mov_b32_e32 v66, s6
	s_or_b64 s[12:13], vcc, s[12:13]
	v_mov_b32_e32 v65, s5
	v_mov_b32_e32 v64, s4
	s_andn2_b64 exec, exec, s[12:13]
	s_cbranch_execnz .LBB151_4
; %bb.5:
	s_or_b64 exec, exec, s[12:13]
	v_mov_b32_e32 v68, s7
.LBB151_6:
	s_or_b64 exec, exec, s[10:11]
.LBB151_7:
	s_or_b64 exec, exec, s[2:3]
	s_mul_i32 s44, s8, 3
	s_abs_i32 s2, s44
	v_cvt_f32_u32_e32 v2, s2
	s_sub_i32 s5, 0, s2
	s_abs_i32 s4, s23
	s_ashr_i32 s3, s23, 31
	v_rcp_iflag_f32_e32 v2, v2
	s_nop 0
	v_mul_f32_e32 v2, 0x4f7ffffe, v2
	v_cvt_u32_f32_e32 v2, v2
	s_nop 0
	v_readfirstlane_b32 s6, v2
	s_mul_i32 s5, s5, s6
	s_mul_hi_u32 s5, s6, s5
	s_add_i32 s6, s6, s5
	s_mul_hi_u32 s5, s4, s6
	s_mul_i32 s5, s5, s2
	s_sub_i32 s4, s4, s5
	s_sub_i32 s5, s4, s2
	s_cmp_ge_u32 s4, s2
	s_cselect_b32 s4, s5, s4
	s_sub_i32 s5, s4, s2
	s_cmp_ge_u32 s4, s2
	s_cselect_b32 s2, s5, s4
	s_xor_b32 s2, s2, s3
	s_sub_i32 s2, s2, s3
	s_add_i32 s3, s44, s23
	s_sub_i32 s3, s3, s2
	s_cmp_eq_u32 s2, 0
	s_cselect_b32 s33, s23, s3
	v_cmp_gt_u32_e32 vcc, s33, v68
	s_and_b64 exec, exec, vcc
	s_cbranch_execz .LBB151_70
; %bb.8:
	s_load_dwordx8 s[12:19], s[0:1], 0x10
	s_min_u32 s40, s22, 0x1800
	s_cmp_lg_u32 s20, 0
	s_cselect_b64 s[2:3], -1, 0
	s_cmp_lg_u32 s22, 0
	s_cselect_b64 s[4:5], -1, 0
	s_lshl_b32 s41, s8, 9
	s_add_i32 s42, s20, -8
	s_add_i32 s43, s23, -1
	s_waitcnt lgkmcnt(0)
	s_cmp_lg_u64 s[18:19], 0
	s_cselect_b64 s[26:27], -1, 0
	s_abs_i32 s6, s13
	v_cvt_f32_u32_e32 v2, s12
	v_cvt_f32_u32_e32 v3, s6
	s_sub_i32 s7, 0, s12
	s_mul_i32 s44, s44, s9
	v_rcp_iflag_f32_e32 v2, v2
	v_rcp_iflag_f32_e32 v3, v3
	s_add_i32 s13, s23, -3
	s_load_dwordx2 s[10:11], s[0:1], 0x30
	v_mul_f32_e32 v2, 0x4f7ffffe, v2
	v_mul_f32_e32 v3, 0x4f7ffffe, v3
	v_cvt_u32_f32_e32 v2, v2
	v_cvt_u32_f32_e32 v3, v3
	v_and_b32_e32 v0, 0x3ff, v0
	v_lshlrev_b32_e32 v67, 3, v0
	v_mul_lo_u32 v4, s7, v2
	s_sub_i32 s7, 0, s6
	v_readfirstlane_b32 s9, v3
	s_mul_i32 s7, s7, s9
	s_mul_hi_u32 s7, s9, s7
	s_add_i32 s9, s9, s7
	s_sub_i32 s7, 1, s6
	s_cmp_lt_u32 s6, 2
	s_cselect_b32 s7, s7, 1
	s_sub_i32 s28, s7, s6
	s_cmp_ge_u32 s7, s6
	s_cselect_b32 s45, s28, s7
	s_lshr_b32 s7, s9, 31
	s_mul_i32 s7, s7, s6
	s_sub_i32 s7, 2, s7
	s_sub_i32 s28, s7, s6
	s_cmp_ge_u32 s7, s6
	s_cselect_b32 s7, s28, s7
	s_sub_i32 s28, s7, s6
	s_cmp_ge_u32 s7, s6
	s_cselect_b32 s46, s28, s7
	s_mul_hi_u32 s7, s9, 3
	s_mul_i32 s7, s7, s6
	s_sub_i32 s7, 3, s7
	s_sub_i32 s28, s7, s6
	s_cmp_ge_u32 s7, s6
	s_cselect_b32 s7, s28, s7
	s_sub_i32 s28, s7, s6
	s_cmp_ge_u32 s7, s6
	s_cselect_b32 s47, s28, s7
	s_lshr_b32 s7, s9, 30
	s_mul_i32 s7, s7, s6
	s_sub_i32 s7, 4, s7
	s_sub_i32 s9, s7, s6
	s_cmp_ge_u32 s7, s6
	s_cselect_b32 s7, s9, s7
	v_cmp_eq_u32_e64 s[0:1], 63, v0
	v_mul_hi_u32 v4, v2, v4
	s_sub_i32 s9, s7, s6
	v_lshlrev_b32_e32 v0, 4, v0
	v_add_u32_e32 v73, v2, v4
	s_cmp_ge_u32 s7, s6
	v_lshl_add_u32 v82, v1, 10, v0
	v_lshl_add_u32 v72, v1, 9, v67
	v_cndmask_b32_e64 v0, 0, 1, s[2:3]
	s_cselect_b32 s48, s9, s7
	s_waitcnt lgkmcnt(0)
	s_add_u32 s28, s10, 2
	v_mad_u64_u32 v[74:75], s[6:7], s22, 3, v[72:73]
	v_cmp_ne_u32_e64 s[2:3], 1, v0
	v_cndmask_b32_e64 v0, 0, 1, s[4:5]
	s_mov_b64 s[24:25], 0
	v_mov_b32_e32 v71, 0
	s_mul_i32 s45, s45, s12
	s_mul_i32 s46, s46, s12
	;; [unrolled: 1-line block ×4, first 2 shown]
	s_addc_u32 s29, s11, 0
	s_lshl_b32 s49, s40, 3
	s_lshl_b32 s50, s8, 10
	s_mul_i32 s51, s40, 6
	s_lshl_b32 s52, s40, 2
	s_lshl_b32 s53, s40, 1
	v_lshl_add_u32 v83, s22, 1, v72
	v_lshl_add_u32 v75, s22, 2, v72
	v_add_u32_e32 v84, s22, v72
	v_cmp_ne_u32_e64 s[4:5], 1, v0
	s_branch .LBB151_12
.LBB151_9:                              ;   in Loop: Header=BB151_12 Depth=1
	s_or_b64 exec, exec, s[34:35]
	v_mov_b32_e32 v68, s13
.LBB151_10:                             ;   in Loop: Header=BB151_12 Depth=1
	s_or_b64 exec, exec, s[8:9]
.LBB151_11:                             ;   in Loop: Header=BB151_12 Depth=1
	s_or_b64 exec, exec, s[30:31]
	v_cmp_le_u32_e32 vcc, s33, v68
	s_or_b64 s[24:25], vcc, s[24:25]
	s_andn2_b64 exec, exec, s[24:25]
	s_cbranch_execz .LBB151_70
.LBB151_12:                             ; =>This Loop Header: Depth=1
                                        ;     Child Loop BB151_17 Depth 2
                                        ;       Child Loop BB151_22 Depth 3
                                        ;     Child Loop BB151_54 Depth 2
	s_mov_b32 s36, 0
	s_and_b64 vcc, exec, s[2:3]
	v_mov_b32_e32 v98, v71
	v_mov_b32_e32 v97, v71
	;; [unrolled: 1-line block ×15, first 2 shown]
	s_cbranch_vccnz .LBB151_29
; %bb.13:                               ;   in Loop: Header=BB151_12 Depth=1
	v_min_u32_e32 v0, s43, v68
	v_mul_lo_u32 v70, v0, s21
	v_add_u32_e32 v0, 1, v68
	v_add_u32_e32 v2, 2, v68
	v_min_u32_e32 v0, s43, v0
	v_min_u32_e32 v2, s43, v2
	v_mul_lo_u32 v0, v0, s21
	v_mov_b32_e32 v1, v71
	v_mul_lo_u32 v2, v2, s21
	v_mov_b32_e32 v3, v71
	v_cmp_gt_u32_e64 s[6:7], s23, v68
	v_mov_b32_e32 v92, 0
	v_lshlrev_b64 v[76:77], 1, v[70:71]
	v_lshlrev_b64 v[78:79], 1, v[0:1]
	;; [unrolled: 1-line block ×3, first 2 shown]
	v_mov_b32_e32 v91, 0
	v_mov_b32_e32 v90, 0
	;; [unrolled: 1-line block ×14, first 2 shown]
	s_mov_b32 s37, 0
	s_branch .LBB151_17
.LBB151_14:                             ;   in Loop: Header=BB151_17 Depth=2
	s_or_b64 exec, exec, s[34:35]
.LBB151_15:                             ;   in Loop: Header=BB151_17 Depth=2
	s_or_b64 exec, exec, s[30:31]
	s_waitcnt vmcnt(5) lgkmcnt(4)
	;;#ASMSTART
	v_dot2c_f32_f16 v98, v60, v36
	;;#ASMEND
	s_waitcnt vmcnt(4)
	;;#ASMSTART
	v_dot2c_f32_f16 v97, v60, v32
	;;#ASMEND
	s_waitcnt vmcnt(3)
	;;#ASMSTART
	v_dot2c_f32_f16 v96, v60, v28
	;;#ASMEND
	s_waitcnt lgkmcnt(3)
	;;#ASMSTART
	v_dot2c_f32_f16 v95, v56, v36
	;;#ASMEND
	;;#ASMSTART
	v_dot2c_f32_f16 v94, v56, v32
	;;#ASMEND
	;;#ASMSTART
	v_dot2c_f32_f16 v93, v56, v28
	;;#ASMEND
	s_waitcnt lgkmcnt(2)
	;;#ASMSTART
	v_dot2c_f32_f16 v92, v52, v36
	;;#ASMEND
	;;#ASMSTART
	v_dot2c_f32_f16 v91, v52, v32
	;;#ASMEND
	;; [unrolled: 10-line block ×4, first 2 shown]
	;;#ASMSTART
	v_dot2c_f32_f16 v69, v44, v28
	;;#ASMEND
	;;#ASMSTART
	v_dot2c_f32_f16 v98, v61, v37
	;;#ASMEND
	;;#ASMSTART
	v_dot2c_f32_f16 v97, v61, v33
	;;#ASMEND
	;;#ASMSTART
	v_dot2c_f32_f16 v96, v61, v29
	;;#ASMEND
	;;#ASMSTART
	v_dot2c_f32_f16 v95, v57, v37
	;;#ASMEND
	;;#ASMSTART
	v_dot2c_f32_f16 v94, v57, v33
	;;#ASMEND
	;;#ASMSTART
	v_dot2c_f32_f16 v93, v57, v29
	;;#ASMEND
	;;#ASMSTART
	v_dot2c_f32_f16 v92, v53, v37
	;;#ASMEND
	;;#ASMSTART
	v_dot2c_f32_f16 v91, v53, v33
	;;#ASMEND
	;;#ASMSTART
	v_dot2c_f32_f16 v90, v53, v29
	;;#ASMEND
	;;#ASMSTART
	v_dot2c_f32_f16 v89, v49, v37
	;;#ASMEND
	;;#ASMSTART
	v_dot2c_f32_f16 v88, v49, v33
	;;#ASMEND
	;;#ASMSTART
	v_dot2c_f32_f16 v87, v49, v29
	;;#ASMEND
	s_nop 0
	;;#ASMSTART
	v_dot2c_f32_f16 v86, v45, v37
	;;#ASMEND
	;;#ASMSTART
	v_dot2c_f32_f16 v85, v45, v33
	;;#ASMEND
	;;#ASMSTART
	v_dot2c_f32_f16 v69, v45, v29
	;;#ASMEND
	;;#ASMSTART
	v_dot2c_f32_f16 v98, v62, v38
	;;#ASMEND
	;;#ASMSTART
	v_dot2c_f32_f16 v97, v62, v34
	;;#ASMEND
	;;#ASMSTART
	v_dot2c_f32_f16 v96, v62, v30
	;;#ASMEND
	;;#ASMSTART
	v_dot2c_f32_f16 v95, v58, v38
	;;#ASMEND
	;;#ASMSTART
	v_dot2c_f32_f16 v94, v58, v34
	;;#ASMEND
	;;#ASMSTART
	v_dot2c_f32_f16 v93, v58, v30
	;;#ASMEND
	;;#ASMSTART
	v_dot2c_f32_f16 v92, v54, v38
	;;#ASMEND
	;;#ASMSTART
	v_dot2c_f32_f16 v91, v54, v34
	;;#ASMEND
	;;#ASMSTART
	v_dot2c_f32_f16 v90, v54, v30
	;;#ASMEND
	;;#ASMSTART
	v_dot2c_f32_f16 v89, v50, v38
	;;#ASMEND
	;;#ASMSTART
	v_dot2c_f32_f16 v88, v50, v34
	;;#ASMEND
	;;#ASMSTART
	v_dot2c_f32_f16 v87, v50, v30
	;;#ASMEND
	s_nop 0
	;;#ASMSTART
	v_dot2c_f32_f16 v86, v46, v38
	;;#ASMEND
	;;#ASMSTART
	v_dot2c_f32_f16 v85, v46, v34
	;;#ASMEND
	;; [unrolled: 46-line block ×3, first 2 shown]
	;;#ASMSTART
	v_dot2c_f32_f16 v69, v47, v31
	;;#ASMEND
	s_waitcnt vmcnt(2)
	;;#ASMSTART
	v_dot2c_f32_f16 v98, v40, v8
	;;#ASMEND
	s_waitcnt vmcnt(1)
	;; [unrolled: 4-line block ×3, first 2 shown]
	;;#ASMSTART
	v_dot2c_f32_f16 v96, v40, v0
	;;#ASMEND
	;;#ASMSTART
	v_dot2c_f32_f16 v95, v24, v8
	;;#ASMEND
	;;#ASMSTART
	v_dot2c_f32_f16 v94, v24, v4
	;;#ASMEND
	;;#ASMSTART
	v_dot2c_f32_f16 v93, v24, v0
	;;#ASMEND
	;;#ASMSTART
	v_dot2c_f32_f16 v92, v20, v8
	;;#ASMEND
	;;#ASMSTART
	v_dot2c_f32_f16 v91, v20, v4
	;;#ASMEND
	;;#ASMSTART
	v_dot2c_f32_f16 v90, v20, v0
	;;#ASMEND
	;;#ASMSTART
	v_dot2c_f32_f16 v89, v16, v8
	;;#ASMEND
	;;#ASMSTART
	v_dot2c_f32_f16 v88, v16, v4
	;;#ASMEND
	;;#ASMSTART
	v_dot2c_f32_f16 v87, v16, v0
	;;#ASMEND
	;;#ASMSTART
	v_dot2c_f32_f16 v86, v12, v8
	;;#ASMEND
	;;#ASMSTART
	v_dot2c_f32_f16 v85, v12, v4
	;;#ASMEND
	;;#ASMSTART
	v_dot2c_f32_f16 v69, v12, v0
	;;#ASMEND
	;;#ASMSTART
	v_dot2c_f32_f16 v98, v41, v9
	;;#ASMEND
	;;#ASMSTART
	v_dot2c_f32_f16 v97, v41, v5
	;;#ASMEND
	s_nop 0
	;;#ASMSTART
	v_dot2c_f32_f16 v96, v41, v1
	;;#ASMEND
	;;#ASMSTART
	v_dot2c_f32_f16 v95, v25, v9
	;;#ASMEND
	;;#ASMSTART
	v_dot2c_f32_f16 v94, v25, v5
	;;#ASMEND
	;;#ASMSTART
	v_dot2c_f32_f16 v93, v25, v1
	;;#ASMEND
	;;#ASMSTART
	v_dot2c_f32_f16 v92, v21, v9
	;;#ASMEND
	;;#ASMSTART
	v_dot2c_f32_f16 v91, v21, v5
	;;#ASMEND
	;;#ASMSTART
	v_dot2c_f32_f16 v90, v21, v1
	;;#ASMEND
	;;#ASMSTART
	v_dot2c_f32_f16 v89, v17, v9
	;;#ASMEND
	;;#ASMSTART
	v_dot2c_f32_f16 v88, v17, v5
	;;#ASMEND
	;;#ASMSTART
	v_dot2c_f32_f16 v87, v17, v1
	;;#ASMEND
	;;#ASMSTART
	v_dot2c_f32_f16 v86, v13, v9
	;;#ASMEND
	;;#ASMSTART
	v_dot2c_f32_f16 v85, v13, v5
	;;#ASMEND
	;;#ASMSTART
	v_dot2c_f32_f16 v69, v13, v1
	;;#ASMEND
	;;#ASMSTART
	v_dot2c_f32_f16 v98, v42, v10
	;;#ASMEND
	;;#ASMSTART
	v_dot2c_f32_f16 v97, v42, v6
	;;#ASMEND
	s_nop 0
	;; [unrolled: 46-line block ×3, first 2 shown]
	;;#ASMSTART
	v_dot2c_f32_f16 v96, v43, v3
	;;#ASMEND
	;;#ASMSTART
	v_dot2c_f32_f16 v95, v27, v11
	;;#ASMEND
	;;#ASMSTART
	v_dot2c_f32_f16 v94, v27, v7
	;;#ASMEND
	;;#ASMSTART
	v_dot2c_f32_f16 v93, v27, v3
	;;#ASMEND
	;;#ASMSTART
	v_dot2c_f32_f16 v92, v23, v11
	;;#ASMEND
	;;#ASMSTART
	v_dot2c_f32_f16 v91, v23, v7
	;;#ASMEND
	;;#ASMSTART
	v_dot2c_f32_f16 v90, v23, v3
	;;#ASMEND
	;;#ASMSTART
	v_dot2c_f32_f16 v89, v19, v11
	;;#ASMEND
	;;#ASMSTART
	v_dot2c_f32_f16 v88, v19, v7
	;;#ASMEND
	;;#ASMSTART
	v_dot2c_f32_f16 v87, v19, v3
	;;#ASMEND
	;;#ASMSTART
	v_dot2c_f32_f16 v86, v15, v11
	;;#ASMEND
	;;#ASMSTART
	v_dot2c_f32_f16 v85, v15, v7
	;;#ASMEND
	;;#ASMSTART
	v_dot2c_f32_f16 v69, v15, v3
	;;#ASMEND
.LBB151_16:                             ;   in Loop: Header=BB151_17 Depth=2
	s_or_b64 exec, exec, s[8:9]
	s_addk_i32 s37, 0x400
	s_cmp_ge_u32 s37, s20
	s_cbranch_scc1 .LBB151_29
.LBB151_17:                             ;   Parent Loop BB151_12 Depth=1
                                        ; =>  This Loop Header: Depth=2
                                        ;       Child Loop BB151_22 Depth 3
	s_cmp_eq_u32 s37, 0
	s_cselect_b64 s[8:9], -1, 0
	s_add_i32 s30, s36, s40
	s_cmp_eq_u32 s37, s30
	s_cselect_b64 s[34:35], -1, 0
	s_or_b64 s[34:35], s[8:9], s[34:35]
	s_andn2_b64 vcc, exec, s[34:35]
	s_cbranch_vccz .LBB151_19
; %bb.18:                               ;   in Loop: Header=BB151_17 Depth=2
	s_and_saveexec_b64 s[8:9], s[6:7]
	s_cbranch_execz .LBB151_16
	s_branch .LBB151_26
.LBB151_19:                             ;   in Loop: Header=BB151_17 Depth=2
	s_and_b64 s[8:9], s[8:9], exec
	s_cselect_b32 s36, s36, s30
	s_and_b64 vcc, exec, s[4:5]
	s_barrier
	s_cbranch_vccnz .LBB151_25
; %bb.20:                               ;   in Loop: Header=BB151_17 Depth=2
	v_add_u32_e32 v0, s36, v83
	v_add_u32_e32 v1, s36, v74
	;; [unrolled: 1-line block ×5, first 2 shown]
	s_mov_b32 s38, 0
	s_mov_b64 s[30:31], 0
	v_mov_b32_e32 v5, v82
                                        ; implicit-def: $sgpr34_sgpr35
	s_branch .LBB151_22
.LBB151_21:                             ;   in Loop: Header=BB151_22 Depth=3
	s_or_b64 exec, exec, s[8:9]
	s_and_b64 s[8:9], exec, s[34:35]
	s_or_b64 s[30:31], s[8:9], s[30:31]
	s_andn2_b64 exec, exec, s[30:31]
	s_cbranch_execz .LBB151_24
.LBB151_22:                             ;   Parent Loop BB151_12 Depth=1
                                        ;     Parent Loop BB151_17 Depth=2
                                        ; =>    This Inner Loop Header: Depth=3
	v_add_u32_e32 v6, s38, v72
	v_add_u32_e32 v70, s38, v4
	v_cmp_gt_u32_e32 vcc, s22, v70
	v_cmp_gt_u32_e64 s[8:9], s40, v6
	s_and_b64 s[54:55], s[8:9], vcc
	s_or_b64 s[34:35], s[34:35], exec
	s_and_saveexec_b64 s[8:9], s[54:55]
	s_cbranch_execz .LBB151_21
; %bb.23:                               ;   in Loop: Header=BB151_22 Depth=3
	v_lshl_add_u64 v[6:7], v[70:71], 1, s[16:17]
	v_add_u32_e32 v70, s38, v3
	v_lshl_add_u64 v[10:11], v[70:71], 1, s[16:17]
	v_add_u32_e32 v70, s38, v0
	;; [unrolled: 2-line block ×3, first 2 shown]
	v_lshl_add_u64 v[18:19], v[70:71], 1, s[16:17]
	global_load_dwordx4 v[6:9], v[6:7], off
	s_nop 0
	global_load_dwordx4 v[10:13], v[10:11], off
	s_nop 0
	global_load_dwordx4 v[14:17], v[14:15], off
	s_nop 0
	global_load_dwordx4 v[18:21], v[18:19], off
	v_add_u32_e32 v70, s38, v2
	v_lshl_add_u64 v[22:23], v[70:71], 1, s[16:17]
	global_load_dwordx4 v[22:25], v[22:23], off
	s_add_i32 s38, s38, s41
	s_cmp_ge_u32 s38, s40
	s_cselect_b64 s[54:55], -1, 0
	s_andn2_b64 s[34:35], s[34:35], exec
	s_and_b64 s[54:55], s[54:55], exec
	v_add_u32_e32 v26, s53, v5
	v_add_u32_e32 v27, s52, v5
	;; [unrolled: 1-line block ×4, first 2 shown]
	s_or_b64 s[34:35], s[34:35], s[54:55]
	s_waitcnt vmcnt(4)
	ds_write_b128 v5, v[6:9]
	v_add_u32_e32 v5, s50, v5
	s_waitcnt vmcnt(3)
	ds_write2_b64 v26, v[10:11], v[12:13] offset1:1
	s_waitcnt vmcnt(2)
	ds_write2_b32 v27, v14, v15 offset1:1
	ds_write2_b32 v27, v16, v17 offset0:2 offset1:3
	s_waitcnt vmcnt(1)
	ds_write2_b64 v28, v[18:19], v[20:21] offset1:1
	s_waitcnt vmcnt(0)
	ds_write2_b64 v29, v[22:23], v[24:25] offset1:1
	s_branch .LBB151_21
.LBB151_24:                             ;   in Loop: Header=BB151_17 Depth=2
	s_or_b64 exec, exec, s[30:31]
.LBB151_25:                             ;   in Loop: Header=BB151_17 Depth=2
	s_waitcnt lgkmcnt(0)
	s_barrier
	s_and_saveexec_b64 s[8:9], s[6:7]
	s_cbranch_execz .LBB151_16
.LBB151_26:                             ;   in Loop: Header=BB151_17 Depth=2
	v_add_u32_e32 v99, s37, v67
	v_min_u32_e32 v70, s42, v99
	v_lshl_add_u64 v[0:1], v[70:71], 1, s[14:15]
	v_add_u32_e32 v100, 0x200, v99
	v_lshl_add_u64 v[2:3], v[0:1], 0, v[76:77]
	v_min_u32_e32 v70, s42, v100
	v_lshl_add_u64 v[4:5], v[0:1], 0, v[78:79]
	global_load_dwordx4 v[36:39], v[2:3], off nt
	global_load_dwordx4 v[32:35], v[4:5], off nt
	v_lshl_add_u64 v[2:3], v[70:71], 1, s[14:15]
	v_lshl_add_u64 v[0:1], v[0:1], 0, v[80:81]
	;; [unrolled: 1-line block ×4, first 2 shown]
	global_load_dwordx4 v[28:31], v[0:1], off nt
	global_load_dwordx4 v[8:11], v[4:5], off nt
	v_lshl_add_u64 v[14:15], v[2:3], 0, v[80:81]
	global_load_dwordx4 v[4:7], v[12:13], off nt
	global_load_dwordx4 v[0:3], v[14:15], off nt
	v_cmp_gt_u32_e32 vcc, s20, v99
	v_mov_b32_e32 v60, 0
	v_mov_b32_e32 v61, 0
	;; [unrolled: 1-line block ×16, first 2 shown]
	s_waitcnt vmcnt(19)
	v_mov_b32_e32 v44, 0
	v_mov_b32_e32 v45, 0
	;; [unrolled: 1-line block ×4, first 2 shown]
	s_waitcnt vmcnt(15)
	v_mov_b32_e32 v40, 0
	v_mov_b32_e32 v41, 0
	;; [unrolled: 1-line block ×20, first 2 shown]
	s_and_saveexec_b64 s[30:31], vcc
	s_cbranch_execz .LBB151_15
; %bb.27:                               ;   in Loop: Header=BB151_17 Depth=2
	v_subrev_u32_e32 v12, s36, v99
	v_lshlrev_b32_e32 v103, 1, v12
	v_add_u32_e32 v102, s53, v103
	v_add_u32_e32 v101, s53, v102
	;; [unrolled: 1-line block ×4, first 2 shown]
	ds_read_b128 v[60:63], v103
	ds_read_b128 v[56:59], v102
	;; [unrolled: 1-line block ×5, first 2 shown]
	v_cmp_gt_u32_e32 vcc, s20, v100
	v_mov_b32_e32 v15, 0
	v_mov_b32_e32 v14, 0
	v_mov_b32_e32 v13, 0
	v_mov_b32_e32 v12, 0
	v_mov_b32_e32 v19, 0
	v_mov_b32_e32 v18, 0
	v_mov_b32_e32 v17, 0
	v_mov_b32_e32 v16, 0
	v_mov_b32_e32 v23, 0
	v_mov_b32_e32 v22, 0
	v_mov_b32_e32 v21, 0
	v_mov_b32_e32 v20, 0
	v_mov_b32_e32 v27, 0
	v_mov_b32_e32 v26, 0
	v_mov_b32_e32 v25, 0
	v_mov_b32_e32 v24, 0
	v_mov_b32_e32 v43, 0
	v_mov_b32_e32 v42, 0
	v_mov_b32_e32 v41, 0
	v_mov_b32_e32 v40, 0
	s_and_saveexec_b64 s[34:35], vcc
	s_cbranch_execz .LBB151_14
; %bb.28:                               ;   in Loop: Header=BB151_17 Depth=2
	ds_read_b128 v[40:43], v103 offset:1024
	ds_read_b128 v[24:27], v102 offset:1024
	;; [unrolled: 1-line block ×4, first 2 shown]
	ds_read2_b64 v[12:15], v70 offset0:128 offset1:129
	s_branch .LBB151_14
.LBB151_29:                             ;   in Loop: Header=BB151_12 Depth=1
	v_cmp_le_u32_e32 vcc, s23, v68
	s_and_saveexec_b64 s[6:7], vcc
	s_xor_b64 s[6:7], exec, s[6:7]
; %bb.30:                               ;   in Loop: Header=BB151_12 Depth=1
	v_add_u32_e32 v68, s44, v68
                                        ; implicit-def: $vgpr98
                                        ; implicit-def: $vgpr97
                                        ; implicit-def: $vgpr96
                                        ; implicit-def: $vgpr95
                                        ; implicit-def: $vgpr94
                                        ; implicit-def: $vgpr93
                                        ; implicit-def: $vgpr69
                                        ; implicit-def: $vgpr85
                                        ; implicit-def: $vgpr86
                                        ; implicit-def: $vgpr87
                                        ; implicit-def: $vgpr88
                                        ; implicit-def: $vgpr89
                                        ; implicit-def: $vgpr90
                                        ; implicit-def: $vgpr91
                                        ; implicit-def: $vgpr92
; %bb.31:                               ;   in Loop: Header=BB151_12 Depth=1
	s_andn2_saveexec_b64 s[30:31], s[6:7]
	s_cbranch_execz .LBB151_11
; %bb.32:                               ;   in Loop: Header=BB151_12 Depth=1
	v_cvt_i32_f32_e32 v0, v98
	v_cvt_i32_f32_e32 v1, v97
	;; [unrolled: 1-line block ×4, first 2 shown]
	v_cvt_f32_i32_dpp v0, v0 row_shr:8 row_mask:0xf bank_mask:0xf bound_ctrl:1
	v_cvt_f32_i32_dpp v1, v1 row_shr:8 row_mask:0xf bank_mask:0xf bound_ctrl:1
	;; [unrolled: 1-line block ×4, first 2 shown]
	v_add_f32_e32 v0, v98, v0
	v_cvt_i32_f32_e32 v5, v0
	v_add_f32_e32 v1, v97, v1
	v_cvt_i32_f32_e32 v6, v1
	v_add_f32_e32 v2, v96, v2
	v_cvt_f32_i32_dpp v5, v5 row_shr:4 row_mask:0xf bank_mask:0xf bound_ctrl:1
	v_cvt_i32_f32_e32 v7, v2
	v_cvt_f32_i32_dpp v6, v6 row_shr:4 row_mask:0xf bank_mask:0xf bound_ctrl:1
	v_add_f32_e32 v3, v95, v3
	v_add_f32_e32 v0, v0, v5
	v_cvt_i32_f32_e32 v5, v0
	v_add_f32_e32 v1, v1, v6
	v_cvt_i32_f32_e32 v6, v1
	v_cvt_f32_i32_dpp v7, v7 row_shr:4 row_mask:0xf bank_mask:0xf bound_ctrl:1
	v_cvt_f32_i32_dpp v5, v5 row_shr:2 row_mask:0xf bank_mask:0xf bound_ctrl:1
	v_cvt_i32_f32_e32 v8, v3
	v_cvt_f32_i32_dpp v6, v6 row_shr:2 row_mask:0xf bank_mask:0xf bound_ctrl:1
	v_add_f32_e32 v2, v2, v7
	v_add_f32_e32 v0, v0, v5
	v_cvt_i32_f32_e32 v5, v0
	v_add_f32_e32 v1, v1, v6
	v_cvt_i32_f32_e32 v6, v1
	v_cvt_i32_f32_e32 v7, v2
	v_cvt_f32_i32_dpp v5, v5 row_shr:1 row_mask:0xf bank_mask:0xf bound_ctrl:1
	v_cvt_i32_f32_e32 v4, v94
	v_cvt_f32_i32_dpp v6, v6 row_shr:1 row_mask:0xf bank_mask:0xf bound_ctrl:1
	v_cvt_f32_i32_dpp v7, v7 row_shr:2 row_mask:0xf bank_mask:0xf bound_ctrl:1
	v_add_f32_e32 v0, v0, v5
	v_cvt_i32_f32_e32 v5, v0
	v_add_f32_e32 v1, v1, v6
	v_cvt_i32_f32_e32 v6, v1
	v_add_f32_e32 v9, v2, v7
	v_cvt_f32_i32_dpp v5, v5 row_bcast:15 row_mask:0xf bank_mask:0xf bound_ctrl:1
	v_cvt_f32_i32_dpp v8, v8 row_shr:4 row_mask:0xf bank_mask:0xf bound_ctrl:1
	v_cvt_i32_f32_e32 v2, v9
	v_cvt_f32_i32_dpp v6, v6 row_bcast:15 row_mask:0xf bank_mask:0xf bound_ctrl:1
	v_add_f32_e32 v5, v0, v5
	v_cvt_i32_f32_e32 v0, v5
	v_cvt_f32_i32_dpp v10, v2 row_shr:1 row_mask:0xf bank_mask:0xf bound_ctrl:1
	v_cvt_f32_i32_dpp v4, v4 row_shr:8 row_mask:0xf bank_mask:0xf bound_ctrl:1
	v_add_f32_e32 v3, v3, v8
	v_add_f32_e32 v2, v1, v6
	v_cvt_i32_f32_e32 v6, v3
	v_mov_b32_dpp v7, v0 row_bcast:31 row_mask:0xf bank_mask:0xf bound_ctrl:1
	v_add_f32_e32 v0, v9, v10
	v_add_f32_e32 v9, v94, v4
	v_cvt_i32_f32_e32 v1, v2
	v_cvt_i32_f32_e32 v8, v0
	;; [unrolled: 1-line block ×3, first 2 shown]
	v_cvt_f32_i32_dpp v6, v6 row_shr:2 row_mask:0xf bank_mask:0xf bound_ctrl:1
	v_mov_b32_dpp v4, v1 row_bcast:31 row_mask:0xf bank_mask:0xf bound_ctrl:1
	v_cvt_f32_i32_dpp v1, v8 row_bcast:15 row_mask:0xf bank_mask:0xf bound_ctrl:1
	v_cvt_f32_i32_dpp v8, v10 row_shr:4 row_mask:0xf bank_mask:0xf bound_ctrl:1
	v_add_f32_e32 v3, v3, v6
	v_cvt_i32_f32_e32 v6, v3
	v_add_f32_e32 v1, v0, v1
	v_add_f32_e32 v0, v9, v8
	v_cvt_i32_f32_e32 v8, v0
	v_cvt_f32_i32_dpp v6, v6 row_shr:1 row_mask:0xf bank_mask:0xf bound_ctrl:1
	v_cvt_i32_f32_e32 v9, v93
	v_cvt_i32_f32_e32 v10, v1
	v_cvt_f32_i32_dpp v8, v8 row_shr:2 row_mask:0xf bank_mask:0xf bound_ctrl:1
	v_add_f32_e32 v3, v3, v6
	v_cvt_f32_i32_dpp v6, v9 row_shr:8 row_mask:0xf bank_mask:0xf bound_ctrl:1
	v_cvt_i32_f32_e32 v9, v3
	v_add_f32_e32 v0, v0, v8
	v_cvt_i32_f32_e32 v8, v0
	v_add_f32_e32 v6, v93, v6
	v_cvt_i32_f32_e32 v11, v6
	v_cvt_f32_i32_dpp v9, v9 row_bcast:15 row_mask:0xf bank_mask:0xf bound_ctrl:1
	v_cvt_f32_i32_dpp v12, v8 row_shr:1 row_mask:0xf bank_mask:0xf bound_ctrl:1
	v_mov_b32_dpp v8, v10 row_bcast:31 row_mask:0xf bank_mask:0xf bound_ctrl:1
	v_cvt_f32_i32_dpp v10, v11 row_shr:4 row_mask:0xf bank_mask:0xf bound_ctrl:1
	v_add_f32_e32 v3, v3, v9
	v_cvt_i32_f32_e32 v9, v92
	v_add_f32_e32 v0, v0, v12
	v_add_f32_e32 v6, v6, v10
	v_cvt_i32_f32_e32 v10, v6
	v_cvt_f32_i32_dpp v9, v9 row_shr:8 row_mask:0xf bank_mask:0xf bound_ctrl:1
	v_cvt_i32_f32_e32 v11, v0
	v_cvt_i32_f32_e32 v12, v3
	v_cvt_f32_i32_dpp v10, v10 row_shr:2 row_mask:0xf bank_mask:0xf bound_ctrl:1
	v_add_f32_e32 v9, v92, v9
	v_cvt_i32_f32_e32 v14, v9
	v_cvt_f32_i32_dpp v13, v11 row_bcast:15 row_mask:0xf bank_mask:0xf bound_ctrl:1
	v_add_f32_e32 v10, v6, v10
	v_mov_b32_dpp v11, v12 row_bcast:31 row_mask:0xf bank_mask:0xf bound_ctrl:1
	v_cvt_f32_i32_dpp v12, v14 row_shr:4 row_mask:0xf bank_mask:0xf bound_ctrl:1
	v_cvt_i32_f32_e32 v15, v10
	v_add_f32_e32 v6, v0, v13
	v_cvt_i32_f32_e32 v13, v91
	v_add_f32_e32 v9, v9, v12
	v_cvt_f32_i32_dpp v0, v15 row_shr:1 row_mask:0xf bank_mask:0xf bound_ctrl:1
	v_cvt_i32_f32_e32 v12, v9
	v_cvt_f32_i32_dpp v13, v13 row_shr:8 row_mask:0xf bank_mask:0xf bound_ctrl:1
	v_cvt_i32_f32_e32 v14, v6
	v_add_f32_e32 v0, v10, v0
	v_cvt_f32_i32_dpp v10, v12 row_shr:2 row_mask:0xf bank_mask:0xf bound_ctrl:1
	v_add_f32_e32 v13, v91, v13
	v_cvt_i32_f32_e32 v12, v0
	v_cvt_i32_f32_e32 v15, v13
	v_add_f32_e32 v10, v9, v10
	v_cvt_i32_f32_e32 v9, v10
	v_cvt_f32_i32_dpp v16, v12 row_bcast:15 row_mask:0xf bank_mask:0xf bound_ctrl:1
	v_cvt_f32_i32_dpp v15, v15 row_shr:4 row_mask:0xf bank_mask:0xf bound_ctrl:1
	v_mov_b32_dpp v12, v14 row_bcast:31 row_mask:0xf bank_mask:0xf bound_ctrl:1
	v_cvt_f32_i32_dpp v14, v9 row_shr:1 row_mask:0xf bank_mask:0xf bound_ctrl:1
	v_add_f32_e32 v9, v0, v16
	v_add_f32_e32 v0, v13, v15
	v_cvt_i32_f32_e32 v13, v0
	v_add_f32_e32 v10, v10, v14
	v_cvt_i32_f32_e32 v14, v90
	v_cvt_i32_f32_e32 v15, v10
	v_cvt_f32_i32_dpp v13, v13 row_shr:2 row_mask:0xf bank_mask:0xf bound_ctrl:1
	v_cvt_i32_f32_e32 v16, v9
	v_cvt_f32_i32_dpp v14, v14 row_shr:8 row_mask:0xf bank_mask:0xf bound_ctrl:1
	v_cvt_f32_i32_dpp v15, v15 row_bcast:15 row_mask:0xf bank_mask:0xf bound_ctrl:1
	v_add_f32_e32 v0, v0, v13
	v_cvt_i32_f32_e32 v17, v0
	v_add_f32_e32 v14, v90, v14
	v_cvt_i32_f32_e32 v18, v14
	v_mov_b32_dpp v13, v16 row_bcast:31 row_mask:0xf bank_mask:0xf bound_ctrl:1
	v_cvt_f32_i32_dpp v16, v17 row_shr:1 row_mask:0xf bank_mask:0xf bound_ctrl:1
	v_add_f32_e32 v10, v10, v15
	v_cvt_f32_i32_dpp v15, v18 row_shr:4 row_mask:0xf bank_mask:0xf bound_ctrl:1
	v_cvt_i32_f32_e32 v17, v10
	v_add_f32_e32 v0, v0, v16
	v_cvt_i32_f32_e32 v16, v89
	v_add_f32_e32 v15, v14, v15
	v_cvt_i32_f32_e32 v18, v15
	v_cvt_i32_f32_e32 v19, v0
	v_cvt_f32_i32_dpp v16, v16 row_shr:8 row_mask:0xf bank_mask:0xf bound_ctrl:1
	v_mov_b32_dpp v14, v17 row_bcast:31 row_mask:0xf bank_mask:0xf bound_ctrl:1
	v_cvt_f32_i32_dpp v17, v18 row_shr:2 row_mask:0xf bank_mask:0xf bound_ctrl:1
	v_cvt_f32_i32_dpp v18, v19 row_bcast:15 row_mask:0xf bank_mask:0xf bound_ctrl:1
	v_add_f32_e32 v16, v89, v16
	v_cvt_i32_f32_e32 v19, v16
	v_cvt_i32_f32_e32 v20, v88
	v_add_f32_e32 v17, v15, v17
	v_add_f32_e32 v15, v0, v18
	v_cvt_f32_i32_dpp v19, v19 row_shr:4 row_mask:0xf bank_mask:0xf bound_ctrl:1
	v_cvt_f32_i32_dpp v0, v20 row_shr:8 row_mask:0xf bank_mask:0xf bound_ctrl:1
	v_cvt_i32_f32_e32 v21, v17
	v_add_f32_e32 v16, v16, v19
	v_cvt_i32_f32_e32 v19, v16
	v_add_f32_e32 v0, v88, v0
	v_cvt_f32_i32_dpp v18, v21 row_shr:1 row_mask:0xf bank_mask:0xf bound_ctrl:1
	v_cvt_i32_f32_e32 v20, v0
	v_cvt_f32_i32_dpp v19, v19 row_shr:2 row_mask:0xf bank_mask:0xf bound_ctrl:1
	v_cvt_i32_f32_e32 v21, v15
	v_add_f32_e32 v17, v17, v18
	v_cvt_f32_i32_dpp v18, v20 row_shr:4 row_mask:0xf bank_mask:0xf bound_ctrl:1
	v_add_f32_e32 v19, v16, v19
	v_cvt_i32_f32_e32 v20, v17
	v_cvt_i32_f32_e32 v16, v19
	v_add_f32_e32 v0, v0, v18
	v_cvt_i32_f32_e32 v18, v0
	v_cvt_f32_i32_dpp v20, v20 row_bcast:15 row_mask:0xf bank_mask:0xf bound_ctrl:1
	v_cvt_f32_i32_dpp v22, v16 row_shr:1 row_mask:0xf bank_mask:0xf bound_ctrl:1
	v_mov_b32_dpp v21, v21 row_bcast:31 row_mask:0xf bank_mask:0xf bound_ctrl:1
	v_cvt_f32_i32_dpp v18, v18 row_shr:2 row_mask:0xf bank_mask:0xf bound_ctrl:1
	v_add_f32_e32 v16, v17, v20
	v_add_f32_e32 v17, v19, v22
	v_cvt_i32_f32_e32 v19, v87
	v_add_f32_e32 v0, v0, v18
	v_cvt_i32_f32_e32 v18, v0
	v_cvt_i32_f32_e32 v20, v17
	v_cvt_f32_i32_dpp v19, v19 row_shr:8 row_mask:0xf bank_mask:0xf bound_ctrl:1
	v_cvt_i32_f32_e32 v22, v16
	v_cvt_f32_i32_dpp v18, v18 row_shr:1 row_mask:0xf bank_mask:0xf bound_ctrl:1
	v_cvt_f32_i32_dpp v20, v20 row_bcast:15 row_mask:0xf bank_mask:0xf bound_ctrl:1
	v_add_f32_e32 v19, v87, v19
	v_cvt_i32_f32_e32 v24, v19
	v_add_f32_e32 v0, v0, v18
	v_mov_b32_dpp v23, v22 row_bcast:31 row_mask:0xf bank_mask:0xf bound_ctrl:1
	v_cvt_i32_f32_e32 v18, v0
	v_cvt_f32_i32_dpp v22, v24 row_shr:4 row_mask:0xf bank_mask:0xf bound_ctrl:1
	v_add_f32_e32 v17, v17, v20
	v_cvt_i32_f32_e32 v20, v86
	v_cvt_f32_i32_dpp v18, v18 row_bcast:15 row_mask:0xf bank_mask:0xf bound_ctrl:1
	v_add_f32_e32 v19, v19, v22
	v_cvt_i32_f32_e32 v22, v19
	v_cvt_f32_i32_dpp v20, v20 row_shr:8 row_mask:0xf bank_mask:0xf bound_ctrl:1
	v_add_f32_e32 v18, v0, v18
	v_cvt_i32_f32_e32 v24, v17
	v_cvt_f32_i32_dpp v0, v22 row_shr:2 row_mask:0xf bank_mask:0xf bound_ctrl:1
	v_add_f32_e32 v26, v86, v20
	v_cvt_i32_f32_e32 v20, v26
	v_cvt_i32_f32_e32 v22, v18
	v_add_f32_e32 v0, v19, v0
	v_cvt_i32_f32_e32 v19, v0
	v_mov_b32_dpp v25, v24 row_bcast:31 row_mask:0xf bank_mask:0xf bound_ctrl:1
	v_cvt_f32_i32_dpp v24, v20 row_shr:4 row_mask:0xf bank_mask:0xf bound_ctrl:1
	v_mov_b32_dpp v20, v22 row_bcast:31 row_mask:0xf bank_mask:0xf bound_ctrl:1
	v_cvt_f32_i32_dpp v19, v19 row_shr:1 row_mask:0xf bank_mask:0xf bound_ctrl:1
	v_cvt_i32_f32_e32 v22, v85
	v_add_f32_e32 v24, v26, v24
	v_cvt_i32_f32_e32 v26, v69
	v_add_f32_e32 v0, v0, v19
	v_cvt_f32_i32_dpp v22, v22 row_shr:8 row_mask:0xf bank_mask:0xf bound_ctrl:1
	v_cvt_i32_f32_e32 v27, v24
	v_cvt_f32_i32_dpp v19, v26 row_shr:8 row_mask:0xf bank_mask:0xf bound_ctrl:1
	v_cvt_i32_f32_e32 v29, v0
	v_add_f32_e32 v22, v85, v22
	v_cvt_f32_i32_dpp v26, v27 row_shr:2 row_mask:0xf bank_mask:0xf bound_ctrl:1
	v_add_f32_e32 v19, v69, v19
	v_cvt_i32_f32_e32 v27, v22
	v_cvt_i32_f32_e32 v28, v19
	v_add_f32_e32 v24, v24, v26
	v_cvt_f32_i32_dpp v29, v29 row_bcast:15 row_mask:0xf bank_mask:0xf bound_ctrl:1
	v_cvt_f32_i32_dpp v27, v27 row_shr:4 row_mask:0xf bank_mask:0xf bound_ctrl:1
	v_cvt_f32_i32_dpp v26, v28 row_shr:4 row_mask:0xf bank_mask:0xf bound_ctrl:1
	v_cvt_i32_f32_e32 v28, v24
	v_add_f32_e32 v22, v22, v27
	v_add_f32_e32 v19, v19, v26
	v_cvt_i32_f32_e32 v27, v22
	v_cvt_i32_f32_e32 v26, v19
	v_cvt_f32_i32_dpp v28, v28 row_shr:1 row_mask:0xf bank_mask:0xf bound_ctrl:1
	v_cvt_f32_i32_dpp v27, v27 row_shr:2 row_mask:0xf bank_mask:0xf bound_ctrl:1
	;; [unrolled: 1-line block ×3, first 2 shown]
	v_add_f32_e32 v24, v24, v28
	v_add_f32_e32 v28, v0, v29
	;; [unrolled: 1-line block ×4, first 2 shown]
	v_cvt_i32_f32_e32 v27, v22
	v_cvt_i32_f32_e32 v26, v19
	;; [unrolled: 1-line block ×4, first 2 shown]
	v_cvt_f32_i32_dpp v27, v27 row_shr:1 row_mask:0xf bank_mask:0xf bound_ctrl:1
	v_cvt_f32_i32_dpp v0, v26 row_shr:1 row_mask:0xf bank_mask:0xf bound_ctrl:1
	v_cvt_f32_i32_dpp v26, v30 row_bcast:15 row_mask:0xf bank_mask:0xf bound_ctrl:1
	v_add_f32_e32 v22, v22, v27
	v_add_f32_e32 v0, v19, v0
	v_cvt_i32_f32_e32 v27, v22
	v_cvt_i32_f32_e32 v19, v0
	s_nop 0
	v_cvt_f32_i32_dpp v30, v27 row_bcast:15 row_mask:0xf bank_mask:0xf bound_ctrl:1
	v_cvt_f32_i32_dpp v19, v19 row_bcast:15 row_mask:0xf bank_mask:0xf bound_ctrl:1
	v_add_f32_e32 v27, v24, v26
	v_cvt_i32_f32_e32 v26, v27
	v_add_f32_e32 v24, v22, v30
	v_add_f32_e32 v19, v0, v19
	v_cvt_i32_f32_e32 v22, v24
	v_cvt_i32_f32_e32 v0, v19
	v_mov_b32_dpp v30, v29 row_bcast:31 row_mask:0xf bank_mask:0xf bound_ctrl:1
	v_mov_b32_dpp v29, v26 row_bcast:31 row_mask:0xf bank_mask:0xf bound_ctrl:1
	;; [unrolled: 1-line block ×4, first 2 shown]
	s_and_saveexec_b64 s[34:35], s[0:1]
	s_cbranch_execz .LBB151_51
; %bb.33:                               ;   in Loop: Header=BB151_12 Depth=1
	s_andn2_b64 vcc, exec, s[26:27]
	s_waitcnt vmcnt(14)
	v_mov_b32_e32 v45, 0
	v_add_u32_e32 v0, 2, v68
	s_waitcnt vmcnt(13)
	v_mov_b32_e32 v44, 0
	s_waitcnt vmcnt(12)
	v_mov_b32_e32 v43, 0
	s_waitcnt vmcnt(11)
	v_mov_b32_e32 v42, 0
	s_waitcnt vmcnt(10)
	v_mov_b32_e32 v41, 0
	s_waitcnt vmcnt(9)
	v_mov_b32_e32 v40, 0
	s_waitcnt vmcnt(8)
	v_mov_b32_e32 v38, 0
	s_waitcnt vmcnt(7)
	v_mov_b32_e32 v37, 0
	s_waitcnt vmcnt(6)
	v_mov_b32_e32 v39, 0
	s_waitcnt vmcnt(5)
	v_mov_b32_e32 v36, 0
	s_waitcnt vmcnt(4)
	v_mov_b32_e32 v35, 0
	s_waitcnt vmcnt(3)
	v_mov_b32_e32 v34, 0
	s_waitcnt vmcnt(2)
	v_mov_b32_e32 v33, 0
	s_waitcnt vmcnt(1)
	v_mov_b32_e32 v32, 0
	s_waitcnt vmcnt(0)
	v_mov_b32_e32 v31, 0
	s_cbranch_vccnz .LBB151_35
; %bb.34:                               ;   in Loop: Header=BB151_12 Depth=1
	v_mul_hi_u32 v31, v68, v73
	v_mul_lo_u32 v31, v31, s12
	v_sub_u32_e32 v31, v68, v31
	v_subrev_u32_e32 v32, s12, v31
	v_cmp_le_u32_e32 vcc, s12, v31
	v_mov_b32_e32 v35, v71
	v_mov_b32_e32 v41, v71
	v_cndmask_b32_e32 v31, v31, v32, vcc
	v_subrev_u32_e32 v32, s12, v31
	v_cmp_le_u32_e32 vcc, s12, v31
	v_mov_b32_e32 v47, v71
	s_nop 0
	v_cndmask_b32_e32 v70, v31, v32, vcc
	v_add_u32_e32 v31, 1, v68
	v_mul_hi_u32 v34, v31, v73
	v_mul_lo_u32 v34, v34, s12
	v_sub_u32_e32 v31, v31, v34
	v_subrev_u32_e32 v34, s12, v31
	v_cmp_le_u32_e32 vcc, s12, v31
	v_add_u32_e32 v40, s45, v70
	v_lshl_add_u64 v[48:49], v[40:41], 1, s[18:19]
	v_cndmask_b32_e32 v31, v31, v34, vcc
	v_subrev_u32_e32 v34, s12, v31
	v_cmp_le_u32_e32 vcc, s12, v31
	v_lshl_add_u64 v[32:33], v[70:71], 1, s[18:19]
	s_nop 0
	v_cndmask_b32_e32 v34, v31, v34, vcc
	v_mul_hi_u32 v31, v0, v73
	v_mul_lo_u32 v31, v31, s12
	v_sub_u32_e32 v31, v0, v31
	v_lshl_add_u64 v[36:37], v[34:35], 1, s[18:19]
	v_subrev_u32_e32 v35, s12, v31
	v_cmp_le_u32_e32 vcc, s12, v31
	v_add_u32_e32 v40, s45, v34
	v_lshl_add_u64 v[50:51], v[40:41], 1, s[18:19]
	v_cndmask_b32_e32 v31, v31, v35, vcc
	v_subrev_u32_e32 v35, s12, v31
	v_cmp_le_u32_e32 vcc, s12, v31
	s_nop 1
	v_cndmask_b32_e32 v46, v31, v35, vcc
	v_add_u32_e32 v40, s45, v46
	v_lshl_add_u64 v[52:53], v[40:41], 1, s[18:19]
	v_add_u32_e32 v40, s46, v70
	v_lshl_add_u64 v[38:39], v[46:47], 1, s[18:19]
	v_lshl_add_u64 v[54:55], v[40:41], 1, s[18:19]
	v_add_u32_e32 v40, s46, v34
	v_lshl_add_u64 v[56:57], v[40:41], 1, s[18:19]
	global_load_ushort v45, v[32:33], off
	global_load_ushort v44, v[36:37], off
	;; [unrolled: 1-line block ×3, first 2 shown]
                                        ; kill: killed $vgpr38_vgpr39
                                        ; kill: killed $vgpr36_vgpr37
	global_load_ushort v42, v[48:49], off
	global_load_ushort v41, v[50:51], off
	;; [unrolled: 1-line block ×3, first 2 shown]
	s_nop 0
	global_load_ushort v38, v[54:55], off
                                        ; kill: killed $vgpr48_vgpr49
                                        ; kill: killed $vgpr50_vgpr51
                                        ; kill: killed $vgpr52_vgpr53
                                        ; kill: killed $vgpr54_vgpr55
	global_load_ushort v37, v[56:57], off
	v_add_u32_e32 v48, s47, v70
	v_add_u32_e32 v70, s48, v70
	;; [unrolled: 1-line block ×3, first 2 shown]
	v_mov_b32_e32 v33, v71
	v_lshl_add_u64 v[54:55], v[70:71], 1, s[18:19]
	v_add_u32_e32 v70, s48, v34
	v_lshl_add_u64 v[32:33], v[32:33], 1, s[18:19]
	v_mov_b32_e32 v49, v71
	v_add_u32_e32 v50, s47, v34
	v_mov_b32_e32 v51, v71
	v_add_u32_e32 v52, s47, v46
	v_mov_b32_e32 v53, v71
	v_lshl_add_u64 v[56:57], v[70:71], 1, s[18:19]
	v_add_u32_e32 v70, s48, v46
	v_lshl_add_u64 v[48:49], v[48:49], 1, s[18:19]
	v_lshl_add_u64 v[50:51], v[50:51], 1, s[18:19]
	;; [unrolled: 1-line block ×4, first 2 shown]
	global_load_ushort v39, v[32:33], off
	global_load_ushort v36, v[48:49], off
	;; [unrolled: 1-line block ×4, first 2 shown]
	s_nop 0
	global_load_ushort v33, v[54:55], off
	global_load_ushort v32, v[56:57], off
                                        ; kill: killed $vgpr54_vgpr55
                                        ; kill: killed $vgpr56_vgpr57
	global_load_ushort v31, v[46:47], off
.LBB151_35:                             ;   in Loop: Header=BB151_12 Depth=1
	v_cmp_ne_u32_e32 vcc, 0, v64
	s_and_saveexec_b64 s[6:7], vcc
	s_cbranch_execnz .LBB151_56
; %bb.36:                               ;   in Loop: Header=BB151_12 Depth=1
	s_or_b64 exec, exec, s[6:7]
	v_cmp_ne_u32_e64 s[6:7], 0, v65
	s_and_saveexec_b64 s[8:9], s[6:7]
	s_cbranch_execnz .LBB151_57
.LBB151_37:                             ;   in Loop: Header=BB151_12 Depth=1
	s_or_b64 exec, exec, s[8:9]
	v_cmp_ne_u32_e64 s[8:9], 0, v66
	s_and_saveexec_b64 s[36:37], s[8:9]
	s_cbranch_execnz .LBB151_58
.LBB151_38:                             ;   in Loop: Header=BB151_12 Depth=1
	s_or_b64 exec, exec, s[36:37]
	v_add_u32_e32 v70, s23, v68
	s_and_saveexec_b64 s[36:37], vcc
	s_cbranch_execnz .LBB151_59
.LBB151_39:                             ;   in Loop: Header=BB151_12 Depth=1
	s_or_b64 exec, exec, s[36:37]
	s_and_saveexec_b64 s[36:37], s[6:7]
	s_cbranch_execnz .LBB151_60
.LBB151_40:                             ;   in Loop: Header=BB151_12 Depth=1
	s_or_b64 exec, exec, s[36:37]
	s_and_saveexec_b64 s[36:37], s[8:9]
	s_cbranch_execnz .LBB151_61
.LBB151_41:                             ;   in Loop: Header=BB151_12 Depth=1
	s_or_b64 exec, exec, s[36:37]
	v_add_u32_e32 v70, s23, v70
	s_and_saveexec_b64 s[36:37], vcc
	s_cbranch_execnz .LBB151_62
.LBB151_42:                             ;   in Loop: Header=BB151_12 Depth=1
	s_or_b64 exec, exec, s[36:37]
	s_and_saveexec_b64 s[36:37], s[6:7]
	s_cbranch_execnz .LBB151_63
.LBB151_43:                             ;   in Loop: Header=BB151_12 Depth=1
	s_or_b64 exec, exec, s[36:37]
	s_and_saveexec_b64 s[36:37], s[8:9]
	s_cbranch_execnz .LBB151_64
.LBB151_44:                             ;   in Loop: Header=BB151_12 Depth=1
	s_or_b64 exec, exec, s[36:37]
	v_add_u32_e32 v70, s23, v70
	s_and_saveexec_b64 s[36:37], vcc
	s_cbranch_execnz .LBB151_65
.LBB151_45:                             ;   in Loop: Header=BB151_12 Depth=1
	s_or_b64 exec, exec, s[36:37]
	s_and_saveexec_b64 s[36:37], s[6:7]
	s_cbranch_execnz .LBB151_66
.LBB151_46:                             ;   in Loop: Header=BB151_12 Depth=1
	s_or_b64 exec, exec, s[36:37]
	s_and_saveexec_b64 s[36:37], s[8:9]
	s_cbranch_execnz .LBB151_67
.LBB151_47:                             ;   in Loop: Header=BB151_12 Depth=1
	s_or_b64 exec, exec, s[36:37]
	v_add_u32_e32 v70, s23, v70
	s_and_saveexec_b64 s[36:37], vcc
	s_cbranch_execnz .LBB151_68
.LBB151_48:                             ;   in Loop: Header=BB151_12 Depth=1
	s_or_b64 exec, exec, s[36:37]
	s_and_saveexec_b64 s[36:37], s[6:7]
	s_cbranch_execnz .LBB151_69
.LBB151_49:                             ;   in Loop: Header=BB151_12 Depth=1
	s_or_b64 exec, exec, s[36:37]
	s_and_b64 exec, exec, s[8:9]
	s_cbranch_execz .LBB151_51
.LBB151_50:                             ;   in Loop: Header=BB151_12 Depth=1
	v_cvt_f32_i32_e32 v0, v22
	s_waitcnt vmcnt(0)
	v_cvt_f32_f16_e32 v1, v31
	v_add_u32_e32 v70, 2, v70
	v_add_f32_e32 v0, v19, v0
	v_add_f32_e32 v0, v0, v1
	v_cvt_f16_f32_e32 v2, v0
	v_lshl_add_u64 v[0:1], v[70:71], 1, s[10:11]
	global_store_short v[0:1], v2, off
.LBB151_51:                             ;   in Loop: Header=BB151_12 Depth=1
	s_or_b64 exec, exec, s[34:35]
	v_add_u32_e32 v68, s44, v68
	v_add_u32_e32 v0, 3, v68
	v_cmp_gt_u32_e32 vcc, s23, v68
	v_cmp_le_u32_e64 s[6:7], s23, v0
	s_and_b64 s[6:7], vcc, s[6:7]
	s_and_saveexec_b64 s[8:9], s[6:7]
	s_cbranch_execz .LBB151_10
; %bb.52:                               ;   in Loop: Header=BB151_12 Depth=1
	v_cmp_ne_u32_e32 vcc, s13, v68
	s_and_saveexec_b64 s[34:35], vcc
	s_cbranch_execz .LBB151_9
; %bb.53:                               ;   in Loop: Header=BB151_12 Depth=1
	v_subrev_u32_e32 v0, s13, v68
	v_cmp_lt_u32_e32 vcc, 1, v0
	s_mov_b64 s[36:37], 0
	s_mov_b64 s[38:39], 0
	v_cndmask_b32_e32 v0, 1, v0, vcc
.LBB151_54:                             ;   Parent Loop BB151_12 Depth=1
                                        ; =>  This Inner Loop Header: Depth=2
	s_cmp_lg_u32 s38, 2
	s_cselect_b64 vcc, -1, 0
	s_cmp_lg_u32 s38, 1
	v_cndmask_b32_e32 v66, 0, v66, vcc
	s_cselect_b64 vcc, -1, 0
	s_cmp_lg_u32 s38, 0
	v_cndmask_b32_e32 v65, 0, v65, vcc
	s_cselect_b64 vcc, -1, 0
	s_add_u32 s38, s38, 1
	s_addc_u32 s39, s39, 0
	v_cmp_eq_u32_e64 s[6:7], s38, v0
	s_or_b64 s[36:37], s[6:7], s[36:37]
	v_cndmask_b32_e32 v64, 0, v64, vcc
	s_andn2_b64 exec, exec, s[36:37]
	s_cbranch_execnz .LBB151_54
; %bb.55:                               ;   in Loop: Header=BB151_12 Depth=1
	s_or_b64 exec, exec, s[36:37]
	s_branch .LBB151_9
.LBB151_56:                             ;   in Loop: Header=BB151_12 Depth=1
	v_cvt_f32_i32_e32 v7, v7
	s_waitcnt vmcnt(14)
	v_cvt_f32_f16_e32 v45, v45
	v_mov_b32_e32 v69, v71
	v_lshl_add_u64 v[46:47], v[68:69], 1, s[10:11]
	v_add_f32_e32 v5, v5, v7
	v_add_f32_e32 v5, v5, v45
	v_cvt_f16_f32_e32 v5, v5
	global_store_short v[46:47], v5, off
	s_or_b64 exec, exec, s[6:7]
	v_cmp_ne_u32_e64 s[6:7], 0, v65
	s_and_saveexec_b64 s[8:9], s[6:7]
	s_cbranch_execz .LBB151_37
.LBB151_57:                             ;   in Loop: Header=BB151_12 Depth=1
	v_cvt_f32_i32_e32 v4, v4
	s_waitcnt vmcnt(13)
	v_cvt_f32_f16_e32 v5, v44
	v_mov_b32_e32 v69, v71
	v_add_f32_e32 v2, v2, v4
	v_add_f32_e32 v2, v2, v5
	v_cvt_f16_f32_e32 v2, v2
	v_lshl_add_u64 v[4:5], v[68:69], 1, s[28:29]
	global_store_short v[4:5], v2, off
	s_or_b64 exec, exec, s[8:9]
	v_cmp_ne_u32_e64 s[8:9], 0, v66
	s_and_saveexec_b64 s[36:37], s[8:9]
	s_cbranch_execz .LBB151_38
.LBB151_58:                             ;   in Loop: Header=BB151_12 Depth=1
	v_cvt_f32_i32_e32 v2, v8
	s_waitcnt vmcnt(12)
	v_cvt_f32_f16_e32 v4, v43
	v_add_f32_e32 v1, v1, v2
	v_add_f32_e32 v1, v1, v4
	v_cvt_f16_f32_e32 v2, v1
	v_mov_b32_e32 v1, v71
	v_lshl_add_u64 v[0:1], v[0:1], 1, s[10:11]
	global_store_short v[0:1], v2, off
	s_or_b64 exec, exec, s[36:37]
	v_add_u32_e32 v70, s23, v68
	s_and_saveexec_b64 s[36:37], vcc
	s_cbranch_execz .LBB151_39
.LBB151_59:                             ;   in Loop: Header=BB151_12 Depth=1
	v_cvt_f32_i32_e32 v0, v11
	s_waitcnt vmcnt(11)
	v_cvt_f32_f16_e32 v1, v42
	v_add_f32_e32 v0, v3, v0
	v_add_f32_e32 v0, v0, v1
	v_cvt_f16_f32_e32 v2, v0
	v_lshl_add_u64 v[0:1], v[70:71], 1, s[10:11]
	global_store_short v[0:1], v2, off
	s_or_b64 exec, exec, s[36:37]
	s_and_saveexec_b64 s[36:37], s[6:7]
	s_cbranch_execz .LBB151_40
.LBB151_60:                             ;   in Loop: Header=BB151_12 Depth=1
	v_cvt_f32_i32_e32 v0, v12
	s_waitcnt vmcnt(10)
	v_cvt_f32_f16_e32 v1, v41
	v_add_f32_e32 v0, v6, v0
	v_add_f32_e32 v0, v0, v1
	v_cvt_f16_f32_e32 v2, v0
	v_add_u32_e32 v0, 1, v70
	v_mov_b32_e32 v1, v71
	v_lshl_add_u64 v[0:1], v[0:1], 1, s[10:11]
	global_store_short v[0:1], v2, off
	s_or_b64 exec, exec, s[36:37]
	s_and_saveexec_b64 s[36:37], s[8:9]
	s_cbranch_execz .LBB151_41
.LBB151_61:                             ;   in Loop: Header=BB151_12 Depth=1
	v_cvt_f32_i32_e32 v0, v13
	s_waitcnt vmcnt(9)
	v_cvt_f32_f16_e32 v1, v40
	v_add_f32_e32 v0, v9, v0
	v_add_f32_e32 v0, v0, v1
	v_cvt_f16_f32_e32 v2, v0
	v_add_u32_e32 v0, 2, v70
	v_mov_b32_e32 v1, v71
	v_lshl_add_u64 v[0:1], v[0:1], 1, s[10:11]
	global_store_short v[0:1], v2, off
	s_or_b64 exec, exec, s[36:37]
	v_add_u32_e32 v70, s23, v70
	s_and_saveexec_b64 s[36:37], vcc
	s_cbranch_execz .LBB151_42
.LBB151_62:                             ;   in Loop: Header=BB151_12 Depth=1
	v_cvt_f32_i32_e32 v0, v14
	s_waitcnt vmcnt(8)
	v_cvt_f32_f16_e32 v1, v38
	v_add_f32_e32 v0, v10, v0
	v_add_f32_e32 v0, v0, v1
	v_cvt_f16_f32_e32 v2, v0
	v_lshl_add_u64 v[0:1], v[70:71], 1, s[10:11]
	global_store_short v[0:1], v2, off
	s_or_b64 exec, exec, s[36:37]
	s_and_saveexec_b64 s[36:37], s[6:7]
	s_cbranch_execz .LBB151_43
.LBB151_63:                             ;   in Loop: Header=BB151_12 Depth=1
	v_cvt_f32_i32_e32 v0, v21
	s_waitcnt vmcnt(7)
	v_cvt_f32_f16_e32 v1, v37
	v_add_f32_e32 v0, v15, v0
	v_add_f32_e32 v0, v0, v1
	v_cvt_f16_f32_e32 v2, v0
	v_add_u32_e32 v0, 1, v70
	v_mov_b32_e32 v1, v71
	v_lshl_add_u64 v[0:1], v[0:1], 1, s[10:11]
	global_store_short v[0:1], v2, off
	s_or_b64 exec, exec, s[36:37]
	s_and_saveexec_b64 s[36:37], s[8:9]
	s_cbranch_execz .LBB151_44
.LBB151_64:                             ;   in Loop: Header=BB151_12 Depth=1
	v_cvt_f32_i32_e32 v0, v23
	s_waitcnt vmcnt(6)
	v_cvt_f32_f16_e32 v1, v39
	v_add_f32_e32 v0, v16, v0
	v_add_f32_e32 v0, v0, v1
	v_cvt_f16_f32_e32 v2, v0
	v_add_u32_e32 v0, 2, v70
	v_mov_b32_e32 v1, v71
	v_lshl_add_u64 v[0:1], v[0:1], 1, s[10:11]
	global_store_short v[0:1], v2, off
	s_or_b64 exec, exec, s[36:37]
	v_add_u32_e32 v70, s23, v70
	s_and_saveexec_b64 s[36:37], vcc
	s_cbranch_execz .LBB151_45
.LBB151_65:                             ;   in Loop: Header=BB151_12 Depth=1
	v_cvt_f32_i32_e32 v0, v25
	s_waitcnt vmcnt(5)
	v_cvt_f32_f16_e32 v1, v36
	v_add_f32_e32 v0, v17, v0
	v_add_f32_e32 v0, v0, v1
	v_cvt_f16_f32_e32 v2, v0
	v_lshl_add_u64 v[0:1], v[70:71], 1, s[10:11]
	global_store_short v[0:1], v2, off
	s_or_b64 exec, exec, s[36:37]
	s_and_saveexec_b64 s[36:37], s[6:7]
	s_cbranch_execz .LBB151_46
.LBB151_66:                             ;   in Loop: Header=BB151_12 Depth=1
	v_cvt_f32_i32_e32 v0, v20
	s_waitcnt vmcnt(4)
	v_cvt_f32_f16_e32 v1, v35
	v_add_f32_e32 v0, v18, v0
	v_add_f32_e32 v0, v0, v1
	v_cvt_f16_f32_e32 v2, v0
	v_add_u32_e32 v0, 1, v70
	v_mov_b32_e32 v1, v71
	v_lshl_add_u64 v[0:1], v[0:1], 1, s[10:11]
	global_store_short v[0:1], v2, off
	s_or_b64 exec, exec, s[36:37]
	s_and_saveexec_b64 s[36:37], s[8:9]
	s_cbranch_execz .LBB151_47
.LBB151_67:                             ;   in Loop: Header=BB151_12 Depth=1
	v_cvt_f32_i32_e32 v0, v30
	s_waitcnt vmcnt(3)
	v_cvt_f32_f16_e32 v1, v34
	v_add_f32_e32 v0, v28, v0
	v_add_f32_e32 v0, v0, v1
	v_cvt_f16_f32_e32 v2, v0
	v_add_u32_e32 v0, 2, v70
	v_mov_b32_e32 v1, v71
	v_lshl_add_u64 v[0:1], v[0:1], 1, s[10:11]
	global_store_short v[0:1], v2, off
	s_or_b64 exec, exec, s[36:37]
	v_add_u32_e32 v70, s23, v70
	s_and_saveexec_b64 s[36:37], vcc
	s_cbranch_execz .LBB151_48
.LBB151_68:                             ;   in Loop: Header=BB151_12 Depth=1
	v_cvt_f32_i32_e32 v0, v29
	s_waitcnt vmcnt(2)
	v_cvt_f32_f16_e32 v1, v33
	v_add_f32_e32 v0, v27, v0
	v_add_f32_e32 v0, v0, v1
	v_cvt_f16_f32_e32 v2, v0
	v_lshl_add_u64 v[0:1], v[70:71], 1, s[10:11]
	global_store_short v[0:1], v2, off
	s_or_b64 exec, exec, s[36:37]
	s_and_saveexec_b64 s[36:37], s[6:7]
	s_cbranch_execz .LBB151_49
.LBB151_69:                             ;   in Loop: Header=BB151_12 Depth=1
	v_cvt_f32_i32_e32 v0, v26
	s_waitcnt vmcnt(1)
	v_cvt_f32_f16_e32 v1, v32
	v_add_f32_e32 v0, v24, v0
	v_add_f32_e32 v0, v0, v1
	v_cvt_f16_f32_e32 v2, v0
	v_add_u32_e32 v0, 1, v70
	v_mov_b32_e32 v1, v71
	v_lshl_add_u64 v[0:1], v[0:1], 1, s[10:11]
	global_store_short v[0:1], v2, off
	s_or_b64 exec, exec, s[36:37]
	s_and_b64 exec, exec, s[8:9]
	s_cbranch_execnz .LBB151_50
	s_branch .LBB151_51
.LBB151_70:
	s_endpgm
	.section	.rodata,"a",@progbits
	.p2align	6, 0x0
	.amdhsa_kernel _Z16wvSplitK_hf_big_I6__halfLi64ELi3ELi16ELi8ELi2ELi5EEviiiiiiPKT_S3_S3_PS1_ii
		.amdhsa_group_segment_fixed_size 65536
		.amdhsa_private_segment_fixed_size 0
		.amdhsa_kernarg_size 64
		.amdhsa_user_sgpr_count 2
		.amdhsa_user_sgpr_dispatch_ptr 0
		.amdhsa_user_sgpr_queue_ptr 0
		.amdhsa_user_sgpr_kernarg_segment_ptr 1
		.amdhsa_user_sgpr_dispatch_id 0
		.amdhsa_user_sgpr_kernarg_preload_length 0
		.amdhsa_user_sgpr_kernarg_preload_offset 0
		.amdhsa_user_sgpr_private_segment_size 0
		.amdhsa_uses_dynamic_stack 0
		.amdhsa_enable_private_segment 0
		.amdhsa_system_sgpr_workgroup_id_x 1
		.amdhsa_system_sgpr_workgroup_id_y 0
		.amdhsa_system_sgpr_workgroup_id_z 0
		.amdhsa_system_sgpr_workgroup_info 0
		.amdhsa_system_vgpr_workitem_id 1
		.amdhsa_next_free_vgpr 104
		.amdhsa_next_free_sgpr 56
		.amdhsa_accum_offset 104
		.amdhsa_reserve_vcc 1
		.amdhsa_float_round_mode_32 0
		.amdhsa_float_round_mode_16_64 0
		.amdhsa_float_denorm_mode_32 3
		.amdhsa_float_denorm_mode_16_64 3
		.amdhsa_dx10_clamp 1
		.amdhsa_ieee_mode 1
		.amdhsa_fp16_overflow 0
		.amdhsa_tg_split 0
		.amdhsa_exception_fp_ieee_invalid_op 0
		.amdhsa_exception_fp_denorm_src 0
		.amdhsa_exception_fp_ieee_div_zero 0
		.amdhsa_exception_fp_ieee_overflow 0
		.amdhsa_exception_fp_ieee_underflow 0
		.amdhsa_exception_fp_ieee_inexact 0
		.amdhsa_exception_int_div_zero 0
	.end_amdhsa_kernel
	.section	.text._Z16wvSplitK_hf_big_I6__halfLi64ELi3ELi16ELi8ELi2ELi5EEviiiiiiPKT_S3_S3_PS1_ii,"axG",@progbits,_Z16wvSplitK_hf_big_I6__halfLi64ELi3ELi16ELi8ELi2ELi5EEviiiiiiPKT_S3_S3_PS1_ii,comdat
.Lfunc_end151:
	.size	_Z16wvSplitK_hf_big_I6__halfLi64ELi3ELi16ELi8ELi2ELi5EEviiiiiiPKT_S3_S3_PS1_ii, .Lfunc_end151-_Z16wvSplitK_hf_big_I6__halfLi64ELi3ELi16ELi8ELi2ELi5EEviiiiiiPKT_S3_S3_PS1_ii
                                        ; -- End function
	.section	.AMDGPU.csdata,"",@progbits
; Kernel info:
; codeLenInByte = 6300
; NumSgprs: 62
; NumVgprs: 104
; NumAgprs: 0
; TotalNumVgprs: 104
; ScratchSize: 0
; MemoryBound: 0
; FloatMode: 240
; IeeeMode: 1
; LDSByteSize: 65536 bytes/workgroup (compile time only)
; SGPRBlocks: 7
; VGPRBlocks: 12
; NumSGPRsForWavesPerEU: 62
; NumVGPRsForWavesPerEU: 104
; AccumOffset: 104
; Occupancy: 4
; WaveLimiterHint : 0
; COMPUTE_PGM_RSRC2:SCRATCH_EN: 0
; COMPUTE_PGM_RSRC2:USER_SGPR: 2
; COMPUTE_PGM_RSRC2:TRAP_HANDLER: 0
; COMPUTE_PGM_RSRC2:TGID_X_EN: 1
; COMPUTE_PGM_RSRC2:TGID_Y_EN: 0
; COMPUTE_PGM_RSRC2:TGID_Z_EN: 0
; COMPUTE_PGM_RSRC2:TIDIG_COMP_CNT: 1
; COMPUTE_PGM_RSRC3_GFX90A:ACCUM_OFFSET: 25
; COMPUTE_PGM_RSRC3_GFX90A:TG_SPLIT: 0
	.section	.text._Z16wvSplitK_hf_sml_I6__halfLi64ELi4ELi16ELi8ELi1ELi5EEviiiiiiPKT_S3_S3_PS1_ii,"axG",@progbits,_Z16wvSplitK_hf_sml_I6__halfLi64ELi4ELi16ELi8ELi1ELi5EEviiiiiiPKT_S3_S3_PS1_ii,comdat
	.protected	_Z16wvSplitK_hf_sml_I6__halfLi64ELi4ELi16ELi8ELi1ELi5EEviiiiiiPKT_S3_S3_PS1_ii ; -- Begin function _Z16wvSplitK_hf_sml_I6__halfLi64ELi4ELi16ELi8ELi1ELi5EEviiiiiiPKT_S3_S3_PS1_ii
	.globl	_Z16wvSplitK_hf_sml_I6__halfLi64ELi4ELi16ELi8ELi1ELi5EEviiiiiiPKT_S3_S3_PS1_ii
	.p2align	8
	.type	_Z16wvSplitK_hf_sml_I6__halfLi64ELi4ELi16ELi8ELi1ELi5EEviiiiiiPKT_S3_S3_PS1_ii,@function
_Z16wvSplitK_hf_sml_I6__halfLi64ELi4ELi16ELi8ELi1ELi5EEviiiiiiPKT_S3_S3_PS1_ii: ; @_Z16wvSplitK_hf_sml_I6__halfLi64ELi4ELi16ELi8ELi1ELi5EEviiiiiiPKT_S3_S3_PS1_ii
; %bb.0:
	s_load_dwordx4 s[4:7], s[0:1], 0x0
	s_load_dwordx2 s[8:9], s[0:1], 0x10
	s_load_dwordx2 s[10:11], s[0:1], 0x28
	v_and_b32_e32 v2, 0x3ff, v0
	v_bfe_u32 v3, v0, 10, 10
	v_lshlrev_b32_e32 v48, 3, v2
	s_waitcnt lgkmcnt(0)
	s_mul_i32 s3, s6, 5
	v_lshl_add_u32 v4, v3, 9, v48
	s_min_u32 s3, s3, 0x8000
	v_cmp_gt_u32_e32 vcc, s3, v4
	s_and_saveexec_b64 s[12:13], vcc
	s_cbranch_execz .LBB152_3
; %bb.1:
	s_load_dwordx2 s[14:15], s[0:1], 0x20
	v_mov_b32_e32 v7, 0
	v_lshlrev_b32_e32 v6, 10, v3
	v_lshlrev_b32_e32 v8, 4, v2
	v_mov_b32_e32 v9, v7
	v_lshl_add_u64 v[0:1], v[6:7], 0, v[8:9]
	s_waitcnt lgkmcnt(0)
	v_lshl_add_u64 v[0:1], s[14:15], 0, v[0:1]
	v_add_u32_e32 v5, v6, v8
	s_mov_b64 s[14:15], 0
	s_mov_b64 s[16:17], 0x4000
.LBB152_2:                              ; =>This Inner Loop Header: Depth=1
	global_load_dwordx4 v[6:9], v[0:1], off
	v_add_u32_e32 v4, 0x2000, v4
	v_cmp_le_u32_e32 vcc, s3, v4
	v_lshl_add_u64 v[0:1], v[0:1], 0, s[16:17]
	s_or_b64 s[14:15], vcc, s[14:15]
	s_waitcnt vmcnt(0)
	ds_write_b128 v5, v[6:9]
	v_add_u32_e32 v5, 0x4000, v5
	s_andn2_b64 exec, exec, s[14:15]
	s_cbranch_execnz .LBB152_2
.LBB152_3:
	s_or_b64 exec, exec, s[12:13]
	s_load_dwordx2 s[16:17], s[0:1], 0x38
	s_waitcnt lgkmcnt(0)
	s_barrier
	v_cmp_gt_u32_e32 vcc, s16, v3
	s_and_saveexec_b64 s[12:13], vcc
	s_cbranch_execz .LBB152_18
; %bb.4:
	s_mul_i32 s2, s2, s16
	v_add_lshl_u32 v32, s2, v3, 2
	v_cmp_gt_u32_e32 vcc, s7, v32
	s_and_b64 exec, exec, vcc
	s_cbranch_execz .LBB152_18
; %bb.5:
	s_cmp_lg_u32 s4, 0
	s_cselect_b64 s[2:3], -1, 0
	s_add_i32 s24, s4, -8
	s_add_i32 s25, s7, -1
	s_cmp_lg_u64 s[10:11], 0
	s_cselect_b64 s[18:19], -1, 0
	s_abs_i32 s21, s9
	v_cvt_f32_u32_e32 v0, s8
	v_cvt_f32_u32_e32 v1, s21
	s_mul_i32 s20, s16, s17
	s_lshl_b32 s9, s20, 2
	v_rcp_iflag_f32_e32 v0, v0
	v_rcp_iflag_f32_e32 v1, v1
	s_sub_i32 s20, 0, s8
	s_load_dwordx2 s[12:13], s[0:1], 0x18
	s_load_dwordx2 s[14:15], s[0:1], 0x30
	v_mul_f32_e32 v0, 0x4f7ffffe, v0
	v_mul_f32_e32 v1, 0x4f7ffffe, v1
	v_cvt_u32_f32_e32 v0, v0
	v_cvt_u32_f32_e32 v1, v1
	v_cmp_eq_u32_e64 s[0:1], 63, v2
	s_mov_b64 s[16:17], 0
	v_mul_lo_u32 v3, s20, v0
	s_sub_i32 s20, 0, s21
	v_readfirstlane_b32 s22, v1
	s_mul_i32 s20, s20, s22
	s_mul_hi_u32 s20, s22, s20
	s_add_i32 s22, s22, s20
	s_sub_i32 s20, 1, s21
	s_cmp_lt_u32 s21, 2
	s_cselect_b32 s20, s20, 1
	s_sub_i32 s23, s20, s21
	s_cmp_ge_u32 s20, s21
	s_cselect_b32 s26, s23, s20
	s_lshr_b32 s20, s22, 31
	s_mul_i32 s20, s20, s21
	s_sub_i32 s20, 2, s20
	s_sub_i32 s23, s20, s21
	s_cmp_ge_u32 s20, s21
	s_cselect_b32 s20, s23, s20
	s_sub_i32 s23, s20, s21
	s_cmp_ge_u32 s20, s21
	s_cselect_b32 s27, s23, s20
	s_mul_hi_u32 s20, s22, 3
	s_mul_i32 s20, s20, s21
	s_sub_i32 s20, 3, s20
	s_sub_i32 s23, s20, s21
	s_cmp_ge_u32 s20, s21
	s_cselect_b32 s20, s23, s20
	s_sub_i32 s23, s20, s21
	s_cmp_ge_u32 s20, s21
	s_cselect_b32 s28, s23, s20
	s_lshr_b32 s20, s22, 30
	s_mul_i32 s20, s20, s21
	s_sub_i32 s20, 4, s20
	s_sub_i32 s22, s20, s21
	s_cmp_ge_u32 s20, s21
	s_cselect_b32 s20, s22, s20
	s_sub_i32 s22, s20, s21
	v_mul_hi_u32 v3, v0, v3
	s_cmp_ge_u32 s20, s21
	v_add_u32_e32 v49, v0, v3
	s_cselect_b32 s29, s22, s20
	v_cndmask_b32_e64 v0, 0, 1, s[2:3]
	v_mov_b32_e32 v35, 0
	s_mul_i32 s26, s26, s8
	s_mul_i32 s27, s27, s8
	;; [unrolled: 1-line block ×4, first 2 shown]
	s_lshl_b32 s30, s6, 3
	v_lshlrev_b32_e32 v50, 4, v2
	s_mul_i32 s31, s6, 6
	s_lshl_b32 s33, s6, 2
	s_lshl_b32 s6, s6, 1
	v_cmp_ne_u32_e64 s[2:3], 1, v0
	s_branch .LBB152_8
.LBB152_6:                              ;   in Loop: Header=BB152_8 Depth=1
	v_cvt_f32_i32_e32 v2, v2
	v_cvt_f32_i32_e32 v4, v4
	;; [unrolled: 1-line block ×4, first 2 shown]
	v_add_f32_e32 v0, v0, v2
	v_cvt_f32_i32_e32 v2, v10
	v_add_f32_e32 v1, v1, v4
	v_add_f32_e32 v4, v5, v8
	;; [unrolled: 1-line block ×4, first 2 shown]
	v_cvt_f32_i32_e32 v2, v12
	v_cvt_f32_i32_e32 v7, v16
	;; [unrolled: 1-line block ×4, first 2 shown]
	v_add_f32_e32 v9, v9, v2
	v_cvt_f32_i32_e32 v2, v20
	v_add_f32_e32 v7, v13, v7
	s_waitcnt vmcnt(19)
	v_cvt_f32_f16_e32 v20, v66
	v_add_f32_e32 v6, v11, v6
	v_add_f32_e32 v13, v17, v2
	v_cvt_f32_i32_e32 v2, v28
	v_cvt_f32_i32_e32 v11, v23
	v_add_f32_e32 v0, v0, v20
	s_waitcnt vmcnt(17)
	v_cvt_f32_f16_e32 v20, v64
	v_add_f32_e32 v17, v25, v2
	v_cvt_f32_i32_e32 v2, v42
	v_add_f32_e32 v11, v21, v11
	v_cvt_f16_f32_e32 v22, v0
	s_waitcnt vmcnt(16)
	v_cvt_f32_f16_e32 v0, v63
	v_add_f32_e32 v21, v37, v2
	v_cvt_f32_f16_e32 v2, v65
	v_add_u32_e32 v34, s7, v32
	v_add_f32_e32 v0, v4, v0
	v_cvt_f32_i32_e32 v8, v18
	v_add_f32_e32 v1, v1, v2
	v_add_f32_e32 v2, v3, v20
	v_cvt_f16_f32_e32 v2, v2
	v_cvt_f16_f32_e32 v3, v0
	;; [unrolled: 1-line block ×3, first 2 shown]
	s_waitcnt vmcnt(15)
	v_cvt_f32_f16_e32 v20, v61
	s_waitcnt lgkmcnt(0)
	v_lshl_add_u64 v[0:1], v[32:33], 1, s[14:15]
	v_pack_b32_f16 v3, v2, v3
	v_pack_b32_f16 v2, v22, v4
	global_store_dwordx2 v[0:1], v[2:3], off
	v_add_f32_e32 v0, v5, v20
	v_cvt_f16_f32_e32 v2, v0
	s_waitcnt vmcnt(15)
	v_cvt_f32_f16_e32 v3, v59
	v_lshl_add_u64 v[0:1], v[34:35], 1, s[14:15]
	s_waitcnt vmcnt(11)
	v_cvt_f32_f16_e32 v4, v60
	global_store_short v[0:1], v2, off
	v_add_f32_e32 v0, v9, v3
	v_cvt_f16_f32_e32 v2, v0
	v_cvt_f32_f16_e32 v3, v57
	v_add_u32_e32 v0, 1, v34
	v_mov_b32_e32 v1, v35
	v_lshl_add_u64 v[0:1], v[0:1], 1, s[14:15]
	global_store_short v[0:1], v2, off
	v_add_f32_e32 v0, v6, v3
	v_cvt_f16_f32_e32 v2, v0
	v_cvt_f32_f16_e32 v3, v55
	v_add_u32_e32 v0, 2, v34
	v_mov_b32_e32 v1, v35
	v_lshl_add_u64 v[0:1], v[0:1], 1, s[14:15]
	global_store_short v[0:1], v2, off
	v_add_f32_e32 v0, v7, v3
	v_cvt_f16_f32_e32 v2, v0
	v_cvt_f32_f16_e32 v3, v62
	v_add_u32_e32 v0, 3, v34
	v_mov_b32_e32 v1, v35
	v_add_f32_e32 v8, v15, v8
	v_lshl_add_u64 v[0:1], v[0:1], 1, s[14:15]
	global_store_short v[0:1], v2, off
	v_add_f32_e32 v0, v8, v3
	v_cvt_f16_f32_e32 v2, v0
	v_add_f32_e32 v0, v13, v4
	v_cvt_f16_f32_e32 v3, v0
	s_waitcnt vmcnt(14)
	v_cvt_f32_f16_e32 v4, v58
	v_add_u32_e32 v34, s7, v34
	v_add_f32_e32 v10, v19, v10
	v_lshl_add_u64 v[0:1], v[34:35], 1, s[14:15]
	v_pack_b32_f16 v2, v2, v3
	global_store_dword v[0:1], v2, off
	v_add_f32_e32 v0, v10, v4
	v_cvt_f16_f32_e32 v2, v0
	s_waitcnt vmcnt(14)
	v_cvt_f32_f16_e32 v3, v56
	v_add_u32_e32 v0, 2, v34
	v_mov_b32_e32 v1, v35
	v_lshl_add_u64 v[0:1], v[0:1], 1, s[14:15]
	v_cvt_f32_i32_e32 v12, v26
	global_store_short v[0:1], v2, off
	v_add_f32_e32 v0, v11, v3
	v_cvt_f16_f32_e32 v2, v0
	s_waitcnt vmcnt(14)
	v_cvt_f32_f16_e32 v3, v54
	v_add_u32_e32 v0, 3, v34
	v_mov_b32_e32 v1, v35
	v_add_f32_e32 v12, v24, v12
	v_lshl_add_u64 v[0:1], v[0:1], 1, s[14:15]
	global_store_short v[0:1], v2, off
	v_add_f32_e32 v0, v12, v3
	v_cvt_f16_f32_e32 v2, v0
	s_waitcnt vmcnt(14)
	v_cvt_f32_f16_e32 v3, v53
	v_add_u32_e32 v34, s7, v34
	v_lshl_add_u64 v[0:1], v[34:35], 1, s[14:15]
	v_cvt_f32_i32_e32 v14, v30
	global_store_short v[0:1], v2, off
	v_add_f32_e32 v0, v17, v3
	v_cvt_f16_f32_e32 v2, v0
	s_waitcnt vmcnt(14)
	v_cvt_f32_f16_e32 v3, v52
	v_add_u32_e32 v0, 1, v34
	v_mov_b32_e32 v1, v35
	v_add_f32_e32 v14, v27, v14
	v_lshl_add_u64 v[0:1], v[0:1], 1, s[14:15]
	v_cvt_f32_i32_e32 v15, v31
	global_store_short v[0:1], v2, off
	v_add_f32_e32 v0, v14, v3
	v_cvt_f16_f32_e32 v2, v0
	s_waitcnt vmcnt(14)
	v_cvt_f32_f16_e32 v3, v46
	v_add_u32_e32 v0, 2, v34
	v_mov_b32_e32 v1, v35
	v_add_f32_e32 v15, v29, v15
	;; [unrolled: 10-line block ×3, first 2 shown]
	v_lshl_add_u64 v[0:1], v[0:1], 1, s[14:15]
	v_cvt_f32_i32_e32 v18, v41
	v_cvt_f32_i32_e32 v19, v40
	global_store_short v[0:1], v2, off
	v_add_f32_e32 v0, v16, v3
	s_waitcnt vmcnt(14)
	v_cvt_f32_f16_e32 v1, v47
	s_waitcnt vmcnt(13)
	v_cvt_f32_f16_e32 v2, v45
	v_cvt_f16_f32_e32 v4, v0
	s_waitcnt vmcnt(12)
	v_cvt_f32_f16_e32 v0, v44
	v_add_f32_e32 v18, v38, v18
	v_add_f32_e32 v19, v39, v19
	;; [unrolled: 1-line block ×5, first 2 shown]
	v_cvt_f16_f32_e32 v2, v2
	v_cvt_f16_f32_e32 v3, v0
	;; [unrolled: 1-line block ×3, first 2 shown]
	v_add_u32_e32 v34, s7, v34
	v_lshl_add_u64 v[0:1], v[34:35], 1, s[14:15]
	v_pack_b32_f16 v3, v2, v3
	v_pack_b32_f16 v2, v4, v5
	global_store_dwordx2 v[0:1], v[2:3], off
.LBB152_7:                              ;   in Loop: Header=BB152_8 Depth=1
	s_or_b64 exec, exec, s[20:21]
	v_add_u32_e32 v32, s9, v32
	v_cmp_le_u32_e32 vcc, s7, v32
	s_or_b64 s[16:17], vcc, s[16:17]
	s_andn2_b64 exec, exec, s[16:17]
	s_cbranch_execz .LBB152_18
.LBB152_8:                              ; =>This Loop Header: Depth=1
                                        ;     Child Loop BB152_11 Depth 2
	s_mov_b32 s22, 0
	s_and_b64 vcc, exec, s[2:3]
	v_mov_b32_e32 v69, v35
	v_mov_b32_e32 v68, v35
	;; [unrolled: 1-line block ×20, first 2 shown]
	s_cbranch_vccnz .LBB152_13
; %bb.9:                                ;   in Loop: Header=BB152_8 Depth=1
	v_min_u32_e32 v0, s25, v32
	v_mul_lo_u32 v36, v0, s5
	v_or_b32_e32 v0, 1, v32
	v_min_u32_e32 v0, s25, v0
	v_mul_lo_u32 v38, v0, s5
	v_or_b32_e32 v0, 2, v32
	;; [unrolled: 3-line block ×3, first 2 shown]
	v_min_u32_e32 v0, s25, v0
	v_mov_b32_e32 v37, v35
	v_mov_b32_e32 v39, v35
	;; [unrolled: 1-line block ×3, first 2 shown]
	v_mul_lo_u32 v42, v0, s5
	v_mov_b32_e32 v43, v35
	v_mov_b32_e32 v65, 0
	;; [unrolled: 1-line block ×22, first 2 shown]
	s_branch .LBB152_11
.LBB152_10:                             ;   in Loop: Header=BB152_11 Depth=2
	s_or_b64 exec, exec, s[20:21]
	s_waitcnt vmcnt(3) lgkmcnt(1)
	;;#ASMSTART
	v_dot2c_f32_f16 v69, v28, v12
	;;#ASMEND
	s_waitcnt vmcnt(2)
	;;#ASMSTART
	v_dot2c_f32_f16 v68, v28, v8
	;;#ASMEND
	s_waitcnt vmcnt(1)
	;; [unrolled: 4-line block ×3, first 2 shown]
	;;#ASMSTART
	v_dot2c_f32_f16 v66, v28, v0
	;;#ASMEND
	;;#ASMSTART
	v_dot2c_f32_f16 v65, v24, v12
	;;#ASMEND
	;; [unrolled: 3-line block ×13, first 2 shown]
	s_waitcnt lgkmcnt(0)
	;;#ASMSTART
	v_dot2c_f32_f16 v53, v16, v12
	;;#ASMEND
	;;#ASMSTART
	v_dot2c_f32_f16 v52, v16, v8
	;;#ASMEND
	;; [unrolled: 3-line block ×20, first 2 shown]
	s_nop 0
	;;#ASMSTART
	v_dot2c_f32_f16 v53, v17, v13
	;;#ASMEND
	;;#ASMSTART
	v_dot2c_f32_f16 v52, v17, v9
	;;#ASMEND
	;; [unrolled: 3-line block ×4, first 2 shown]
	s_addk_i32 s22, 0x200
	;;#ASMSTART
	v_dot2c_f32_f16 v69, v30, v14
	;;#ASMEND
	;;#ASMSTART
	v_dot2c_f32_f16 v68, v30, v10
	;;#ASMEND
	;; [unrolled: 3-line block ×20, first 2 shown]
	s_cmp_ge_u32 s22, s4
	v_add_u32_e32 v70, 0x400, v70
	;;#ASMSTART
	v_dot2c_f32_f16 v69, v31, v15
	;;#ASMEND
	;;#ASMSTART
	v_dot2c_f32_f16 v68, v31, v11
	;;#ASMEND
	;; [unrolled: 3-line block ×20, first 2 shown]
	s_cbranch_scc1 .LBB152_13
.LBB152_11:                             ;   Parent Loop BB152_8 Depth=1
                                        ; =>  This Inner Loop Header: Depth=2
	v_add_u32_e32 v20, s22, v48
	v_min_u32_e32 v34, s24, v20
	s_waitcnt lgkmcnt(0)
	v_lshl_add_u64 v[0:1], v[34:35], 1, s[12:13]
	v_lshl_add_u64 v[2:3], v[36:37], 1, v[0:1]
	;; [unrolled: 1-line block ×4, first 2 shown]
	global_load_dwordx4 v[12:15], v[2:3], off nt
	global_load_dwordx4 v[8:11], v[4:5], off nt
	v_lshl_add_u64 v[18:19], v[42:43], 1, v[0:1]
	global_load_dwordx4 v[4:7], v[16:17], off nt
	global_load_dwordx4 v[0:3], v[18:19], off nt
	v_cmp_gt_u32_e32 vcc, s4, v20
	v_mov_b32_e32 v28, 0
	v_mov_b32_e32 v29, 0
	;; [unrolled: 1-line block ×20, first 2 shown]
	s_and_saveexec_b64 s[20:21], vcc
	s_cbranch_execz .LBB152_10
; %bb.12:                               ;   in Loop: Header=BB152_11 Depth=2
	v_add_u32_e32 v16, s6, v70
	v_add_u32_e32 v17, s33, v70
	ds_read_b128 v[24:27], v16
	ds_read2_b32 v[44:45], v17 offset1:1
	v_add_u32_e32 v16, s31, v70
	ds_read2_b32 v[46:47], v17 offset0:2 offset1:3
	ds_read_b128 v[20:23], v16
	v_add_u32_e32 v16, s30, v70
	ds_read_b128 v[28:31], v70
	ds_read2_b64 v[16:19], v16 offset1:1
	s_branch .LBB152_10
.LBB152_13:                             ;   in Loop: Header=BB152_8 Depth=1
	; sched_barrier mask(0x00000000)
	v_cvt_i32_f32_e32 v0, v69
	v_cvt_i32_f32_e32 v1, v68
	;; [unrolled: 1-line block ×4, first 2 shown]
	v_cvt_f32_i32_dpp v0, v0 row_shr:8 row_mask:0xf bank_mask:0xf bound_ctrl:1
	v_cvt_f32_i32_dpp v1, v1 row_shr:8 row_mask:0xf bank_mask:0xf bound_ctrl:1
	;; [unrolled: 1-line block ×4, first 2 shown]
	v_add_f32_e32 v0, v69, v0
	v_cvt_i32_f32_e32 v4, v0
	v_add_f32_e32 v1, v68, v1
	v_cvt_i32_f32_e32 v5, v1
	v_add_f32_e32 v2, v67, v2
	v_cvt_f32_i32_dpp v4, v4 row_shr:4 row_mask:0xf bank_mask:0xf bound_ctrl:1
	v_cvt_i32_f32_e32 v6, v2
	v_cvt_f32_i32_dpp v5, v5 row_shr:4 row_mask:0xf bank_mask:0xf bound_ctrl:1
	v_add_f32_e32 v3, v66, v3
	v_add_f32_e32 v0, v0, v4
	v_cvt_i32_f32_e32 v4, v0
	v_add_f32_e32 v1, v1, v5
	v_cvt_i32_f32_e32 v5, v1
	v_cvt_f32_i32_dpp v6, v6 row_shr:4 row_mask:0xf bank_mask:0xf bound_ctrl:1
	v_cvt_f32_i32_dpp v4, v4 row_shr:2 row_mask:0xf bank_mask:0xf bound_ctrl:1
	v_cvt_i32_f32_e32 v7, v3
	v_cvt_f32_i32_dpp v5, v5 row_shr:2 row_mask:0xf bank_mask:0xf bound_ctrl:1
	v_add_f32_e32 v2, v2, v6
	v_add_f32_e32 v0, v0, v4
	v_cvt_i32_f32_e32 v4, v0
	v_add_f32_e32 v1, v1, v5
	v_cvt_i32_f32_e32 v5, v1
	v_cvt_i32_f32_e32 v6, v2
	v_cvt_f32_i32_dpp v4, v4 row_shr:1 row_mask:0xf bank_mask:0xf bound_ctrl:1
	v_cvt_f32_i32_dpp v7, v7 row_shr:4 row_mask:0xf bank_mask:0xf bound_ctrl:1
	;; [unrolled: 1-line block ×4, first 2 shown]
	v_add_f32_e32 v0, v0, v4
	v_cvt_i32_f32_e32 v4, v0
	v_add_f32_e32 v1, v1, v5
	v_cvt_i32_f32_e32 v5, v1
	v_add_f32_e32 v6, v2, v6
	v_cvt_f32_i32_dpp v4, v4 row_bcast:15 row_mask:0xf bank_mask:0xf bound_ctrl:1
	v_cvt_i32_f32_e32 v2, v6
	v_cvt_f32_i32_dpp v5, v5 row_bcast:15 row_mask:0xf bank_mask:0xf bound_ctrl:1
	v_add_f32_e32 v3, v3, v7
	v_add_f32_e32 v0, v0, v4
	v_cvt_i32_f32_e32 v4, v0
	v_cvt_f32_i32_dpp v7, v2 row_shr:1 row_mask:0xf bank_mask:0xf bound_ctrl:1
	v_add_f32_e32 v1, v1, v5
	v_cvt_i32_f32_e32 v5, v1
	v_mov_b32_dpp v2, v4 row_bcast:31 row_mask:0xf bank_mask:0xf bound_ctrl:1
	v_cvt_i32_f32_e32 v4, v3
	v_add_f32_e32 v6, v6, v7
	v_cvt_i32_f32_e32 v7, v65
	v_cvt_i32_f32_e32 v8, v6
	v_cvt_f32_i32_dpp v9, v4 row_shr:2 row_mask:0xf bank_mask:0xf bound_ctrl:1
	v_mov_b32_dpp v4, v5 row_bcast:31 row_mask:0xf bank_mask:0xf bound_ctrl:1
	v_cvt_f32_i32_dpp v5, v7 row_shr:8 row_mask:0xf bank_mask:0xf bound_ctrl:1
	v_cvt_f32_i32_dpp v7, v8 row_bcast:15 row_mask:0xf bank_mask:0xf bound_ctrl:1
	v_add_f32_e32 v8, v3, v9
	v_cvt_i32_f32_e32 v9, v8
	v_add_f32_e32 v5, v65, v5
	v_cvt_i32_f32_e32 v10, v5
	v_add_f32_e32 v3, v6, v7
	v_cvt_f32_i32_dpp v6, v9 row_shr:1 row_mask:0xf bank_mask:0xf bound_ctrl:1
	v_cvt_i32_f32_e32 v7, v64
	v_cvt_f32_i32_dpp v9, v10 row_shr:4 row_mask:0xf bank_mask:0xf bound_ctrl:1
	v_cvt_i32_f32_e32 v10, v3
	v_add_f32_e32 v8, v8, v6
	v_cvt_f32_i32_dpp v6, v7 row_shr:8 row_mask:0xf bank_mask:0xf bound_ctrl:1
	v_add_f32_e32 v5, v5, v9
	v_cvt_i32_f32_e32 v7, v5
	v_cvt_i32_f32_e32 v9, v8
	v_add_f32_e32 v11, v64, v6
	v_cvt_i32_f32_e32 v12, v11
	v_cvt_f32_i32_dpp v7, v7 row_shr:2 row_mask:0xf bank_mask:0xf bound_ctrl:1
	v_mov_b32_dpp v6, v10 row_bcast:31 row_mask:0xf bank_mask:0xf bound_ctrl:1
	v_cvt_f32_i32_dpp v9, v9 row_bcast:15 row_mask:0xf bank_mask:0xf bound_ctrl:1
	v_cvt_f32_i32_dpp v10, v12 row_shr:4 row_mask:0xf bank_mask:0xf bound_ctrl:1
	v_add_f32_e32 v7, v5, v7
	v_cvt_i32_f32_e32 v12, v7
	v_add_f32_e32 v5, v8, v9
	v_add_f32_e32 v8, v11, v10
	v_cvt_i32_f32_e32 v9, v8
	v_cvt_f32_i32_dpp v10, v12 row_shr:1 row_mask:0xf bank_mask:0xf bound_ctrl:1
	v_cvt_i32_f32_e32 v11, v63
	v_cvt_i32_f32_e32 v12, v5
	v_cvt_f32_i32_dpp v9, v9 row_shr:2 row_mask:0xf bank_mask:0xf bound_ctrl:1
	v_add_f32_e32 v7, v7, v10
	v_cvt_f32_i32_dpp v10, v11 row_shr:8 row_mask:0xf bank_mask:0xf bound_ctrl:1
	v_cvt_i32_f32_e32 v11, v7
	v_add_f32_e32 v9, v8, v9
	v_cvt_i32_f32_e32 v8, v9
	v_add_f32_e32 v10, v63, v10
	v_cvt_i32_f32_e32 v13, v10
	v_cvt_f32_i32_dpp v11, v11 row_bcast:15 row_mask:0xf bank_mask:0xf bound_ctrl:1
	v_cvt_f32_i32_dpp v14, v8 row_shr:1 row_mask:0xf bank_mask:0xf bound_ctrl:1
	v_mov_b32_dpp v8, v12 row_bcast:31 row_mask:0xf bank_mask:0xf bound_ctrl:1
	v_cvt_f32_i32_dpp v12, v13 row_shr:4 row_mask:0xf bank_mask:0xf bound_ctrl:1
	v_add_f32_e32 v7, v7, v11
	v_cvt_i32_f32_e32 v11, v62
	v_add_f32_e32 v9, v9, v14
	v_add_f32_e32 v10, v10, v12
	v_cvt_i32_f32_e32 v12, v10
	v_cvt_f32_i32_dpp v11, v11 row_shr:8 row_mask:0xf bank_mask:0xf bound_ctrl:1
	v_cvt_i32_f32_e32 v14, v7
	v_cvt_i32_f32_e32 v13, v9
	v_cvt_f32_i32_dpp v12, v12 row_shr:2 row_mask:0xf bank_mask:0xf bound_ctrl:1
	v_add_f32_e32 v11, v62, v11
	v_cvt_i32_f32_e32 v15, v11
	v_cvt_f32_i32_dpp v13, v13 row_bcast:15 row_mask:0xf bank_mask:0xf bound_ctrl:1
	v_add_f32_e32 v12, v10, v12
	v_mov_b32_dpp v10, v14 row_bcast:31 row_mask:0xf bank_mask:0xf bound_ctrl:1
	v_cvt_f32_i32_dpp v14, v15 row_shr:4 row_mask:0xf bank_mask:0xf bound_ctrl:1
	v_cvt_i32_f32_e32 v16, v12
	v_add_f32_e32 v9, v9, v13
	v_cvt_i32_f32_e32 v15, v9
	v_add_f32_e32 v11, v11, v14
	v_cvt_f32_i32_dpp v13, v16 row_shr:1 row_mask:0xf bank_mask:0xf bound_ctrl:1
	v_cvt_i32_f32_e32 v14, v11
	v_cvt_i32_f32_e32 v16, v61
	v_cvt_i32_f32_e32 v30, v54
	v_add_f32_e32 v13, v12, v13
	v_cvt_f32_i32_dpp v14, v14 row_shr:2 row_mask:0xf bank_mask:0xf bound_ctrl:1
	v_cvt_i32_f32_e32 v17, v13
	v_mov_b32_dpp v12, v15 row_bcast:31 row_mask:0xf bank_mask:0xf bound_ctrl:1
	v_cvt_f32_i32_dpp v15, v16 row_shr:8 row_mask:0xf bank_mask:0xf bound_ctrl:1
	v_add_f32_e32 v14, v11, v14
	v_cvt_f32_i32_dpp v16, v17 row_bcast:15 row_mask:0xf bank_mask:0xf bound_ctrl:1
	v_cvt_i32_f32_e32 v17, v14
	v_add_f32_e32 v15, v61, v15
	v_cvt_i32_f32_e32 v18, v15
	v_add_f32_e32 v11, v13, v16
	v_cvt_f32_i32_dpp v13, v17 row_shr:1 row_mask:0xf bank_mask:0xf bound_ctrl:1
	v_cvt_i32_f32_e32 v16, v60
	v_cvt_f32_i32_dpp v17, v18 row_shr:4 row_mask:0xf bank_mask:0xf bound_ctrl:1
	v_cvt_i32_f32_e32 v18, v11
	v_add_f32_e32 v13, v14, v13
	v_cvt_f32_i32_dpp v14, v16 row_shr:8 row_mask:0xf bank_mask:0xf bound_ctrl:1
	v_add_f32_e32 v15, v15, v17
	v_cvt_i32_f32_e32 v16, v15
	v_cvt_i32_f32_e32 v17, v13
	v_add_f32_e32 v19, v60, v14
	v_cvt_i32_f32_e32 v20, v19
	v_cvt_f32_i32_dpp v16, v16 row_shr:2 row_mask:0xf bank_mask:0xf bound_ctrl:1
	v_mov_b32_dpp v14, v18 row_bcast:31 row_mask:0xf bank_mask:0xf bound_ctrl:1
	v_cvt_f32_i32_dpp v17, v17 row_bcast:15 row_mask:0xf bank_mask:0xf bound_ctrl:1
	v_cvt_f32_i32_dpp v18, v20 row_shr:4 row_mask:0xf bank_mask:0xf bound_ctrl:1
	v_add_f32_e32 v15, v15, v16
	v_cvt_i32_f32_e32 v16, v15
	v_add_f32_e32 v13, v13, v17
	v_add_f32_e32 v17, v19, v18
	v_cvt_i32_f32_e32 v18, v17
	v_cvt_f32_i32_dpp v16, v16 row_shr:1 row_mask:0xf bank_mask:0xf bound_ctrl:1
	v_cvt_i32_f32_e32 v19, v59
	v_cvt_i32_f32_e32 v20, v13
	v_cvt_f32_i32_dpp v18, v18 row_shr:2 row_mask:0xf bank_mask:0xf bound_ctrl:1
	v_add_f32_e32 v15, v15, v16
	v_cvt_f32_i32_dpp v16, v19 row_shr:8 row_mask:0xf bank_mask:0xf bound_ctrl:1
	v_cvt_i32_f32_e32 v19, v15
	v_add_f32_e32 v17, v17, v18
	v_cvt_i32_f32_e32 v18, v17
	v_add_f32_e32 v21, v59, v16
	v_cvt_i32_f32_e32 v22, v21
	v_cvt_f32_i32_dpp v19, v19 row_bcast:15 row_mask:0xf bank_mask:0xf bound_ctrl:1
	v_cvt_f32_i32_dpp v18, v18 row_shr:1 row_mask:0xf bank_mask:0xf bound_ctrl:1
	v_mov_b32_dpp v16, v20 row_bcast:31 row_mask:0xf bank_mask:0xf bound_ctrl:1
	v_cvt_f32_i32_dpp v20, v22 row_shr:4 row_mask:0xf bank_mask:0xf bound_ctrl:1
	v_add_f32_e32 v15, v15, v19
	v_add_f32_e32 v17, v17, v18
	v_cvt_i32_f32_e32 v18, v58
	v_add_f32_e32 v19, v21, v20
	v_cvt_i32_f32_e32 v20, v19
	v_cvt_i32_f32_e32 v21, v17
	v_cvt_f32_i32_dpp v18, v18 row_shr:8 row_mask:0xf bank_mask:0xf bound_ctrl:1
	v_cvt_i32_f32_e32 v22, v15
	v_cvt_f32_i32_dpp v20, v20 row_shr:2 row_mask:0xf bank_mask:0xf bound_ctrl:1
	v_cvt_f32_i32_dpp v21, v21 row_bcast:15 row_mask:0xf bank_mask:0xf bound_ctrl:1
	v_add_f32_e32 v23, v58, v18
	v_cvt_i32_f32_e32 v24, v23
	v_add_f32_e32 v19, v19, v20
	v_mov_b32_dpp v18, v22 row_bcast:31 row_mask:0xf bank_mask:0xf bound_ctrl:1
	v_cvt_i32_f32_e32 v20, v19
	v_cvt_f32_i32_dpp v22, v24 row_shr:4 row_mask:0xf bank_mask:0xf bound_ctrl:1
	v_add_f32_e32 v17, v17, v21
	v_cvt_i32_f32_e32 v21, v57
	v_cvt_f32_i32_dpp v20, v20 row_shr:1 row_mask:0xf bank_mask:0xf bound_ctrl:1
	v_add_f32_e32 v22, v23, v22
	;; [unrolled: 3-line block ×4, first 2 shown]
	v_cvt_i32_f32_e32 v25, v21
	v_cvt_i32_f32_e32 v23, v19
	v_add_f32_e32 v22, v22, v20
	v_cvt_i32_f32_e32 v26, v22
	v_cvt_f32_i32_dpp v25, v25 row_shr:4 row_mask:0xf bank_mask:0xf bound_ctrl:1
	v_cvt_f32_i32_dpp v23, v23 row_bcast:15 row_mask:0xf bank_mask:0xf bound_ctrl:1
	v_mov_b32_dpp v20, v24 row_bcast:31 row_mask:0xf bank_mask:0xf bound_ctrl:1
	v_cvt_f32_i32_dpp v24, v26 row_shr:1 row_mask:0xf bank_mask:0xf bound_ctrl:1
	v_add_f32_e32 v21, v21, v25
	v_add_f32_e32 v19, v19, v23
	v_cvt_i32_f32_e32 v23, v21
	v_add_f32_e32 v24, v22, v24
	v_cvt_i32_f32_e32 v22, v56
	v_cvt_i32_f32_e32 v25, v24
	v_cvt_f32_i32_dpp v23, v23 row_shr:2 row_mask:0xf bank_mask:0xf bound_ctrl:1
	v_cvt_i32_f32_e32 v26, v19
	v_cvt_f32_i32_dpp v22, v22 row_shr:8 row_mask:0xf bank_mask:0xf bound_ctrl:1
	v_cvt_f32_i32_dpp v25, v25 row_bcast:15 row_mask:0xf bank_mask:0xf bound_ctrl:1
	v_add_f32_e32 v23, v21, v23
	v_cvt_i32_f32_e32 v21, v23
	v_add_f32_e32 v27, v56, v22
	v_cvt_i32_f32_e32 v28, v27
	v_mov_b32_dpp v22, v26 row_bcast:31 row_mask:0xf bank_mask:0xf bound_ctrl:1
	v_cvt_f32_i32_dpp v26, v21 row_shr:1 row_mask:0xf bank_mask:0xf bound_ctrl:1
	v_add_f32_e32 v21, v24, v25
	v_cvt_f32_i32_dpp v24, v28 row_shr:4 row_mask:0xf bank_mask:0xf bound_ctrl:1
	v_cvt_i32_f32_e32 v25, v21
	v_add_f32_e32 v26, v23, v26
	v_cvt_i32_f32_e32 v23, v55
	v_add_f32_e32 v24, v27, v24
	v_cvt_i32_f32_e32 v27, v24
	v_cvt_i32_f32_e32 v28, v26
	v_cvt_f32_i32_dpp v29, v23 row_shr:8 row_mask:0xf bank_mask:0xf bound_ctrl:1
	v_mov_b32_dpp v23, v25 row_bcast:31 row_mask:0xf bank_mask:0xf bound_ctrl:1
	v_cvt_f32_i32_dpp v25, v27 row_shr:2 row_mask:0xf bank_mask:0xf bound_ctrl:1
	v_cvt_f32_i32_dpp v27, v28 row_bcast:15 row_mask:0xf bank_mask:0xf bound_ctrl:1
	v_add_f32_e32 v28, v55, v29
	v_cvt_i32_f32_e32 v29, v28
	v_add_f32_e32 v25, v24, v25
	v_add_f32_e32 v24, v26, v27
	v_cvt_f32_i32_dpp v26, v30 row_shr:8 row_mask:0xf bank_mask:0xf bound_ctrl:1
	v_cvt_f32_i32_dpp v29, v29 row_shr:4 row_mask:0xf bank_mask:0xf bound_ctrl:1
	v_cvt_i32_f32_e32 v31, v25
	v_add_f32_e32 v26, v54, v26
	v_add_f32_e32 v28, v28, v29
	v_cvt_i32_f32_e32 v29, v28
	v_cvt_f32_i32_dpp v27, v31 row_shr:1 row_mask:0xf bank_mask:0xf bound_ctrl:1
	v_cvt_i32_f32_e32 v30, v26
	v_cvt_i32_f32_e32 v31, v24
	v_cvt_f32_i32_dpp v29, v29 row_shr:2 row_mask:0xf bank_mask:0xf bound_ctrl:1
	v_add_f32_e32 v25, v25, v27
	v_cvt_f32_i32_dpp v27, v30 row_shr:4 row_mask:0xf bank_mask:0xf bound_ctrl:1
	v_cvt_i32_f32_e32 v30, v25
	v_add_f32_e32 v28, v28, v29
	v_cvt_i32_f32_e32 v29, v28
	v_add_f32_e32 v27, v26, v27
	v_cvt_i32_f32_e32 v34, v27
	v_mov_b32_dpp v26, v31 row_bcast:31 row_mask:0xf bank_mask:0xf bound_ctrl:1
	v_cvt_f32_i32_dpp v29, v29 row_shr:1 row_mask:0xf bank_mask:0xf bound_ctrl:1
	v_cvt_f32_i32_dpp v30, v30 row_bcast:15 row_mask:0xf bank_mask:0xf bound_ctrl:1
	v_cvt_f32_i32_dpp v31, v34 row_shr:2 row_mask:0xf bank_mask:0xf bound_ctrl:1
	v_add_f32_e32 v29, v28, v29
	v_cvt_i32_f32_e32 v28, v53
	v_add_f32_e32 v27, v27, v31
	v_add_f32_e32 v25, v25, v30
	v_cvt_i32_f32_e32 v30, v27
	v_cvt_f32_i32_dpp v28, v28 row_shr:8 row_mask:0xf bank_mask:0xf bound_ctrl:1
	v_cvt_i32_f32_e32 v31, v29
	v_cvt_i32_f32_e32 v34, v25
	v_cvt_f32_i32_dpp v30, v30 row_shr:1 row_mask:0xf bank_mask:0xf bound_ctrl:1
	v_add_f32_e32 v36, v53, v28
	v_cvt_i32_f32_e32 v37, v36
	v_cvt_f32_i32_dpp v31, v31 row_bcast:15 row_mask:0xf bank_mask:0xf bound_ctrl:1
	v_add_f32_e32 v30, v27, v30
	v_mov_b32_dpp v28, v34 row_bcast:31 row_mask:0xf bank_mask:0xf bound_ctrl:1
	v_cvt_f32_i32_dpp v34, v37 row_shr:4 row_mask:0xf bank_mask:0xf bound_ctrl:1
	v_cvt_i32_f32_e32 v38, v30
	v_add_f32_e32 v27, v29, v31
	v_cvt_i32_f32_e32 v31, v52
	v_add_f32_e32 v34, v36, v34
	v_cvt_f32_i32_dpp v29, v38 row_bcast:15 row_mask:0xf bank_mask:0xf bound_ctrl:1
	v_cvt_i32_f32_e32 v36, v34
	v_cvt_f32_i32_dpp v31, v31 row_shr:8 row_mask:0xf bank_mask:0xf bound_ctrl:1
	v_cvt_i32_f32_e32 v37, v27
	v_add_f32_e32 v29, v30, v29
	v_cvt_f32_i32_dpp v30, v36 row_shr:2 row_mask:0xf bank_mask:0xf bound_ctrl:1
	v_add_f32_e32 v38, v52, v31
	v_cvt_i32_f32_e32 v31, v38
	v_cvt_i32_f32_e32 v36, v29
	v_add_f32_e32 v34, v34, v30
	v_cvt_i32_f32_e32 v39, v34
	v_mov_b32_dpp v30, v37 row_bcast:31 row_mask:0xf bank_mask:0xf bound_ctrl:1
	v_cvt_f32_i32_dpp v37, v31 row_shr:4 row_mask:0xf bank_mask:0xf bound_ctrl:1
	v_mov_b32_dpp v31, v36 row_bcast:31 row_mask:0xf bank_mask:0xf bound_ctrl:1
	v_cvt_f32_i32_dpp v36, v39 row_shr:1 row_mask:0xf bank_mask:0xf bound_ctrl:1
	v_cvt_i32_f32_e32 v39, v51
	v_add_f32_e32 v37, v38, v37
	v_cvt_i32_f32_e32 v38, v33
	v_add_f32_e32 v34, v34, v36
	v_cvt_f32_i32_dpp v39, v39 row_shr:8 row_mask:0xf bank_mask:0xf bound_ctrl:1
	v_cvt_i32_f32_e32 v40, v37
	v_cvt_f32_i32_dpp v36, v38 row_shr:8 row_mask:0xf bank_mask:0xf bound_ctrl:1
	v_cvt_i32_f32_e32 v41, v34
	v_add_f32_e32 v39, v51, v39
	v_cvt_f32_i32_dpp v38, v40 row_shr:2 row_mask:0xf bank_mask:0xf bound_ctrl:1
	v_add_f32_e32 v33, v33, v36
	v_cvt_i32_f32_e32 v40, v39
	v_cvt_i32_f32_e32 v36, v33
	v_add_f32_e32 v37, v37, v38
	v_cvt_i32_f32_e32 v38, v37
	v_cvt_f32_i32_dpp v40, v40 row_shr:4 row_mask:0xf bank_mask:0xf bound_ctrl:1
	v_cvt_f32_i32_dpp v36, v36 row_shr:4 row_mask:0xf bank_mask:0xf bound_ctrl:1
	v_cvt_f32_i32_dpp v41, v41 row_bcast:15 row_mask:0xf bank_mask:0xf bound_ctrl:1
	v_cvt_f32_i32_dpp v38, v38 row_shr:1 row_mask:0xf bank_mask:0xf bound_ctrl:1
	v_add_f32_e32 v39, v39, v40
	v_add_f32_e32 v33, v33, v36
	v_cvt_i32_f32_e32 v40, v39
	v_cvt_i32_f32_e32 v36, v33
	v_add_f32_e32 v37, v37, v38
	v_cvt_i32_f32_e32 v42, v37
	v_cvt_f32_i32_dpp v40, v40 row_shr:2 row_mask:0xf bank_mask:0xf bound_ctrl:1
	v_cvt_f32_i32_dpp v36, v36 row_shr:2 row_mask:0xf bank_mask:0xf bound_ctrl:1
	v_add_f32_e32 v38, v39, v40
	v_add_f32_e32 v33, v33, v36
	v_cvt_i32_f32_e32 v39, v38
	v_cvt_i32_f32_e32 v40, v33
	v_add_f32_e32 v36, v34, v41
	v_cvt_i32_f32_e32 v41, v36
	v_cvt_f32_i32_dpp v39, v39 row_shr:1 row_mask:0xf bank_mask:0xf bound_ctrl:1
	v_cvt_f32_i32_dpp v34, v40 row_shr:1 row_mask:0xf bank_mask:0xf bound_ctrl:1
	v_cvt_f32_i32_dpp v40, v42 row_bcast:15 row_mask:0xf bank_mask:0xf bound_ctrl:1
	v_mov_b32_dpp v43, v41 row_bcast:31 row_mask:0xf bank_mask:0xf bound_ctrl:1
	v_add_f32_e32 v38, v38, v39
	v_add_f32_e32 v33, v33, v34
	v_cvt_i32_f32_e32 v39, v38
	v_cvt_i32_f32_e32 v34, v33
	v_add_f32_e32 v37, v37, v40
	v_cvt_i32_f32_e32 v40, v37
	v_cvt_f32_i32_dpp v39, v39 row_bcast:15 row_mask:0xf bank_mask:0xf bound_ctrl:1
	v_cvt_f32_i32_dpp v34, v34 row_bcast:15 row_mask:0xf bank_mask:0xf bound_ctrl:1
	v_mov_b32_dpp v42, v40 row_bcast:31 row_mask:0xf bank_mask:0xf bound_ctrl:1
	v_add_f32_e32 v38, v38, v39
	v_add_f32_e32 v39, v33, v34
	v_cvt_i32_f32_e32 v44, v38
	v_cvt_i32_f32_e32 v33, v39
	s_nop 0
	v_mov_b32_dpp v41, v44 row_bcast:31 row_mask:0xf bank_mask:0xf bound_ctrl:1
	v_mov_b32_dpp v40, v33 row_bcast:31 row_mask:0xf bank_mask:0xf bound_ctrl:1
	s_and_saveexec_b64 s[20:21], s[0:1]
	s_cbranch_execz .LBB152_7
; %bb.14:                               ;   in Loop: Header=BB152_8 Depth=1
	s_and_b64 vcc, exec, s[18:19]
	s_cbranch_vccz .LBB152_16
; %bb.15:                               ;   in Loop: Header=BB152_8 Depth=1
	v_mul_hi_u32 v33, v32, v49
	v_mul_lo_u32 v33, v33, s8
	v_sub_u32_e32 v33, v32, v33
	v_subrev_u32_e32 v34, s8, v33
	v_cmp_le_u32_e32 vcc, s8, v33
	v_mov_b32_e32 v59, v35
	v_mov_b32_e32 v69, v35
	v_cndmask_b32_e32 v33, v33, v34, vcc
	v_subrev_u32_e32 v34, s8, v33
	v_cmp_le_u32_e32 vcc, s8, v33
	v_mov_b32_e32 v71, v35
	v_mov_b32_e32 v73, v35
	v_cndmask_b32_e32 v34, v33, v34, vcc
	v_or_b32_e32 v33, 1, v32
	v_mul_hi_u32 v46, v33, v49
	v_mul_lo_u32 v46, v46, s8
	v_sub_u32_e32 v33, v33, v46
	v_subrev_u32_e32 v46, s8, v33
	v_cmp_le_u32_e32 vcc, s8, v33
	v_add_u32_e32 v56, s26, v34
	v_mov_b32_e32 v57, v35
	v_cndmask_b32_e32 v33, v33, v46, vcc
	v_subrev_u32_e32 v46, s8, v33
	v_cmp_le_u32_e32 vcc, s8, v33
	v_lshl_add_u64 v[44:45], v[34:35], 1, s[10:11]
	v_lshl_add_u64 v[56:57], v[56:57], 1, s[10:11]
	v_cndmask_b32_e32 v68, v33, v46, vcc
	v_or_b32_e32 v33, 2, v32
	v_mul_hi_u32 v51, v33, v49
	v_mul_lo_u32 v51, v51, s8
	v_sub_u32_e32 v33, v33, v51
	v_subrev_u32_e32 v51, s8, v33
	v_cmp_le_u32_e32 vcc, s8, v33
	v_add_u32_e32 v58, s26, v68
	v_lshl_add_u64 v[74:75], v[58:59], 1, s[10:11]
	v_cndmask_b32_e32 v33, v33, v51, vcc
	v_subrev_u32_e32 v51, s8, v33
	v_cmp_le_u32_e32 vcc, s8, v33
	v_lshl_add_u64 v[46:47], v[68:69], 1, s[10:11]
	v_mov_b32_e32 v81, v35
	v_cndmask_b32_e32 v70, v33, v51, vcc
	v_or_b32_e32 v33, 3, v32
	v_mul_hi_u32 v51, v33, v49
	v_mul_lo_u32 v51, v51, s8
	v_sub_u32_e32 v33, v33, v51
	v_subrev_u32_e32 v51, s8, v33
	v_cmp_le_u32_e32 vcc, s8, v33
	v_add_u32_e32 v58, s26, v70
	v_lshl_add_u64 v[52:53], v[70:71], 1, s[10:11]
	v_cndmask_b32_e32 v33, v33, v51, vcc
	v_subrev_u32_e32 v51, s8, v33
	v_cmp_le_u32_e32 vcc, s8, v33
	v_lshl_add_u64 v[76:77], v[58:59], 1, s[10:11]
	v_add_u32_e32 v80, s28, v70
	v_cndmask_b32_e32 v72, v33, v51, vcc
	v_lshl_add_u64 v[54:55], v[72:73], 1, s[10:11]
	v_add_u32_e32 v58, s26, v72
	v_lshl_add_u64 v[78:79], v[58:59], 1, s[10:11]
	global_load_ushort v66, v[44:45], off
	global_load_ushort v65, v[46:47], off
	;; [unrolled: 1-line block ×5, first 2 shown]
                                        ; kill: killed $vgpr56_vgpr57
                                        ; kill: killed $vgpr54_vgpr55
	global_load_ushort v59, v[74:75], off
	s_nop 0
	global_load_ushort v57, v[76:77], off
	global_load_ushort v55, v[78:79], off
	v_add_u32_e32 v44, s27, v34
	v_mov_b32_e32 v45, v35
	v_add_u32_e32 v46, s27, v68
	v_mov_b32_e32 v47, v35
	;; [unrolled: 2-line block ×3, first 2 shown]
	v_lshl_add_u64 v[44:45], v[44:45], 1, s[10:11]
	v_lshl_add_u64 v[46:47], v[46:47], 1, s[10:11]
	v_lshl_add_u64 v[52:53], v[52:53], 1, s[10:11]
	v_add_u32_e32 v74, s27, v72
	v_mov_b32_e32 v75, v35
	v_add_u32_e32 v76, s28, v34
	v_mov_b32_e32 v77, v35
	v_add_u32_e32 v78, s28, v68
	v_mov_b32_e32 v79, v35
	v_add_u32_e32 v82, s28, v72
	v_mov_b32_e32 v83, v35
	v_lshl_add_u64 v[74:75], v[74:75], 1, s[10:11]
	v_lshl_add_u64 v[76:77], v[76:77], 1, s[10:11]
	;; [unrolled: 1-line block ×5, first 2 shown]
	global_load_ushort v62, v[44:45], off
	global_load_ushort v60, v[46:47], off
	;; [unrolled: 1-line block ×5, first 2 shown]
	s_nop 0
	global_load_ushort v53, v[78:79], off
	global_load_ushort v52, v[80:81], off
	;; [unrolled: 1-line block ×3, first 2 shown]
	v_add_u32_e32 v34, s29, v34
	v_lshl_add_u64 v[44:45], v[34:35], 1, s[10:11]
	v_add_u32_e32 v34, s29, v68
	v_lshl_add_u64 v[68:69], v[34:35], 1, s[10:11]
	;; [unrolled: 2-line block ×4, first 2 shown]
	global_load_ushort v51, v[44:45], off
	global_load_ushort v47, v[68:69], off
	s_nop 0
	global_load_ushort v45, v[70:71], off
	global_load_ushort v44, v[72:73], off
	v_mov_b32_e32 v33, v35
	s_cbranch_execnz .LBB152_6
	s_branch .LBB152_17
.LBB152_16:                             ;   in Loop: Header=BB152_8 Depth=1
                                        ; implicit-def: $vgpr44
                                        ; implicit-def: $vgpr45
                                        ; implicit-def: $vgpr47
                                        ; implicit-def: $vgpr51
                                        ; implicit-def: $vgpr46
                                        ; implicit-def: $vgpr52
                                        ; implicit-def: $vgpr53
                                        ; implicit-def: $vgpr54
                                        ; implicit-def: $vgpr56
                                        ; implicit-def: $vgpr58
                                        ; implicit-def: $vgpr60
                                        ; implicit-def: $vgpr62
                                        ; implicit-def: $vgpr55
                                        ; implicit-def: $vgpr57
                                        ; implicit-def: $vgpr59
                                        ; implicit-def: $vgpr61
                                        ; implicit-def: $vgpr63
                                        ; implicit-def: $vgpr64
                                        ; implicit-def: $vgpr65
                                        ; implicit-def: $vgpr66
.LBB152_17:                             ;   in Loop: Header=BB152_8 Depth=1
	v_mov_b32_e32 v33, v35
	s_waitcnt vmcnt(19)
	v_mov_b32_e32 v66, 0
	s_waitcnt vmcnt(18)
	;; [unrolled: 2-line block ×20, first 2 shown]
	v_mov_b32_e32 v44, 0
	s_branch .LBB152_6
.LBB152_18:
	s_endpgm
	.section	.rodata,"a",@progbits
	.p2align	6, 0x0
	.amdhsa_kernel _Z16wvSplitK_hf_sml_I6__halfLi64ELi4ELi16ELi8ELi1ELi5EEviiiiiiPKT_S3_S3_PS1_ii
		.amdhsa_group_segment_fixed_size 65536
		.amdhsa_private_segment_fixed_size 0
		.amdhsa_kernarg_size 64
		.amdhsa_user_sgpr_count 2
		.amdhsa_user_sgpr_dispatch_ptr 0
		.amdhsa_user_sgpr_queue_ptr 0
		.amdhsa_user_sgpr_kernarg_segment_ptr 1
		.amdhsa_user_sgpr_dispatch_id 0
		.amdhsa_user_sgpr_kernarg_preload_length 0
		.amdhsa_user_sgpr_kernarg_preload_offset 0
		.amdhsa_user_sgpr_private_segment_size 0
		.amdhsa_uses_dynamic_stack 0
		.amdhsa_enable_private_segment 0
		.amdhsa_system_sgpr_workgroup_id_x 1
		.amdhsa_system_sgpr_workgroup_id_y 0
		.amdhsa_system_sgpr_workgroup_id_z 0
		.amdhsa_system_sgpr_workgroup_info 0
		.amdhsa_system_vgpr_workitem_id 1
		.amdhsa_next_free_vgpr 84
		.amdhsa_next_free_sgpr 34
		.amdhsa_accum_offset 84
		.amdhsa_reserve_vcc 1
		.amdhsa_float_round_mode_32 0
		.amdhsa_float_round_mode_16_64 0
		.amdhsa_float_denorm_mode_32 3
		.amdhsa_float_denorm_mode_16_64 3
		.amdhsa_dx10_clamp 1
		.amdhsa_ieee_mode 1
		.amdhsa_fp16_overflow 0
		.amdhsa_tg_split 0
		.amdhsa_exception_fp_ieee_invalid_op 0
		.amdhsa_exception_fp_denorm_src 0
		.amdhsa_exception_fp_ieee_div_zero 0
		.amdhsa_exception_fp_ieee_overflow 0
		.amdhsa_exception_fp_ieee_underflow 0
		.amdhsa_exception_fp_ieee_inexact 0
		.amdhsa_exception_int_div_zero 0
	.end_amdhsa_kernel
	.section	.text._Z16wvSplitK_hf_sml_I6__halfLi64ELi4ELi16ELi8ELi1ELi5EEviiiiiiPKT_S3_S3_PS1_ii,"axG",@progbits,_Z16wvSplitK_hf_sml_I6__halfLi64ELi4ELi16ELi8ELi1ELi5EEviiiiiiPKT_S3_S3_PS1_ii,comdat
.Lfunc_end152:
	.size	_Z16wvSplitK_hf_sml_I6__halfLi64ELi4ELi16ELi8ELi1ELi5EEviiiiiiPKT_S3_S3_PS1_ii, .Lfunc_end152-_Z16wvSplitK_hf_sml_I6__halfLi64ELi4ELi16ELi8ELi1ELi5EEviiiiiiPKT_S3_S3_PS1_ii
                                        ; -- End function
	.section	.AMDGPU.csdata,"",@progbits
; Kernel info:
; codeLenInByte = 5284
; NumSgprs: 40
; NumVgprs: 84
; NumAgprs: 0
; TotalNumVgprs: 84
; ScratchSize: 0
; MemoryBound: 0
; FloatMode: 240
; IeeeMode: 1
; LDSByteSize: 65536 bytes/workgroup (compile time only)
; SGPRBlocks: 4
; VGPRBlocks: 10
; NumSGPRsForWavesPerEU: 40
; NumVGPRsForWavesPerEU: 84
; AccumOffset: 84
; Occupancy: 4
; WaveLimiterHint : 0
; COMPUTE_PGM_RSRC2:SCRATCH_EN: 0
; COMPUTE_PGM_RSRC2:USER_SGPR: 2
; COMPUTE_PGM_RSRC2:TRAP_HANDLER: 0
; COMPUTE_PGM_RSRC2:TGID_X_EN: 1
; COMPUTE_PGM_RSRC2:TGID_Y_EN: 0
; COMPUTE_PGM_RSRC2:TGID_Z_EN: 0
; COMPUTE_PGM_RSRC2:TIDIG_COMP_CNT: 1
; COMPUTE_PGM_RSRC3_GFX90A:ACCUM_OFFSET: 20
; COMPUTE_PGM_RSRC3_GFX90A:TG_SPLIT: 0
	.section	.text._Z12wvSplitK_hf_I6__halfLi64ELi4ELi16ELi8ELi1ELi5EEviiiiiiPKT_S3_S3_PS1_ii,"axG",@progbits,_Z12wvSplitK_hf_I6__halfLi64ELi4ELi16ELi8ELi1ELi5EEviiiiiiPKT_S3_S3_PS1_ii,comdat
	.protected	_Z12wvSplitK_hf_I6__halfLi64ELi4ELi16ELi8ELi1ELi5EEviiiiiiPKT_S3_S3_PS1_ii ; -- Begin function _Z12wvSplitK_hf_I6__halfLi64ELi4ELi16ELi8ELi1ELi5EEviiiiiiPKT_S3_S3_PS1_ii
	.globl	_Z12wvSplitK_hf_I6__halfLi64ELi4ELi16ELi8ELi1ELi5EEviiiiiiPKT_S3_S3_PS1_ii
	.p2align	8
	.type	_Z12wvSplitK_hf_I6__halfLi64ELi4ELi16ELi8ELi1ELi5EEviiiiiiPKT_S3_S3_PS1_ii,@function
_Z12wvSplitK_hf_I6__halfLi64ELi4ELi16ELi8ELi1ELi5EEviiiiiiPKT_S3_S3_PS1_ii: ; @_Z12wvSplitK_hf_I6__halfLi64ELi4ELi16ELi8ELi1ELi5EEviiiiiiPKT_S3_S3_PS1_ii
; %bb.0:
	s_load_dwordx2 s[8:9], s[0:1], 0x38
	s_load_dwordx4 s[12:15], s[0:1], 0x0
	s_load_dwordx2 s[10:11], s[0:1], 0x10
	v_bfe_u32 v1, v0, 10, 10
	s_mov_b32 s4, 1
	s_waitcnt lgkmcnt(0)
	s_mul_i32 s2, s2, s8
	v_add_lshl_u32 v42, s2, v1, 2
	v_add_u32_e32 v2, 4, v42
	s_mov_b32 s5, s4
	v_cmp_gt_u32_e32 vcc, s15, v42
	v_cmp_le_u32_e64 s[2:3], s15, v2
	s_mov_b32 s6, s4
	s_mov_b32 s7, s4
	v_mov_b64_e32 v[2:3], s[4:5]
	s_and_b64 s[16:17], vcc, s[2:3]
	v_mov_b64_e32 v[4:5], s[6:7]
	s_and_saveexec_b64 s[2:3], s[16:17]
	s_cbranch_execz .LBB153_6
; %bb.1:
	s_add_i32 s22, s15, -4
	v_mov_b64_e32 v[2:3], s[4:5]
	v_cmp_ne_u32_e32 vcc, s22, v42
	v_mov_b64_e32 v[4:5], s[6:7]
	s_and_saveexec_b64 s[16:17], vcc
	s_cbranch_execz .LBB153_5
; %bb.2:
	v_subrev_u32_e32 v2, s22, v42
	v_cmp_lt_u32_e32 vcc, 1, v2
	s_mov_b64 s[18:19], 0
	s_mov_b64 s[20:21], 0
	v_cndmask_b32_e32 v6, 1, v2, vcc
	s_mov_b32 s5, s4
	s_mov_b32 s6, s4
	;; [unrolled: 1-line block ×3, first 2 shown]
.LBB153_3:                              ; =>This Inner Loop Header: Depth=1
	s_cmp_lg_u32 s20, 3
	s_cselect_b32 s7, s7, 0
	s_cmp_lg_u32 s20, 2
	s_cselect_b32 s6, s6, 0
	;; [unrolled: 2-line block ×4, first 2 shown]
	s_add_u32 s20, s20, 1
	s_addc_u32 s21, s21, 0
	v_cmp_eq_u32_e32 vcc, s20, v6
	v_mov_b64_e32 v[2:3], s[4:5]
	s_or_b64 s[18:19], vcc, s[18:19]
	v_mov_b64_e32 v[4:5], s[6:7]
	s_andn2_b64 exec, exec, s[18:19]
	s_cbranch_execnz .LBB153_3
; %bb.4:
	s_or_b64 exec, exec, s[18:19]
	v_mov_b32_e32 v42, s22
.LBB153_5:
	s_or_b64 exec, exec, s[16:17]
.LBB153_6:
	s_or_b64 exec, exec, s[2:3]
	s_load_dwordx4 s[16:19], s[0:1], 0x20
	v_and_b32_e32 v8, 0x3ff, v0
	v_lshlrev_b32_e32 v0, 3, v8
	s_mul_i32 s2, s14, 5
	v_lshl_add_u32 v9, v1, 9, v0
	s_min_u32 s20, s2, 0x8000
	v_cmp_gt_u32_e32 vcc, s20, v9
	s_and_saveexec_b64 s[2:3], vcc
	s_cbranch_execz .LBB153_9
; %bb.7:
	v_mov_b32_e32 v11, 0
	v_lshlrev_b32_e32 v10, 10, v1
	v_lshlrev_b32_e32 v12, 4, v8
	v_mov_b32_e32 v13, v11
	v_lshl_add_u64 v[6:7], v[10:11], 0, v[12:13]
	s_waitcnt lgkmcnt(0)
	v_lshl_add_u64 v[6:7], s[16:17], 0, v[6:7]
	v_add_u32_e32 v10, v10, v12
	s_mov_b64 s[4:5], 0
	s_mov_b64 s[6:7], 0x4000
.LBB153_8:                              ; =>This Inner Loop Header: Depth=1
	global_load_dwordx4 v[12:15], v[6:7], off
	v_add_u32_e32 v9, 0x2000, v9
	v_cmp_le_u32_e32 vcc, s20, v9
	v_lshl_add_u64 v[6:7], v[6:7], 0, s[6:7]
	s_or_b64 s[4:5], vcc, s[4:5]
	s_waitcnt vmcnt(0)
	ds_write_b128 v10, v[12:15]
	v_add_u32_e32 v10, 0x4000, v10
	s_andn2_b64 exec, exec, s[4:5]
	s_cbranch_execnz .LBB153_8
.LBB153_9:
	s_or_b64 exec, exec, s[2:3]
	v_cmp_gt_u32_e32 vcc, s8, v1
	v_cmp_gt_u32_e64 s[2:3], s15, v42
	s_and_b64 s[2:3], vcc, s[2:3]
	s_waitcnt lgkmcnt(0)
	s_barrier
	s_and_saveexec_b64 s[4:5], s[2:3]
	s_cbranch_execz .LBB153_86
; %bb.10:
	s_cmp_lg_u32 s12, 0
	s_cselect_b64 s[2:3], -1, 0
	s_add_i32 s33, s12, -8
	s_add_i32 s36, s15, -1
	s_mul_i32 s4, s8, s9
	s_cmp_lg_u64 s[18:19], 0
	s_cselect_b64 s[26:27], -1, 0
	s_lshl_b32 s37, s4, 2
	s_abs_i32 s4, s11
	v_cvt_f32_u32_e32 v1, s10
	v_cvt_f32_u32_e32 v6, s4
	s_sub_i32 s5, 0, s10
	s_add_i32 s11, s15, -4
	v_rcp_iflag_f32_e32 v1, v1
	v_rcp_iflag_f32_e32 v6, v6
	s_load_dwordx2 s[20:21], s[0:1], 0x18
	s_load_dwordx2 s[22:23], s[0:1], 0x30
	v_cmp_eq_u32_e64 s[0:1], 63, v8
	v_mul_f32_e32 v1, 0x4f7ffffe, v1
	v_mul_f32_e32 v6, 0x4f7ffffe, v6
	v_cvt_u32_f32_e32 v1, v1
	v_cvt_u32_f32_e32 v6, v6
	s_mov_b64 s[24:25], 0
	v_mov_b32_e32 v45, 0
	v_mul_lo_u32 v7, s5, v1
	s_sub_i32 s5, 0, s4
	v_readfirstlane_b32 s6, v6
	s_mul_i32 s5, s5, s6
	s_mul_hi_u32 s5, s6, s5
	s_add_i32 s6, s6, s5
	s_sub_i32 s5, 1, s4
	s_cmp_lt_u32 s4, 2
	s_cselect_b32 s5, s5, 1
	s_sub_i32 s7, s5, s4
	s_cmp_ge_u32 s5, s4
	s_cselect_b32 s38, s7, s5
	s_lshr_b32 s5, s6, 31
	s_mul_i32 s5, s5, s4
	s_sub_i32 s5, 2, s5
	s_sub_i32 s7, s5, s4
	s_cmp_ge_u32 s5, s4
	s_cselect_b32 s5, s7, s5
	s_sub_i32 s7, s5, s4
	s_cmp_ge_u32 s5, s4
	s_cselect_b32 s39, s7, s5
	s_mul_hi_u32 s5, s6, 3
	s_mul_i32 s5, s5, s4
	s_sub_i32 s5, 3, s5
	s_sub_i32 s7, s5, s4
	s_cmp_ge_u32 s5, s4
	s_cselect_b32 s5, s7, s5
	s_sub_i32 s7, s5, s4
	s_cmp_ge_u32 s5, s4
	s_cselect_b32 s40, s7, s5
	s_lshr_b32 s5, s6, 30
	s_mul_i32 s5, s5, s4
	s_sub_i32 s5, 4, s5
	s_sub_i32 s6, s5, s4
	s_cmp_ge_u32 s5, s4
	s_cselect_b32 s5, s6, s5
	v_mul_hi_u32 v7, v1, v7
	s_sub_i32 s6, s5, s4
	v_add_u32_e32 v1, v1, v7
	s_cmp_ge_u32 s5, s4
	s_cselect_b32 s41, s6, s5
	s_lshl_b32 s42, s14, 1
	s_lshl_b32 s43, s14, 2
	v_mad_u64_u32 v[46:47], s[4:5], s14, 3, v[0:1]
	v_cndmask_b32_e64 v6, 0, 1, s[2:3]
	s_mul_i32 s38, s38, s10
	s_mul_i32 s39, s39, s10
	;; [unrolled: 1-line block ×4, first 2 shown]
	v_lshlrev_b32_e32 v64, 4, v8
	v_add_u32_e32 v65, s42, v0
	s_mul_i32 s44, s14, 6
	v_add_u32_e32 v47, s43, v0
	s_lshl_b32 s45, s14, 3
	v_add_u32_e32 v66, s14, v0
	v_cmp_ne_u32_e64 s[2:3], 1, v6
	s_movk_i32 s14, 0x7fff
	s_mov_b32 s28, 0
	s_branch .LBB153_13
.LBB153_11:                             ;   in Loop: Header=BB153_13 Depth=1
	s_or_b64 exec, exec, s[8:9]
	v_mov_b32_e32 v42, s11
.LBB153_12:                             ;   in Loop: Header=BB153_13 Depth=1
	s_or_b64 exec, exec, s[6:7]
	v_cmp_le_u32_e32 vcc, s15, v42
	s_or_b64 s[24:25], vcc, s[24:25]
	s_andn2_b64 exec, exec, s[24:25]
	s_cbranch_execz .LBB153_86
.LBB153_13:                             ; =>This Loop Header: Depth=1
                                        ;     Child Loop BB153_17 Depth 2
                                        ;     Child Loop BB153_65 Depth 2
	s_and_b64 vcc, exec, s[2:3]
	v_add_u32_e32 v52, 1, v42
	v_add_u32_e32 v50, 2, v42
	v_add_u32_e32 v48, 3, v42
	v_mov_b32_e32 v82, v45
	v_mov_b32_e32 v81, v45
	v_mov_b32_e32 v80, v45
	v_mov_b32_e32 v79, v45
	s_waitcnt vmcnt(19)
	v_mov_b32_e32 v43, v45
	s_waitcnt vmcnt(16)
	v_mov_b32_e32 v49, v45
	v_mov_b32_e32 v51, v45
	;; [unrolled: 1-line block ×3, first 2 shown]
	s_waitcnt vmcnt(6)
	v_mov_b32_e32 v67, v45
	v_mov_b32_e32 v68, v45
	v_mov_b32_e32 v69, v45
	v_mov_b32_e32 v70, v45
	v_mov_b32_e32 v71, v45
	v_mov_b32_e32 v72, v45
	v_mov_b32_e32 v73, v45
	v_mov_b32_e32 v74, v45
	v_mov_b32_e32 v75, v45
	v_mov_b32_e32 v76, v45
	v_mov_b32_e32 v77, v45
	v_mov_b32_e32 v78, v45
	s_cbranch_vccnz .LBB153_38
; %bb.14:                               ;   in Loop: Header=BB153_13 Depth=1
	v_min_u32_e32 v6, s36, v42
	v_mul_lo_u32 v54, v6, s13
	v_min_u32_e32 v6, s36, v52
	v_mul_lo_u32 v56, v6, s13
	v_min_u32_e32 v6, s36, v50
	s_waitcnt vmcnt(0)
	v_mul_lo_u32 v58, v6, s13
	v_min_u32_e32 v6, s36, v48
	v_mov_b32_e32 v55, v45
	v_mov_b32_e32 v57, v45
	;; [unrolled: 1-line block ×3, first 2 shown]
	v_mul_lo_u32 v60, v6, s13
	v_mov_b32_e32 v61, v45
	v_mov_b32_e32 v78, 0
	v_mov_b32_e32 v83, v64
	v_mov_b32_e32 v77, 0
	v_mov_b32_e32 v76, 0
	v_mov_b32_e32 v75, 0
	v_mov_b32_e32 v74, 0
	v_mov_b32_e32 v73, 0
	v_mov_b32_e32 v72, 0
	v_mov_b32_e32 v71, 0
	v_mov_b32_e32 v70, 0
	v_mov_b32_e32 v69, 0
	v_mov_b32_e32 v68, 0
	v_mov_b32_e32 v67, 0
	v_mov_b32_e32 v53, 0
	v_mov_b32_e32 v51, 0
	v_mov_b32_e32 v49, 0
	v_mov_b32_e32 v43, 0
	v_mov_b32_e32 v79, 0
	v_mov_b32_e32 v80, 0
	v_mov_b32_e32 v81, 0
	v_mov_b32_e32 v82, 0
	s_mov_b32 s8, s28
	s_branch .LBB153_17
.LBB153_15:                             ;   in Loop: Header=BB153_17 Depth=2
	s_or_b64 exec, exec, s[6:7]
.LBB153_16:                             ;   in Loop: Header=BB153_17 Depth=2
	s_or_b64 exec, exec, s[4:5]
	s_waitcnt vmcnt(0) lgkmcnt(0)
	;;#ASMSTART
	v_dot2c_f32_f16 v82, v26, v18
	;;#ASMEND
	;;#ASMSTART
	v_dot2c_f32_f16 v81, v26, v14
	;;#ASMEND
	;; [unrolled: 3-line block ×20, first 2 shown]
	s_nop 0
	;;#ASMSTART
	v_dot2c_f32_f16 v82, v27, v19
	;;#ASMEND
	;;#ASMSTART
	v_dot2c_f32_f16 v81, v27, v15
	;;#ASMEND
	;;#ASMSTART
	v_dot2c_f32_f16 v80, v27, v11
	;;#ASMEND
	;;#ASMSTART
	v_dot2c_f32_f16 v79, v27, v7
	;;#ASMEND
	;;#ASMSTART
	v_dot2c_f32_f16 v78, v23, v19
	;;#ASMEND
	;;#ASMSTART
	v_dot2c_f32_f16 v77, v23, v15
	;;#ASMEND
	;;#ASMSTART
	v_dot2c_f32_f16 v76, v23, v11
	;;#ASMEND
	;;#ASMSTART
	v_dot2c_f32_f16 v75, v23, v7
	;;#ASMEND
	;;#ASMSTART
	v_dot2c_f32_f16 v74, v35, v19
	;;#ASMEND
	;;#ASMSTART
	v_dot2c_f32_f16 v73, v35, v15
	;;#ASMEND
	;;#ASMSTART
	v_dot2c_f32_f16 v72, v35, v11
	;;#ASMEND
	;;#ASMSTART
	v_dot2c_f32_f16 v71, v35, v7
	;;#ASMEND
	;;#ASMSTART
	v_dot2c_f32_f16 v70, v31, v19
	;;#ASMEND
	;;#ASMSTART
	v_dot2c_f32_f16 v69, v31, v15
	;;#ASMEND
	;;#ASMSTART
	v_dot2c_f32_f16 v68, v31, v11
	;;#ASMEND
	;;#ASMSTART
	v_dot2c_f32_f16 v67, v31, v7
	;;#ASMEND
	;;#ASMSTART
	v_dot2c_f32_f16 v53, v39, v19
	;;#ASMEND
	;;#ASMSTART
	v_dot2c_f32_f16 v51, v39, v15
	;;#ASMEND
	;;#ASMSTART
	v_dot2c_f32_f16 v49, v39, v11
	;;#ASMEND
	;;#ASMSTART
	v_dot2c_f32_f16 v43, v39, v7
	;;#ASMEND
	s_addk_i32 s8, 0x200
	;;#ASMSTART
	v_dot2c_f32_f16 v82, v28, v20
	;;#ASMEND
	;;#ASMSTART
	v_dot2c_f32_f16 v81, v28, v16
	;;#ASMEND
	;; [unrolled: 3-line block ×20, first 2 shown]
	s_cmp_ge_u32 s8, s12
	v_add_u32_e32 v83, 0x400, v83
	;;#ASMSTART
	v_dot2c_f32_f16 v82, v29, v21
	;;#ASMEND
	;;#ASMSTART
	v_dot2c_f32_f16 v81, v29, v17
	;;#ASMEND
	;; [unrolled: 3-line block ×20, first 2 shown]
	s_cbranch_scc1 .LBB153_38
.LBB153_17:                             ;   Parent Loop BB153_13 Depth=1
                                        ; =>  This Inner Loop Header: Depth=2
	v_add_u32_e32 v62, s8, v0
	v_min_u32_e32 v44, s33, v62
	s_waitcnt lgkmcnt(0)
	v_lshl_add_u64 v[6:7], v[44:45], 1, s[20:21]
	v_lshl_add_u64 v[8:9], v[54:55], 1, v[6:7]
	;; [unrolled: 1-line block ×3, first 2 shown]
	global_load_dwordx4 v[18:21], v[8:9], off nt
	global_load_dwordx4 v[14:17], v[10:11], off nt
	v_lshl_add_u64 v[8:9], v[58:59], 1, v[6:7]
	v_lshl_add_u64 v[6:7], v[60:61], 1, v[6:7]
	global_load_dwordx4 v[10:13], v[8:9], off nt
	s_nop 0
	global_load_dwordx4 v[6:9], v[6:7], off nt
	s_mov_b32 s29, s28
	v_cmp_gt_u32_e32 vcc, s12, v62
	v_mov_b64_e32 v[32:33], s[28:29]
	v_mov_b32_e32 v41, 0
	v_mov_b32_e32 v40, 0
	v_mov_b32_e32 v39, 0
	v_mov_b32_e32 v38, 0
	v_mov_b64_e32 v[30:31], s[28:29]
	v_mov_b64_e32 v[36:37], s[28:29]
	;; [unrolled: 1-line block ×7, first 2 shown]
	s_and_saveexec_b64 s[4:5], vcc
	s_cbranch_execz .LBB153_16
; %bb.18:                               ;   in Loop: Header=BB153_17 Depth=2
	v_cmp_lt_u32_e32 vcc, s14, v62
                                        ; implicit-def: $vgpr28_vgpr29
	s_and_saveexec_b64 s[6:7], vcc
	s_xor_b64 s[6:7], exec, s[6:7]
	s_cbranch_execz .LBB153_20
; %bb.19:                               ;   in Loop: Header=BB153_17 Depth=2
	v_mov_b32_e32 v63, v45
	v_lshl_add_u64 v[22:23], v[62:63], 1, s[16:17]
	global_load_dwordx4 v[26:29], v[22:23], off
.LBB153_20:                             ;   in Loop: Header=BB153_17 Depth=2
	s_andn2_saveexec_b64 s[6:7], s[6:7]
	s_cbranch_execz .LBB153_22
; %bb.21:                               ;   in Loop: Header=BB153_17 Depth=2
	s_waitcnt vmcnt(0)
	ds_read_b128 v[26:29], v83
.LBB153_22:                             ;   in Loop: Header=BB153_17 Depth=2
	s_or_b64 exec, exec, s[6:7]
	v_add_u32_e32 v44, s8, v66
	v_cmp_lt_u32_e32 vcc, s14, v44
                                        ; implicit-def: $vgpr24_vgpr25
	s_and_saveexec_b64 s[6:7], vcc
	s_xor_b64 s[6:7], exec, s[6:7]
	s_cbranch_execz .LBB153_24
; %bb.23:                               ;   in Loop: Header=BB153_17 Depth=2
	v_lshl_add_u64 v[22:23], v[44:45], 1, s[16:17]
	global_load_dwordx4 v[22:25], v[22:23], off
.LBB153_24:                             ;   in Loop: Header=BB153_17 Depth=2
	s_andn2_saveexec_b64 s[6:7], s[6:7]
	s_cbranch_execz .LBB153_26
; %bb.25:                               ;   in Loop: Header=BB153_17 Depth=2
	s_waitcnt vmcnt(0)
	v_add_u32_e32 v22, s42, v83
	ds_read_b128 v[22:25], v22
.LBB153_26:                             ;   in Loop: Header=BB153_17 Depth=2
	s_or_b64 exec, exec, s[6:7]
	v_add_u32_e32 v44, s8, v65
	v_cmp_lt_u32_e32 vcc, s14, v44
                                        ; implicit-def: $vgpr36_vgpr37
	s_and_saveexec_b64 s[6:7], vcc
	s_xor_b64 s[6:7], exec, s[6:7]
	s_cbranch_execz .LBB153_28
; %bb.27:                               ;   in Loop: Header=BB153_17 Depth=2
	v_lshl_add_u64 v[30:31], v[44:45], 1, s[16:17]
	global_load_dwordx4 v[34:37], v[30:31], off
.LBB153_28:                             ;   in Loop: Header=BB153_17 Depth=2
	s_andn2_saveexec_b64 s[6:7], s[6:7]
	s_cbranch_execz .LBB153_30
; %bb.29:                               ;   in Loop: Header=BB153_17 Depth=2
	v_add_u32_e32 v30, s43, v83
	s_waitcnt vmcnt(0)
	ds_read2_b32 v[34:35], v30 offset1:1
	ds_read2_b32 v[36:37], v30 offset0:2 offset1:3
.LBB153_30:                             ;   in Loop: Header=BB153_17 Depth=2
	s_or_b64 exec, exec, s[6:7]
	v_add_u32_e32 v44, s8, v46
	v_cmp_lt_u32_e32 vcc, s14, v44
                                        ; implicit-def: $vgpr32_vgpr33
	s_and_saveexec_b64 s[6:7], vcc
	s_xor_b64 s[6:7], exec, s[6:7]
	s_cbranch_execz .LBB153_32
; %bb.31:                               ;   in Loop: Header=BB153_17 Depth=2
	v_lshl_add_u64 v[30:31], v[44:45], 1, s[16:17]
	global_load_dwordx4 v[30:33], v[30:31], off
.LBB153_32:                             ;   in Loop: Header=BB153_17 Depth=2
	s_andn2_saveexec_b64 s[6:7], s[6:7]
	s_cbranch_execz .LBB153_34
; %bb.33:                               ;   in Loop: Header=BB153_17 Depth=2
	s_waitcnt vmcnt(0)
	v_add_u32_e32 v30, s44, v83
	ds_read_b128 v[30:33], v30
.LBB153_34:                             ;   in Loop: Header=BB153_17 Depth=2
	s_or_b64 exec, exec, s[6:7]
	v_add_u32_e32 v44, s8, v47
	v_cmp_lt_u32_e32 vcc, s14, v44
                                        ; implicit-def: $vgpr41
	s_and_saveexec_b64 s[6:7], vcc
	s_xor_b64 s[6:7], exec, s[6:7]
	s_cbranch_execz .LBB153_36
; %bb.35:                               ;   in Loop: Header=BB153_17 Depth=2
	v_lshl_add_u64 v[38:39], v[44:45], 1, s[16:17]
	global_load_dwordx4 v[38:41], v[38:39], off
.LBB153_36:                             ;   in Loop: Header=BB153_17 Depth=2
	s_andn2_saveexec_b64 s[6:7], s[6:7]
	s_cbranch_execz .LBB153_15
; %bb.37:                               ;   in Loop: Header=BB153_17 Depth=2
	s_waitcnt vmcnt(0)
	v_add_u32_e32 v38, s45, v83
	ds_read2_b64 v[38:41], v38 offset1:1
	s_branch .LBB153_15
.LBB153_38:                             ;   in Loop: Header=BB153_13 Depth=1
	v_cvt_i32_f32_e32 v6, v82
	v_cvt_i32_f32_e32 v7, v81
	v_cvt_i32_f32_e32 v8, v80
	v_cvt_i32_f32_e32 v9, v79
	v_cvt_f32_i32_dpp v6, v6 row_shr:8 row_mask:0xf bank_mask:0xf bound_ctrl:1
	v_cvt_f32_i32_dpp v7, v7 row_shr:8 row_mask:0xf bank_mask:0xf bound_ctrl:1
	;; [unrolled: 1-line block ×4, first 2 shown]
	v_add_f32_e32 v6, v82, v6
	v_cvt_i32_f32_e32 v10, v6
	v_add_f32_e32 v7, v81, v7
	v_cvt_i32_f32_e32 v11, v7
	v_add_f32_e32 v8, v80, v8
	v_cvt_f32_i32_dpp v10, v10 row_shr:4 row_mask:0xf bank_mask:0xf bound_ctrl:1
	v_cvt_i32_f32_e32 v12, v8
	v_cvt_f32_i32_dpp v11, v11 row_shr:4 row_mask:0xf bank_mask:0xf bound_ctrl:1
	v_add_f32_e32 v9, v79, v9
	v_add_f32_e32 v6, v6, v10
	v_cvt_i32_f32_e32 v10, v6
	v_add_f32_e32 v7, v7, v11
	v_cvt_i32_f32_e32 v11, v7
	v_cvt_f32_i32_dpp v12, v12 row_shr:4 row_mask:0xf bank_mask:0xf bound_ctrl:1
	v_cvt_f32_i32_dpp v10, v10 row_shr:2 row_mask:0xf bank_mask:0xf bound_ctrl:1
	v_cvt_i32_f32_e32 v13, v9
	v_cvt_f32_i32_dpp v11, v11 row_shr:2 row_mask:0xf bank_mask:0xf bound_ctrl:1
	v_add_f32_e32 v8, v8, v12
	v_add_f32_e32 v6, v6, v10
	v_cvt_i32_f32_e32 v10, v6
	v_add_f32_e32 v7, v7, v11
	v_cvt_i32_f32_e32 v11, v7
	v_cvt_i32_f32_e32 v12, v8
	v_cvt_f32_i32_dpp v10, v10 row_shr:1 row_mask:0xf bank_mask:0xf bound_ctrl:1
	v_cvt_f32_i32_dpp v13, v13 row_shr:4 row_mask:0xf bank_mask:0xf bound_ctrl:1
	;; [unrolled: 1-line block ×4, first 2 shown]
	v_add_f32_e32 v6, v6, v10
	v_cvt_i32_f32_e32 v10, v6
	v_add_f32_e32 v7, v7, v11
	v_cvt_i32_f32_e32 v11, v7
	v_add_f32_e32 v12, v8, v12
	v_cvt_f32_i32_dpp v10, v10 row_bcast:15 row_mask:0xf bank_mask:0xf bound_ctrl:1
	v_add_f32_e32 v9, v9, v13
	v_cvt_i32_f32_e32 v13, v12
	v_cvt_f32_i32_dpp v11, v11 row_bcast:15 row_mask:0xf bank_mask:0xf bound_ctrl:1
	v_add_f32_e32 v8, v6, v10
	v_cvt_i32_f32_e32 v10, v8
	v_cvt_f32_i32_dpp v13, v13 row_shr:1 row_mask:0xf bank_mask:0xf bound_ctrl:1
	v_add_f32_e32 v6, v7, v11
	v_cvt_i32_f32_e32 v7, v6
	v_mov_b32_dpp v11, v10 row_bcast:31 row_mask:0xf bank_mask:0xf bound_ctrl:1
	v_cvt_i32_f32_e32 v10, v9
	v_add_f32_e32 v12, v12, v13
	v_cvt_i32_f32_e32 v13, v78
	v_cvt_i32_f32_e32 v14, v12
	v_cvt_f32_i32_dpp v15, v10 row_shr:2 row_mask:0xf bank_mask:0xf bound_ctrl:1
	v_mov_b32_dpp v10, v7 row_bcast:31 row_mask:0xf bank_mask:0xf bound_ctrl:1
	v_cvt_f32_i32_dpp v7, v13 row_shr:8 row_mask:0xf bank_mask:0xf bound_ctrl:1
	v_cvt_f32_i32_dpp v13, v14 row_bcast:15 row_mask:0xf bank_mask:0xf bound_ctrl:1
	v_add_f32_e32 v9, v9, v15
	v_cvt_i32_f32_e32 v14, v9
	v_add_f32_e32 v15, v78, v7
	v_cvt_i32_f32_e32 v16, v15
	v_add_f32_e32 v7, v12, v13
	v_cvt_f32_i32_dpp v12, v14 row_shr:1 row_mask:0xf bank_mask:0xf bound_ctrl:1
	v_cvt_i32_f32_e32 v13, v77
	v_cvt_f32_i32_dpp v14, v16 row_shr:4 row_mask:0xf bank_mask:0xf bound_ctrl:1
	v_cvt_i32_f32_e32 v16, v7
	v_add_f32_e32 v9, v9, v12
	v_cvt_f32_i32_dpp v12, v13 row_shr:8 row_mask:0xf bank_mask:0xf bound_ctrl:1
	v_add_f32_e32 v14, v15, v14
	v_cvt_i32_f32_e32 v13, v14
	v_cvt_i32_f32_e32 v15, v9
	v_add_f32_e32 v12, v77, v12
	v_cvt_i32_f32_e32 v17, v12
	v_cvt_f32_i32_dpp v18, v13 row_shr:2 row_mask:0xf bank_mask:0xf bound_ctrl:1
	v_mov_b32_dpp v13, v16 row_bcast:31 row_mask:0xf bank_mask:0xf bound_ctrl:1
	v_cvt_f32_i32_dpp v15, v15 row_bcast:15 row_mask:0xf bank_mask:0xf bound_ctrl:1
	v_cvt_f32_i32_dpp v16, v17 row_shr:4 row_mask:0xf bank_mask:0xf bound_ctrl:1
	v_add_f32_e32 v14, v14, v18
	v_cvt_i32_f32_e32 v17, v14
	v_add_f32_e32 v9, v9, v15
	v_add_f32_e32 v12, v12, v16
	v_cvt_i32_f32_e32 v15, v12
	v_cvt_f32_i32_dpp v16, v17 row_shr:1 row_mask:0xf bank_mask:0xf bound_ctrl:1
	v_cvt_i32_f32_e32 v17, v76
	v_cvt_i32_f32_e32 v18, v9
	v_cvt_f32_i32_dpp v15, v15 row_shr:2 row_mask:0xf bank_mask:0xf bound_ctrl:1
	v_add_f32_e32 v14, v14, v16
	v_cvt_f32_i32_dpp v16, v17 row_shr:8 row_mask:0xf bank_mask:0xf bound_ctrl:1
	v_cvt_i32_f32_e32 v17, v14
	v_add_f32_e32 v15, v12, v15
	v_cvt_i32_f32_e32 v12, v15
	v_add_f32_e32 v19, v76, v16
	v_cvt_i32_f32_e32 v20, v19
	v_cvt_f32_i32_dpp v17, v17 row_bcast:15 row_mask:0xf bank_mask:0xf bound_ctrl:1
	v_cvt_f32_i32_dpp v21, v12 row_shr:1 row_mask:0xf bank_mask:0xf bound_ctrl:1
	v_mov_b32_dpp v16, v18 row_bcast:31 row_mask:0xf bank_mask:0xf bound_ctrl:1
	v_cvt_f32_i32_dpp v18, v20 row_shr:4 row_mask:0xf bank_mask:0xf bound_ctrl:1
	v_add_f32_e32 v12, v14, v17
	v_add_f32_e32 v14, v15, v21
	v_cvt_i32_f32_e32 v15, v75
	v_add_f32_e32 v17, v19, v18
	v_cvt_i32_f32_e32 v18, v17
	v_cvt_i32_f32_e32 v19, v14
	v_cvt_f32_i32_dpp v15, v15 row_shr:8 row_mask:0xf bank_mask:0xf bound_ctrl:1
	v_cvt_i32_f32_e32 v20, v12
	v_cvt_f32_i32_dpp v18, v18 row_shr:2 row_mask:0xf bank_mask:0xf bound_ctrl:1
	v_cvt_f32_i32_dpp v19, v19 row_bcast:15 row_mask:0xf bank_mask:0xf bound_ctrl:1
	v_add_f32_e32 v15, v75, v15
	v_cvt_i32_f32_e32 v21, v15
	v_add_f32_e32 v18, v17, v18
	v_mov_b32_dpp v17, v20 row_bcast:31 row_mask:0xf bank_mask:0xf bound_ctrl:1
	v_cvt_i32_f32_e32 v22, v18
	v_cvt_f32_i32_dpp v20, v21 row_shr:4 row_mask:0xf bank_mask:0xf bound_ctrl:1
	v_add_f32_e32 v14, v14, v19
	v_cvt_i32_f32_e32 v21, v14
	v_cvt_f32_i32_dpp v19, v22 row_shr:1 row_mask:0xf bank_mask:0xf bound_ctrl:1
	v_add_f32_e32 v15, v15, v20
	v_cvt_i32_f32_e32 v20, v15
	v_cvt_i32_f32_e32 v22, v74
	v_add_f32_e32 v18, v18, v19
	v_mov_b32_dpp v19, v21 row_bcast:31 row_mask:0xf bank_mask:0xf bound_ctrl:1
	v_cvt_f32_i32_dpp v20, v20 row_shr:2 row_mask:0xf bank_mask:0xf bound_ctrl:1
	v_cvt_f32_i32_dpp v21, v22 row_shr:8 row_mask:0xf bank_mask:0xf bound_ctrl:1
	v_cvt_i32_f32_e32 v23, v18
	v_add_f32_e32 v20, v15, v20
	v_add_f32_e32 v21, v74, v21
	v_cvt_f32_i32_dpp v22, v23 row_bcast:15 row_mask:0xf bank_mask:0xf bound_ctrl:1
	v_cvt_i32_f32_e32 v23, v20
	v_cvt_i32_f32_e32 v24, v21
	v_add_f32_e32 v15, v18, v22
	v_cvt_f32_i32_dpp v18, v23 row_shr:1 row_mask:0xf bank_mask:0xf bound_ctrl:1
	v_cvt_i32_f32_e32 v22, v73
	v_cvt_f32_i32_dpp v23, v24 row_shr:4 row_mask:0xf bank_mask:0xf bound_ctrl:1
	v_cvt_i32_f32_e32 v24, v15
	v_add_f32_e32 v18, v20, v18
	v_cvt_f32_i32_dpp v20, v22 row_shr:8 row_mask:0xf bank_mask:0xf bound_ctrl:1
	v_add_f32_e32 v22, v21, v23
	v_cvt_i32_f32_e32 v21, v22
	v_cvt_i32_f32_e32 v23, v18
	v_add_f32_e32 v20, v73, v20
	v_cvt_i32_f32_e32 v25, v20
	v_cvt_f32_i32_dpp v26, v21 row_shr:2 row_mask:0xf bank_mask:0xf bound_ctrl:1
	v_mov_b32_dpp v21, v24 row_bcast:31 row_mask:0xf bank_mask:0xf bound_ctrl:1
	v_cvt_f32_i32_dpp v23, v23 row_bcast:15 row_mask:0xf bank_mask:0xf bound_ctrl:1
	v_cvt_f32_i32_dpp v24, v25 row_shr:4 row_mask:0xf bank_mask:0xf bound_ctrl:1
	v_add_f32_e32 v22, v22, v26
	v_cvt_i32_f32_e32 v25, v22
	v_add_f32_e32 v18, v18, v23
	v_add_f32_e32 v20, v20, v24
	v_cvt_i32_f32_e32 v23, v20
	v_cvt_f32_i32_dpp v24, v25 row_shr:1 row_mask:0xf bank_mask:0xf bound_ctrl:1
	v_cvt_i32_f32_e32 v25, v72
	v_cvt_i32_f32_e32 v26, v18
	v_cvt_f32_i32_dpp v23, v23 row_shr:2 row_mask:0xf bank_mask:0xf bound_ctrl:1
	v_add_f32_e32 v22, v22, v24
	v_cvt_f32_i32_dpp v24, v25 row_shr:8 row_mask:0xf bank_mask:0xf bound_ctrl:1
	v_cvt_i32_f32_e32 v25, v22
	v_add_f32_e32 v27, v20, v23
	v_cvt_i32_f32_e32 v20, v27
	v_add_f32_e32 v24, v72, v24
	v_cvt_i32_f32_e32 v28, v24
	v_cvt_f32_i32_dpp v25, v25 row_bcast:15 row_mask:0xf bank_mask:0xf bound_ctrl:1
	v_mov_b32_dpp v23, v26 row_bcast:31 row_mask:0xf bank_mask:0xf bound_ctrl:1
	v_cvt_f32_i32_dpp v29, v20 row_shr:1 row_mask:0xf bank_mask:0xf bound_ctrl:1
	v_cvt_f32_i32_dpp v26, v28 row_shr:4 row_mask:0xf bank_mask:0xf bound_ctrl:1
	v_add_f32_e32 v20, v22, v25
	v_cvt_i32_f32_e32 v25, v71
	v_add_f32_e32 v22, v27, v29
	v_add_f32_e32 v24, v24, v26
	v_cvt_i32_f32_e32 v26, v24
	v_cvt_f32_i32_dpp v25, v25 row_shr:8 row_mask:0xf bank_mask:0xf bound_ctrl:1
	v_cvt_i32_f32_e32 v27, v22
	v_cvt_i32_f32_e32 v28, v20
	v_cvt_f32_i32_dpp v26, v26 row_shr:2 row_mask:0xf bank_mask:0xf bound_ctrl:1
	v_add_f32_e32 v25, v71, v25
	v_cvt_i32_f32_e32 v29, v25
	v_cvt_f32_i32_dpp v27, v27 row_bcast:15 row_mask:0xf bank_mask:0xf bound_ctrl:1
	v_add_f32_e32 v24, v24, v26
	v_cvt_i32_f32_e32 v30, v24
	v_mov_b32_dpp v26, v28 row_bcast:31 row_mask:0xf bank_mask:0xf bound_ctrl:1
	v_cvt_f32_i32_dpp v28, v29 row_shr:4 row_mask:0xf bank_mask:0xf bound_ctrl:1
	v_cvt_i32_f32_e32 v29, v70
	v_add_f32_e32 v22, v22, v27
	v_cvt_f32_i32_dpp v27, v30 row_shr:1 row_mask:0xf bank_mask:0xf bound_ctrl:1
	v_add_f32_e32 v25, v25, v28
	v_cvt_f32_i32_dpp v29, v29 row_shr:8 row_mask:0xf bank_mask:0xf bound_ctrl:1
	v_cvt_i32_f32_e32 v28, v25
	v_add_f32_e32 v24, v24, v27
	v_cvt_i32_f32_e32 v30, v22
	v_add_f32_e32 v29, v70, v29
	v_cvt_f32_i32_dpp v27, v28 row_shr:2 row_mask:0xf bank_mask:0xf bound_ctrl:1
	v_cvt_i32_f32_e32 v28, v24
	v_cvt_i32_f32_e32 v31, v29
	v_add_f32_e32 v25, v25, v27
	v_cvt_f32_i32_dpp v28, v28 row_bcast:15 row_mask:0xf bank_mask:0xf bound_ctrl:1
	v_cvt_f32_i32_dpp v31, v31 row_shr:4 row_mask:0xf bank_mask:0xf bound_ctrl:1
	v_cvt_i32_f32_e32 v32, v25
	v_mov_b32_dpp v27, v30 row_bcast:31 row_mask:0xf bank_mask:0xf bound_ctrl:1
	v_add_f32_e32 v24, v24, v28
	v_add_f32_e32 v28, v29, v31
	v_cvt_f32_i32_dpp v30, v32 row_shr:1 row_mask:0xf bank_mask:0xf bound_ctrl:1
	v_cvt_i32_f32_e32 v29, v28
	v_cvt_i32_f32_e32 v32, v24
	v_add_f32_e32 v25, v25, v30
	v_cvt_i32_f32_e32 v30, v69
	v_cvt_f32_i32_dpp v29, v29 row_shr:2 row_mask:0xf bank_mask:0xf bound_ctrl:1
	v_cvt_i32_f32_e32 v31, v25
	v_cvt_f32_i32_dpp v30, v30 row_shr:8 row_mask:0xf bank_mask:0xf bound_ctrl:1
	v_add_f32_e32 v29, v28, v29
	v_cvt_i32_f32_e32 v33, v29
	v_cvt_f32_i32_dpp v31, v31 row_bcast:15 row_mask:0xf bank_mask:0xf bound_ctrl:1
	v_add_f32_e32 v30, v69, v30
	v_cvt_i32_f32_e32 v34, v30
	v_mov_b32_dpp v28, v32 row_bcast:31 row_mask:0xf bank_mask:0xf bound_ctrl:1
	v_cvt_f32_i32_dpp v32, v33 row_shr:1 row_mask:0xf bank_mask:0xf bound_ctrl:1
	v_add_f32_e32 v25, v25, v31
	v_cvt_f32_i32_dpp v31, v34 row_shr:4 row_mask:0xf bank_mask:0xf bound_ctrl:1
	v_cvt_i32_f32_e32 v33, v25
	v_add_f32_e32 v29, v29, v32
	v_cvt_i32_f32_e32 v32, v68
	v_add_f32_e32 v31, v30, v31
	v_cvt_i32_f32_e32 v34, v31
	v_cvt_i32_f32_e32 v35, v29
	v_cvt_f32_i32_dpp v32, v32 row_shr:8 row_mask:0xf bank_mask:0xf bound_ctrl:1
	v_mov_b32_dpp v30, v33 row_bcast:31 row_mask:0xf bank_mask:0xf bound_ctrl:1
	v_cvt_f32_i32_dpp v33, v34 row_shr:2 row_mask:0xf bank_mask:0xf bound_ctrl:1
	v_cvt_f32_i32_dpp v34, v35 row_bcast:15 row_mask:0xf bank_mask:0xf bound_ctrl:1
	v_add_f32_e32 v32, v68, v32
	v_cvt_i32_f32_e32 v35, v32
	v_add_f32_e32 v31, v31, v33
	v_cvt_i32_f32_e32 v33, v67
	v_cvt_i32_f32_e32 v36, v31
	v_cvt_f32_i32_dpp v35, v35 row_shr:4 row_mask:0xf bank_mask:0xf bound_ctrl:1
	v_add_f32_e32 v29, v29, v34
	v_cvt_f32_i32_dpp v33, v33 row_shr:8 row_mask:0xf bank_mask:0xf bound_ctrl:1
	v_cvt_f32_i32_dpp v34, v36 row_shr:1 row_mask:0xf bank_mask:0xf bound_ctrl:1
	v_add_f32_e32 v32, v32, v35
	v_cvt_i32_f32_e32 v35, v32
	v_add_f32_e32 v33, v67, v33
	v_cvt_i32_f32_e32 v36, v33
	v_add_f32_e32 v31, v31, v34
	v_cvt_f32_i32_dpp v35, v35 row_shr:2 row_mask:0xf bank_mask:0xf bound_ctrl:1
	v_cvt_i32_f32_e32 v37, v29
	v_cvt_f32_i32_dpp v34, v36 row_shr:4 row_mask:0xf bank_mask:0xf bound_ctrl:1
	v_cvt_i32_f32_e32 v36, v31
	v_add_f32_e32 v32, v32, v35
	v_cvt_i32_f32_e32 v35, v32
	v_add_f32_e32 v33, v33, v34
	v_cvt_i32_f32_e32 v34, v33
	v_cvt_f32_i32_dpp v38, v36 row_bcast:15 row_mask:0xf bank_mask:0xf bound_ctrl:1
	v_cvt_f32_i32_dpp v35, v35 row_shr:1 row_mask:0xf bank_mask:0xf bound_ctrl:1
	v_mov_b32_dpp v36, v37 row_bcast:31 row_mask:0xf bank_mask:0xf bound_ctrl:1
	v_cvt_f32_i32_dpp v34, v34 row_shr:2 row_mask:0xf bank_mask:0xf bound_ctrl:1
	v_add_f32_e32 v31, v31, v38
	v_add_f32_e32 v32, v32, v35
	v_cvt_i32_f32_e32 v35, v53
	v_add_f32_e32 v33, v33, v34
	v_cvt_i32_f32_e32 v34, v33
	v_cvt_i32_f32_e32 v37, v32
	v_cvt_f32_i32_dpp v35, v35 row_shr:8 row_mask:0xf bank_mask:0xf bound_ctrl:1
	v_cvt_i32_f32_e32 v38, v31
	v_cvt_f32_i32_dpp v34, v34 row_shr:1 row_mask:0xf bank_mask:0xf bound_ctrl:1
	v_cvt_f32_i32_dpp v37, v37 row_bcast:15 row_mask:0xf bank_mask:0xf bound_ctrl:1
	v_add_f32_e32 v35, v53, v35
	v_cvt_i32_f32_e32 v39, v35
	v_add_f32_e32 v33, v33, v34
	v_cvt_i32_f32_e32 v34, v33
	v_add_f32_e32 v32, v32, v37
	v_cvt_f32_i32_dpp v39, v39 row_shr:4 row_mask:0xf bank_mask:0xf bound_ctrl:1
	v_cvt_i32_f32_e32 v37, v51
	v_cvt_f32_i32_dpp v34, v34 row_bcast:15 row_mask:0xf bank_mask:0xf bound_ctrl:1
	v_cvt_i32_f32_e32 v40, v32
	v_add_f32_e32 v35, v35, v39
	v_cvt_i32_f32_e32 v39, v35
	v_cvt_f32_i32_dpp v37, v37 row_shr:8 row_mask:0xf bank_mask:0xf bound_ctrl:1
	v_add_f32_e32 v33, v33, v34
	v_mov_b32_dpp v38, v38 row_bcast:31 row_mask:0xf bank_mask:0xf bound_ctrl:1
	v_cvt_f32_i32_dpp v34, v39 row_shr:2 row_mask:0xf bank_mask:0xf bound_ctrl:1
	v_add_f32_e32 v37, v51, v37
	v_cvt_i32_f32_e32 v41, v37
	v_cvt_i32_f32_e32 v39, v33
	v_add_f32_e32 v34, v35, v34
	v_cvt_i32_f32_e32 v44, v34
	v_cvt_f32_i32_dpp v41, v41 row_shr:4 row_mask:0xf bank_mask:0xf bound_ctrl:1
	v_mov_b32_dpp v35, v39 row_bcast:31 row_mask:0xf bank_mask:0xf bound_ctrl:1
	v_mov_b32_dpp v40, v40 row_bcast:31 row_mask:0xf bank_mask:0xf bound_ctrl:1
	v_cvt_f32_i32_dpp v39, v44 row_shr:1 row_mask:0xf bank_mask:0xf bound_ctrl:1
	v_cvt_i32_f32_e32 v44, v49
	v_add_f32_e32 v37, v37, v41
	v_cvt_i32_f32_e32 v41, v43
	v_add_f32_e32 v34, v34, v39
	v_cvt_f32_i32_dpp v44, v44 row_shr:8 row_mask:0xf bank_mask:0xf bound_ctrl:1
	v_cvt_i32_f32_e32 v51, v37
	v_cvt_f32_i32_dpp v39, v41 row_shr:8 row_mask:0xf bank_mask:0xf bound_ctrl:1
	v_add_f32_e32 v44, v49, v44
	v_cvt_f32_i32_dpp v41, v51 row_shr:2 row_mask:0xf bank_mask:0xf bound_ctrl:1
	v_add_f32_e32 v39, v43, v39
	v_cvt_i32_f32_e32 v49, v44
	v_cvt_i32_f32_e32 v43, v39
	v_add_f32_e32 v37, v37, v41
	v_cvt_i32_f32_e32 v51, v34
	v_cvt_f32_i32_dpp v49, v49 row_shr:4 row_mask:0xf bank_mask:0xf bound_ctrl:1
	v_cvt_f32_i32_dpp v41, v43 row_shr:4 row_mask:0xf bank_mask:0xf bound_ctrl:1
	v_cvt_i32_f32_e32 v43, v37
	v_cvt_f32_i32_dpp v51, v51 row_bcast:15 row_mask:0xf bank_mask:0xf bound_ctrl:1
	v_add_f32_e32 v44, v44, v49
	v_add_f32_e32 v39, v39, v41
	v_cvt_i32_f32_e32 v49, v44
	v_cvt_i32_f32_e32 v41, v39
	v_cvt_f32_i32_dpp v43, v43 row_shr:1 row_mask:0xf bank_mask:0xf bound_ctrl:1
	v_add_f32_e32 v55, v34, v51
	v_cvt_f32_i32_dpp v49, v49 row_shr:2 row_mask:0xf bank_mask:0xf bound_ctrl:1
	v_cvt_f32_i32_dpp v41, v41 row_shr:2 row_mask:0xf bank_mask:0xf bound_ctrl:1
	v_add_f32_e32 v37, v37, v43
	v_add_f32_e32 v43, v44, v49
	;; [unrolled: 1-line block ×3, first 2 shown]
	v_cvt_i32_f32_e32 v44, v43
	v_cvt_i32_f32_e32 v41, v39
	;; [unrolled: 1-line block ×3, first 2 shown]
	v_cvt_f32_i32_dpp v44, v44 row_shr:1 row_mask:0xf bank_mask:0xf bound_ctrl:1
	v_cvt_f32_i32_dpp v34, v41 row_shr:1 row_mask:0xf bank_mask:0xf bound_ctrl:1
	v_cvt_f32_i32_dpp v41, v49 row_bcast:15 row_mask:0xf bank_mask:0xf bound_ctrl:1
	v_cvt_i32_f32_e32 v49, v55
	v_add_f32_e32 v43, v43, v44
	v_add_f32_e32 v34, v39, v34
	v_cvt_i32_f32_e32 v44, v43
	v_cvt_i32_f32_e32 v39, v34
	v_add_f32_e32 v54, v37, v41
	v_cvt_i32_f32_e32 v41, v54
	v_cvt_f32_i32_dpp v44, v44 row_bcast:15 row_mask:0xf bank_mask:0xf bound_ctrl:1
	v_cvt_f32_i32_dpp v37, v39 row_bcast:15 row_mask:0xf bank_mask:0xf bound_ctrl:1
	v_mov_b32_dpp v57, v49 row_bcast:31 row_mask:0xf bank_mask:0xf bound_ctrl:1
	v_mov_b32_dpp v56, v41 row_bcast:31 row_mask:0xf bank_mask:0xf bound_ctrl:1
	v_add_f32_e32 v39, v43, v44
	v_add_f32_e32 v34, v34, v37
	v_cvt_i32_f32_e32 v43, v39
	v_cvt_i32_f32_e32 v37, v34
	s_nop 0
	v_mov_b32_dpp v41, v43 row_bcast:31 row_mask:0xf bank_mask:0xf bound_ctrl:1
	v_mov_b32_dpp v37, v37 row_bcast:31 row_mask:0xf bank_mask:0xf bound_ctrl:1
	s_and_saveexec_b64 s[30:31], s[0:1]
	s_cbranch_execz .LBB153_62
; %bb.39:                               ;   in Loop: Header=BB153_13 Depth=1
	s_andn2_b64 vcc, exec, s[26:27]
	v_mov_b32_e32 v43, 0
	v_mov_b32_e32 v53, 0
	;; [unrolled: 1-line block ×14, first 2 shown]
	s_waitcnt vmcnt(5)
	v_mov_b32_e32 v63, 0
	s_waitcnt vmcnt(4)
	v_mov_b32_e32 v61, 0
	;; [unrolled: 2-line block ×6, first 2 shown]
	s_cbranch_vccnz .LBB153_41
; %bb.40:                               ;   in Loop: Header=BB153_13 Depth=1
	v_mul_hi_u32 v43, v42, v1
	v_mul_lo_u32 v43, v43, s10
	v_sub_u32_e32 v43, v42, v43
	v_subrev_u32_e32 v44, s10, v43
	v_cmp_le_u32_e32 vcc, s10, v43
	v_mov_b32_e32 v61, v45
	v_mov_b32_e32 v79, v45
	v_cndmask_b32_e32 v43, v43, v44, vcc
	v_subrev_u32_e32 v44, s10, v43
	v_cmp_le_u32_e32 vcc, s10, v43
	v_mov_b32_e32 v81, v45
	v_mov_b32_e32 v73, v45
	v_cndmask_b32_e32 v44, v43, v44, vcc
	v_mul_hi_u32 v43, v52, v1
	v_mul_lo_u32 v43, v43, s10
	v_sub_u32_e32 v43, v52, v43
	v_subrev_u32_e32 v49, s10, v43
	v_cmp_le_u32_e32 vcc, s10, v43
	v_add_u32_e32 v72, s38, v44
	v_mov_b32_e32 v75, v45
	v_cndmask_b32_e32 v43, v43, v49, vcc
	v_subrev_u32_e32 v49, s10, v43
	v_cmp_le_u32_e32 vcc, s10, v43
	v_mov_b32_e32 v77, v45
	v_lshl_add_u64 v[58:59], v[44:45], 1, s[18:19]
	v_cndmask_b32_e32 v60, v43, v49, vcc
	v_mul_hi_u32 v43, v50, v1
	v_mul_lo_u32 v43, v43, s10
	v_sub_u32_e32 v43, v50, v43
	v_subrev_u32_e32 v49, s10, v43
	v_cmp_le_u32_e32 vcc, s10, v43
	v_add_u32_e32 v74, s38, v60
	v_lshl_add_u64 v[62:63], v[60:61], 1, s[18:19]
	v_cndmask_b32_e32 v43, v43, v49, vcc
	v_subrev_u32_e32 v49, s10, v43
	v_cmp_le_u32_e32 vcc, s10, v43
	v_lshl_add_u64 v[72:73], v[72:73], 1, s[18:19]
	v_lshl_add_u64 v[74:75], v[74:75], 1, s[18:19]
	v_cndmask_b32_e32 v78, v43, v49, vcc
	v_mul_hi_u32 v43, v48, v1
	v_mul_lo_u32 v43, v43, s10
	v_sub_u32_e32 v43, v48, v43
	v_subrev_u32_e32 v49, s10, v43
	v_cmp_le_u32_e32 vcc, s10, v43
	v_add_u32_e32 v76, s38, v78
	v_lshl_add_u64 v[68:69], v[78:79], 1, s[18:19]
	v_cndmask_b32_e32 v43, v43, v49, vcc
	v_subrev_u32_e32 v49, s10, v43
	v_cmp_le_u32_e32 vcc, s10, v43
	v_lshl_add_u64 v[82:83], v[76:77], 1, s[18:19]
	v_add_u32_e32 v86, s40, v60
	v_cndmask_b32_e32 v80, v43, v49, vcc
	v_lshl_add_u64 v[70:71], v[80:81], 1, s[18:19]
	v_add_u32_e32 v76, s38, v80
	v_lshl_add_u64 v[84:85], v[76:77], 1, s[18:19]
	global_load_ushort v43, v[58:59], off
	global_load_ushort v53, v[62:63], off
	;; [unrolled: 1-line block ×5, first 2 shown]
	s_nop 0
	global_load_ushort v75, v[74:75], off
	s_nop 0
	global_load_ushort v73, v[82:83], off
	global_load_ushort v71, v[84:85], off
	v_add_u32_e32 v58, s39, v44
	v_mov_b32_e32 v59, v45
	v_add_u32_e32 v62, s39, v60
	v_mov_b32_e32 v63, v45
	;; [unrolled: 2-line block ×3, first 2 shown]
	v_lshl_add_u64 v[58:59], v[58:59], 1, s[18:19]
	v_lshl_add_u64 v[62:63], v[62:63], 1, s[18:19]
	;; [unrolled: 1-line block ×3, first 2 shown]
	v_add_u32_e32 v82, s39, v80
	v_mov_b32_e32 v83, v45
	v_add_u32_e32 v84, s40, v44
	v_mov_b32_e32 v85, v45
	v_mov_b32_e32 v87, v45
	v_add_u32_e32 v88, s40, v78
	v_mov_b32_e32 v89, v45
	v_add_u32_e32 v90, s40, v80
	v_mov_b32_e32 v91, v45
	v_lshl_add_u64 v[82:83], v[82:83], 1, s[18:19]
	v_lshl_add_u64 v[84:85], v[84:85], 1, s[18:19]
	;; [unrolled: 1-line block ×5, first 2 shown]
	global_load_ushort v74, v[58:59], off
	global_load_ushort v72, v[62:63], off
	;; [unrolled: 1-line block ×3, first 2 shown]
	s_nop 0
	global_load_ushort v69, v[82:83], off
	global_load_ushort v68, v[84:85], off
	;; [unrolled: 1-line block ×5, first 2 shown]
	v_add_u32_e32 v44, s41, v44
	v_lshl_add_u64 v[58:59], v[44:45], 1, s[18:19]
	v_add_u32_e32 v44, s41, v60
	v_lshl_add_u64 v[82:83], v[44:45], 1, s[18:19]
	;; [unrolled: 2-line block ×4, first 2 shown]
	global_load_ushort v62, v[58:59], off
	global_load_ushort v60, v[82:83], off
	s_nop 0
	global_load_ushort v59, v[78:79], off
	global_load_ushort v58, v[80:81], off
.LBB153_41:                             ;   in Loop: Header=BB153_13 Depth=1
	v_cmp_ne_u32_e32 vcc, 0, v2
	s_and_saveexec_b64 s[4:5], vcc
	s_cbranch_execnz .LBB153_67
; %bb.42:                               ;   in Loop: Header=BB153_13 Depth=1
	s_or_b64 exec, exec, s[4:5]
	v_cmp_ne_u32_e64 s[4:5], 0, v3
	s_and_saveexec_b64 s[6:7], s[4:5]
	s_cbranch_execnz .LBB153_68
.LBB153_43:                             ;   in Loop: Header=BB153_13 Depth=1
	s_or_b64 exec, exec, s[6:7]
	v_cmp_ne_u32_e64 s[6:7], 0, v4
	s_and_saveexec_b64 s[8:9], s[6:7]
	s_cbranch_execnz .LBB153_69
.LBB153_44:                             ;   in Loop: Header=BB153_13 Depth=1
	s_or_b64 exec, exec, s[8:9]
	v_cmp_ne_u32_e64 s[8:9], 0, v5
	s_and_saveexec_b64 s[34:35], s[8:9]
	s_cbranch_execnz .LBB153_70
.LBB153_45:                             ;   in Loop: Header=BB153_13 Depth=1
	s_or_b64 exec, exec, s[34:35]
	v_add_u32_e32 v44, s15, v42
	s_and_saveexec_b64 s[34:35], vcc
	s_cbranch_execnz .LBB153_71
.LBB153_46:                             ;   in Loop: Header=BB153_13 Depth=1
	s_or_b64 exec, exec, s[34:35]
	s_and_saveexec_b64 s[34:35], s[4:5]
	s_cbranch_execnz .LBB153_72
.LBB153_47:                             ;   in Loop: Header=BB153_13 Depth=1
	s_or_b64 exec, exec, s[34:35]
	s_and_saveexec_b64 s[34:35], s[6:7]
	s_cbranch_execnz .LBB153_73
.LBB153_48:                             ;   in Loop: Header=BB153_13 Depth=1
	s_or_b64 exec, exec, s[34:35]
	s_and_saveexec_b64 s[34:35], s[8:9]
	s_cbranch_execnz .LBB153_74
.LBB153_49:                             ;   in Loop: Header=BB153_13 Depth=1
	s_or_b64 exec, exec, s[34:35]
	v_add_u32_e32 v44, s15, v44
	s_and_saveexec_b64 s[34:35], vcc
	s_cbranch_execnz .LBB153_75
.LBB153_50:                             ;   in Loop: Header=BB153_13 Depth=1
	s_or_b64 exec, exec, s[34:35]
	s_and_saveexec_b64 s[34:35], s[4:5]
	s_cbranch_execnz .LBB153_76
.LBB153_51:                             ;   in Loop: Header=BB153_13 Depth=1
	s_or_b64 exec, exec, s[34:35]
	s_and_saveexec_b64 s[34:35], s[6:7]
	s_cbranch_execnz .LBB153_77
.LBB153_52:                             ;   in Loop: Header=BB153_13 Depth=1
	s_or_b64 exec, exec, s[34:35]
	s_and_saveexec_b64 s[34:35], s[8:9]
	s_cbranch_execnz .LBB153_78
.LBB153_53:                             ;   in Loop: Header=BB153_13 Depth=1
	s_or_b64 exec, exec, s[34:35]
	v_add_u32_e32 v44, s15, v44
	s_and_saveexec_b64 s[34:35], vcc
	s_cbranch_execnz .LBB153_79
.LBB153_54:                             ;   in Loop: Header=BB153_13 Depth=1
	s_or_b64 exec, exec, s[34:35]
	s_and_saveexec_b64 s[34:35], s[4:5]
	s_cbranch_execnz .LBB153_80
.LBB153_55:                             ;   in Loop: Header=BB153_13 Depth=1
	s_or_b64 exec, exec, s[34:35]
	s_and_saveexec_b64 s[34:35], s[6:7]
	s_cbranch_execnz .LBB153_81
.LBB153_56:                             ;   in Loop: Header=BB153_13 Depth=1
	s_or_b64 exec, exec, s[34:35]
	s_and_saveexec_b64 s[34:35], s[8:9]
	s_cbranch_execnz .LBB153_82
.LBB153_57:                             ;   in Loop: Header=BB153_13 Depth=1
	s_or_b64 exec, exec, s[34:35]
	v_add_u32_e32 v44, s15, v44
	s_and_saveexec_b64 s[34:35], vcc
	s_cbranch_execnz .LBB153_83
.LBB153_58:                             ;   in Loop: Header=BB153_13 Depth=1
	s_or_b64 exec, exec, s[34:35]
	s_and_saveexec_b64 s[34:35], s[4:5]
	s_cbranch_execnz .LBB153_84
.LBB153_59:                             ;   in Loop: Header=BB153_13 Depth=1
	s_or_b64 exec, exec, s[34:35]
	s_and_saveexec_b64 s[4:5], s[6:7]
	s_cbranch_execnz .LBB153_85
.LBB153_60:                             ;   in Loop: Header=BB153_13 Depth=1
	s_or_b64 exec, exec, s[4:5]
	s_and_b64 exec, exec, s[8:9]
	s_cbranch_execz .LBB153_62
.LBB153_61:                             ;   in Loop: Header=BB153_13 Depth=1
	v_cvt_f32_i32_e32 v6, v37
	s_waitcnt vmcnt(0)
	v_cvt_f32_f16_e32 v7, v58
	v_add_u32_e32 v44, 3, v44
	v_add_f32_e32 v6, v34, v6
	v_add_f32_e32 v6, v6, v7
	v_cvt_f16_f32_e32 v8, v6
	s_waitcnt lgkmcnt(0)
	v_lshl_add_u64 v[6:7], v[44:45], 1, s[22:23]
	global_store_short v[6:7], v8, off
.LBB153_62:                             ;   in Loop: Header=BB153_13 Depth=1
	s_or_b64 exec, exec, s[30:31]
	v_add_u32_e32 v42, s37, v42
	v_add_u32_e32 v6, 4, v42
	v_cmp_gt_u32_e32 vcc, s15, v42
	v_cmp_le_u32_e64 s[4:5], s15, v6
	s_and_b64 s[4:5], vcc, s[4:5]
	s_and_saveexec_b64 s[6:7], s[4:5]
	s_cbranch_execz .LBB153_12
; %bb.63:                               ;   in Loop: Header=BB153_13 Depth=1
	v_cmp_ne_u32_e32 vcc, s11, v42
	s_and_saveexec_b64 s[8:9], vcc
	s_cbranch_execz .LBB153_11
; %bb.64:                               ;   in Loop: Header=BB153_13 Depth=1
	v_subrev_u32_e32 v6, s11, v42
	v_cmp_lt_u32_e32 vcc, 1, v6
	s_mov_b64 s[30:31], 0
	s_mov_b64 s[34:35], 0
	v_cndmask_b32_e32 v6, 1, v6, vcc
.LBB153_65:                             ;   Parent Loop BB153_13 Depth=1
                                        ; =>  This Inner Loop Header: Depth=2
	s_cmp_lg_u32 s34, 3
	s_cselect_b64 vcc, -1, 0
	s_cmp_lg_u32 s34, 2
	v_cndmask_b32_e32 v5, 0, v5, vcc
	s_cselect_b64 vcc, -1, 0
	s_cmp_lg_u32 s34, 1
	v_cndmask_b32_e32 v4, 0, v4, vcc
	;; [unrolled: 3-line block ×3, first 2 shown]
	s_cselect_b64 vcc, -1, 0
	s_add_u32 s34, s34, 1
	s_addc_u32 s35, s35, 0
	v_cmp_eq_u32_e64 s[4:5], s34, v6
	s_or_b64 s[30:31], s[4:5], s[30:31]
	v_cndmask_b32_e32 v2, 0, v2, vcc
	s_andn2_b64 exec, exec, s[30:31]
	s_cbranch_execnz .LBB153_65
; %bb.66:                               ;   in Loop: Header=BB153_13 Depth=1
	s_or_b64 exec, exec, s[30:31]
	s_branch .LBB153_11
.LBB153_67:                             ;   in Loop: Header=BB153_13 Depth=1
	v_cvt_f32_i32_e32 v11, v11
	s_waitcnt vmcnt(19)
	v_cvt_f32_f16_e32 v43, v43
	v_add_f32_e32 v8, v8, v11
	v_add_f32_e32 v8, v8, v43
	v_cvt_f16_f32_e32 v8, v8
	v_mov_b32_e32 v43, v45
	s_waitcnt lgkmcnt(0)
	v_lshl_add_u64 v[78:79], v[42:43], 1, s[22:23]
	global_store_short v[78:79], v8, off
	s_or_b64 exec, exec, s[4:5]
	v_cmp_ne_u32_e64 s[4:5], 0, v3
	s_and_saveexec_b64 s[6:7], s[4:5]
	s_cbranch_execz .LBB153_43
.LBB153_68:                             ;   in Loop: Header=BB153_13 Depth=1
	v_cvt_f32_i32_e32 v8, v10
	s_waitcnt vmcnt(18)
	v_cvt_f32_f16_e32 v10, v53
	v_mov_b32_e32 v53, v45
	v_add_f32_e32 v6, v6, v8
	v_add_f32_e32 v6, v6, v10
	v_cvt_f16_f32_e32 v6, v6
	s_waitcnt lgkmcnt(0)
	v_lshl_add_u64 v[10:11], v[52:53], 1, s[22:23]
	global_store_short v[10:11], v6, off
	s_or_b64 exec, exec, s[6:7]
	v_cmp_ne_u32_e64 s[6:7], 0, v4
	s_and_saveexec_b64 s[8:9], s[6:7]
	s_cbranch_execz .LBB153_44
.LBB153_69:                             ;   in Loop: Header=BB153_13 Depth=1
	v_cvt_f32_i32_e32 v6, v13
	s_waitcnt vmcnt(17)
	v_cvt_f32_f16_e32 v8, v51
	v_mov_b32_e32 v51, v45
	v_add_f32_e32 v6, v7, v6
	v_add_f32_e32 v6, v6, v8
	v_cvt_f16_f32_e32 v8, v6
	s_waitcnt lgkmcnt(0)
	v_lshl_add_u64 v[6:7], v[50:51], 1, s[22:23]
	global_store_short v[6:7], v8, off
	s_or_b64 exec, exec, s[8:9]
	v_cmp_ne_u32_e64 s[8:9], 0, v5
	s_and_saveexec_b64 s[34:35], s[8:9]
	s_cbranch_execz .LBB153_45
.LBB153_70:                             ;   in Loop: Header=BB153_13 Depth=1
	v_cvt_f32_i32_e32 v6, v16
	s_waitcnt vmcnt(16)
	v_cvt_f32_f16_e32 v7, v49
	v_mov_b32_e32 v49, v45
	v_add_f32_e32 v6, v9, v6
	v_add_f32_e32 v6, v6, v7
	v_cvt_f16_f32_e32 v8, v6
	s_waitcnt lgkmcnt(0)
	v_lshl_add_u64 v[6:7], v[48:49], 1, s[22:23]
	global_store_short v[6:7], v8, off
	s_or_b64 exec, exec, s[34:35]
	v_add_u32_e32 v44, s15, v42
	s_and_saveexec_b64 s[34:35], vcc
	s_cbranch_execz .LBB153_46
.LBB153_71:                             ;   in Loop: Header=BB153_13 Depth=1
	v_cvt_f32_i32_e32 v6, v17
	s_waitcnt vmcnt(15)
	v_cvt_f32_f16_e32 v7, v76
	v_add_f32_e32 v6, v12, v6
	v_add_f32_e32 v6, v6, v7
	v_cvt_f16_f32_e32 v8, v6
	s_waitcnt lgkmcnt(0)
	v_lshl_add_u64 v[6:7], v[44:45], 1, s[22:23]
	global_store_short v[6:7], v8, off
	s_or_b64 exec, exec, s[34:35]
	s_and_saveexec_b64 s[34:35], s[4:5]
	s_cbranch_execz .LBB153_47
.LBB153_72:                             ;   in Loop: Header=BB153_13 Depth=1
	v_cvt_f32_i32_e32 v6, v19
	s_waitcnt vmcnt(14)
	v_cvt_f32_f16_e32 v7, v75
	v_add_f32_e32 v6, v14, v6
	v_add_f32_e32 v6, v6, v7
	v_cvt_f16_f32_e32 v8, v6
	v_add_u32_e32 v6, 1, v44
	v_mov_b32_e32 v7, v45
	s_waitcnt lgkmcnt(0)
	v_lshl_add_u64 v[6:7], v[6:7], 1, s[22:23]
	global_store_short v[6:7], v8, off
	s_or_b64 exec, exec, s[34:35]
	s_and_saveexec_b64 s[34:35], s[6:7]
	s_cbranch_execz .LBB153_48
.LBB153_73:                             ;   in Loop: Header=BB153_13 Depth=1
	v_cvt_f32_i32_e32 v6, v21
	s_waitcnt vmcnt(13)
	v_cvt_f32_f16_e32 v7, v73
	v_add_f32_e32 v6, v15, v6
	v_add_f32_e32 v6, v6, v7
	v_cvt_f16_f32_e32 v8, v6
	v_add_u32_e32 v6, 2, v44
	v_mov_b32_e32 v7, v45
	s_waitcnt lgkmcnt(0)
	v_lshl_add_u64 v[6:7], v[6:7], 1, s[22:23]
	global_store_short v[6:7], v8, off
	s_or_b64 exec, exec, s[34:35]
	s_and_saveexec_b64 s[34:35], s[8:9]
	s_cbranch_execz .LBB153_49
.LBB153_74:                             ;   in Loop: Header=BB153_13 Depth=1
	v_cvt_f32_i32_e32 v6, v23
	s_waitcnt vmcnt(12)
	v_cvt_f32_f16_e32 v7, v71
	v_add_f32_e32 v6, v18, v6
	v_add_f32_e32 v6, v6, v7
	v_cvt_f16_f32_e32 v8, v6
	v_add_u32_e32 v6, 3, v44
	v_mov_b32_e32 v7, v45
	s_waitcnt lgkmcnt(0)
	v_lshl_add_u64 v[6:7], v[6:7], 1, s[22:23]
	global_store_short v[6:7], v8, off
	s_or_b64 exec, exec, s[34:35]
	v_add_u32_e32 v44, s15, v44
	s_and_saveexec_b64 s[34:35], vcc
	s_cbranch_execz .LBB153_50
.LBB153_75:                             ;   in Loop: Header=BB153_13 Depth=1
	v_cvt_f32_i32_e32 v6, v26
	s_waitcnt vmcnt(11)
	v_cvt_f32_f16_e32 v7, v74
	v_add_f32_e32 v6, v20, v6
	v_add_f32_e32 v6, v6, v7
	v_cvt_f16_f32_e32 v8, v6
	s_waitcnt lgkmcnt(0)
	v_lshl_add_u64 v[6:7], v[44:45], 1, s[22:23]
	global_store_short v[6:7], v8, off
	s_or_b64 exec, exec, s[34:35]
	s_and_saveexec_b64 s[34:35], s[4:5]
	s_cbranch_execz .LBB153_51
.LBB153_76:                             ;   in Loop: Header=BB153_13 Depth=1
	v_cvt_f32_i32_e32 v6, v27
	s_waitcnt vmcnt(10)
	v_cvt_f32_f16_e32 v7, v72
	v_add_f32_e32 v6, v22, v6
	v_add_f32_e32 v6, v6, v7
	v_cvt_f16_f32_e32 v8, v6
	v_add_u32_e32 v6, 1, v44
	v_mov_b32_e32 v7, v45
	s_waitcnt lgkmcnt(0)
	v_lshl_add_u64 v[6:7], v[6:7], 1, s[22:23]
	global_store_short v[6:7], v8, off
	s_or_b64 exec, exec, s[34:35]
	s_and_saveexec_b64 s[34:35], s[6:7]
	s_cbranch_execz .LBB153_52
.LBB153_77:                             ;   in Loop: Header=BB153_13 Depth=1
	v_cvt_f32_i32_e32 v6, v28
	s_waitcnt vmcnt(9)
	v_cvt_f32_f16_e32 v7, v70
	v_add_f32_e32 v6, v24, v6
	v_add_f32_e32 v6, v6, v7
	v_cvt_f16_f32_e32 v8, v6
	v_add_u32_e32 v6, 2, v44
	v_mov_b32_e32 v7, v45
	s_waitcnt lgkmcnt(0)
	v_lshl_add_u64 v[6:7], v[6:7], 1, s[22:23]
	global_store_short v[6:7], v8, off
	s_or_b64 exec, exec, s[34:35]
	s_and_saveexec_b64 s[34:35], s[8:9]
	s_cbranch_execz .LBB153_53
.LBB153_78:                             ;   in Loop: Header=BB153_13 Depth=1
	v_cvt_f32_i32_e32 v6, v30
	s_waitcnt vmcnt(8)
	v_cvt_f32_f16_e32 v7, v69
	v_add_f32_e32 v6, v25, v6
	v_add_f32_e32 v6, v6, v7
	v_cvt_f16_f32_e32 v8, v6
	v_add_u32_e32 v6, 3, v44
	v_mov_b32_e32 v7, v45
	s_waitcnt lgkmcnt(0)
	v_lshl_add_u64 v[6:7], v[6:7], 1, s[22:23]
	global_store_short v[6:7], v8, off
	s_or_b64 exec, exec, s[34:35]
	v_add_u32_e32 v44, s15, v44
	s_and_saveexec_b64 s[34:35], vcc
	s_cbranch_execz .LBB153_54
.LBB153_79:                             ;   in Loop: Header=BB153_13 Depth=1
	v_cvt_f32_i32_e32 v6, v36
	s_waitcnt vmcnt(7)
	v_cvt_f32_f16_e32 v7, v68
	v_add_f32_e32 v6, v29, v6
	v_add_f32_e32 v6, v6, v7
	v_cvt_f16_f32_e32 v8, v6
	s_waitcnt lgkmcnt(0)
	v_lshl_add_u64 v[6:7], v[44:45], 1, s[22:23]
	global_store_short v[6:7], v8, off
	s_or_b64 exec, exec, s[34:35]
	s_and_saveexec_b64 s[34:35], s[4:5]
	s_cbranch_execz .LBB153_55
.LBB153_80:                             ;   in Loop: Header=BB153_13 Depth=1
	v_cvt_f32_i32_e32 v6, v38
	s_waitcnt vmcnt(6)
	v_cvt_f32_f16_e32 v7, v67
	v_add_f32_e32 v6, v31, v6
	v_add_f32_e32 v6, v6, v7
	v_cvt_f16_f32_e32 v8, v6
	v_add_u32_e32 v6, 1, v44
	v_mov_b32_e32 v7, v45
	s_waitcnt lgkmcnt(0)
	v_lshl_add_u64 v[6:7], v[6:7], 1, s[22:23]
	global_store_short v[6:7], v8, off
	s_or_b64 exec, exec, s[34:35]
	s_and_saveexec_b64 s[34:35], s[6:7]
	s_cbranch_execz .LBB153_56
.LBB153_81:                             ;   in Loop: Header=BB153_13 Depth=1
	v_cvt_f32_i32_e32 v6, v40
	s_waitcnt vmcnt(5)
	v_cvt_f32_f16_e32 v7, v63
	v_add_f32_e32 v6, v32, v6
	v_add_f32_e32 v6, v6, v7
	v_cvt_f16_f32_e32 v8, v6
	v_add_u32_e32 v6, 2, v44
	v_mov_b32_e32 v7, v45
	s_waitcnt lgkmcnt(0)
	v_lshl_add_u64 v[6:7], v[6:7], 1, s[22:23]
	global_store_short v[6:7], v8, off
	s_or_b64 exec, exec, s[34:35]
	s_and_saveexec_b64 s[34:35], s[8:9]
	s_cbranch_execz .LBB153_57
.LBB153_82:                             ;   in Loop: Header=BB153_13 Depth=1
	v_cvt_f32_i32_e32 v6, v35
	s_waitcnt vmcnt(4)
	v_cvt_f32_f16_e32 v7, v61
	v_add_f32_e32 v6, v33, v6
	v_add_f32_e32 v6, v6, v7
	v_cvt_f16_f32_e32 v8, v6
	v_add_u32_e32 v6, 3, v44
	v_mov_b32_e32 v7, v45
	s_waitcnt lgkmcnt(0)
	v_lshl_add_u64 v[6:7], v[6:7], 1, s[22:23]
	global_store_short v[6:7], v8, off
	s_or_b64 exec, exec, s[34:35]
	v_add_u32_e32 v44, s15, v44
	s_and_saveexec_b64 s[34:35], vcc
	s_cbranch_execz .LBB153_58
.LBB153_83:                             ;   in Loop: Header=BB153_13 Depth=1
	v_cvt_f32_i32_e32 v6, v57
	s_waitcnt vmcnt(3)
	v_cvt_f32_f16_e32 v7, v62
	v_add_f32_e32 v6, v55, v6
	v_add_f32_e32 v6, v6, v7
	v_cvt_f16_f32_e32 v8, v6
	s_waitcnt lgkmcnt(0)
	v_lshl_add_u64 v[6:7], v[44:45], 1, s[22:23]
	global_store_short v[6:7], v8, off
	s_or_b64 exec, exec, s[34:35]
	s_and_saveexec_b64 s[34:35], s[4:5]
	s_cbranch_execz .LBB153_59
.LBB153_84:                             ;   in Loop: Header=BB153_13 Depth=1
	v_cvt_f32_i32_e32 v6, v56
	s_waitcnt vmcnt(2)
	v_cvt_f32_f16_e32 v7, v60
	v_add_f32_e32 v6, v54, v6
	v_add_f32_e32 v6, v6, v7
	v_cvt_f16_f32_e32 v8, v6
	v_add_u32_e32 v6, 1, v44
	v_mov_b32_e32 v7, v45
	s_waitcnt lgkmcnt(0)
	v_lshl_add_u64 v[6:7], v[6:7], 1, s[22:23]
	global_store_short v[6:7], v8, off
	s_or_b64 exec, exec, s[34:35]
	s_and_saveexec_b64 s[4:5], s[6:7]
	s_cbranch_execz .LBB153_60
.LBB153_85:                             ;   in Loop: Header=BB153_13 Depth=1
	v_cvt_f32_i32_e32 v6, v41
	s_waitcnt vmcnt(1)
	v_cvt_f32_f16_e32 v7, v59
	v_add_f32_e32 v6, v39, v6
	v_add_f32_e32 v6, v6, v7
	v_cvt_f16_f32_e32 v8, v6
	v_add_u32_e32 v6, 2, v44
	v_mov_b32_e32 v7, v45
	s_waitcnt lgkmcnt(0)
	v_lshl_add_u64 v[6:7], v[6:7], 1, s[22:23]
	global_store_short v[6:7], v8, off
	s_or_b64 exec, exec, s[4:5]
	s_and_b64 exec, exec, s[8:9]
	s_cbranch_execnz .LBB153_61
	s_branch .LBB153_62
.LBB153_86:
	s_endpgm
	.section	.rodata,"a",@progbits
	.p2align	6, 0x0
	.amdhsa_kernel _Z12wvSplitK_hf_I6__halfLi64ELi4ELi16ELi8ELi1ELi5EEviiiiiiPKT_S3_S3_PS1_ii
		.amdhsa_group_segment_fixed_size 65536
		.amdhsa_private_segment_fixed_size 0
		.amdhsa_kernarg_size 64
		.amdhsa_user_sgpr_count 2
		.amdhsa_user_sgpr_dispatch_ptr 0
		.amdhsa_user_sgpr_queue_ptr 0
		.amdhsa_user_sgpr_kernarg_segment_ptr 1
		.amdhsa_user_sgpr_dispatch_id 0
		.amdhsa_user_sgpr_kernarg_preload_length 0
		.amdhsa_user_sgpr_kernarg_preload_offset 0
		.amdhsa_user_sgpr_private_segment_size 0
		.amdhsa_uses_dynamic_stack 0
		.amdhsa_enable_private_segment 0
		.amdhsa_system_sgpr_workgroup_id_x 1
		.amdhsa_system_sgpr_workgroup_id_y 0
		.amdhsa_system_sgpr_workgroup_id_z 0
		.amdhsa_system_sgpr_workgroup_info 0
		.amdhsa_system_vgpr_workitem_id 1
		.amdhsa_next_free_vgpr 92
		.amdhsa_next_free_sgpr 46
		.amdhsa_accum_offset 92
		.amdhsa_reserve_vcc 1
		.amdhsa_float_round_mode_32 0
		.amdhsa_float_round_mode_16_64 0
		.amdhsa_float_denorm_mode_32 3
		.amdhsa_float_denorm_mode_16_64 3
		.amdhsa_dx10_clamp 1
		.amdhsa_ieee_mode 1
		.amdhsa_fp16_overflow 0
		.amdhsa_tg_split 0
		.amdhsa_exception_fp_ieee_invalid_op 0
		.amdhsa_exception_fp_denorm_src 0
		.amdhsa_exception_fp_ieee_div_zero 0
		.amdhsa_exception_fp_ieee_overflow 0
		.amdhsa_exception_fp_ieee_underflow 0
		.amdhsa_exception_fp_ieee_inexact 0
		.amdhsa_exception_int_div_zero 0
	.end_amdhsa_kernel
	.section	.text._Z12wvSplitK_hf_I6__halfLi64ELi4ELi16ELi8ELi1ELi5EEviiiiiiPKT_S3_S3_PS1_ii,"axG",@progbits,_Z12wvSplitK_hf_I6__halfLi64ELi4ELi16ELi8ELi1ELi5EEviiiiiiPKT_S3_S3_PS1_ii,comdat
.Lfunc_end153:
	.size	_Z12wvSplitK_hf_I6__halfLi64ELi4ELi16ELi8ELi1ELi5EEviiiiiiPKT_S3_S3_PS1_ii, .Lfunc_end153-_Z12wvSplitK_hf_I6__halfLi64ELi4ELi16ELi8ELi1ELi5EEviiiiiiPKT_S3_S3_PS1_ii
                                        ; -- End function
	.section	.AMDGPU.csdata,"",@progbits
; Kernel info:
; codeLenInByte = 6552
; NumSgprs: 52
; NumVgprs: 92
; NumAgprs: 0
; TotalNumVgprs: 92
; ScratchSize: 0
; MemoryBound: 1
; FloatMode: 240
; IeeeMode: 1
; LDSByteSize: 65536 bytes/workgroup (compile time only)
; SGPRBlocks: 6
; VGPRBlocks: 11
; NumSGPRsForWavesPerEU: 52
; NumVGPRsForWavesPerEU: 92
; AccumOffset: 92
; Occupancy: 4
; WaveLimiterHint : 0
; COMPUTE_PGM_RSRC2:SCRATCH_EN: 0
; COMPUTE_PGM_RSRC2:USER_SGPR: 2
; COMPUTE_PGM_RSRC2:TRAP_HANDLER: 0
; COMPUTE_PGM_RSRC2:TGID_X_EN: 1
; COMPUTE_PGM_RSRC2:TGID_Y_EN: 0
; COMPUTE_PGM_RSRC2:TGID_Z_EN: 0
; COMPUTE_PGM_RSRC2:TIDIG_COMP_CNT: 1
; COMPUTE_PGM_RSRC3_GFX90A:ACCUM_OFFSET: 22
; COMPUTE_PGM_RSRC3_GFX90A:TG_SPLIT: 0
	.section	.text._Z16wvSplitK_hf_big_I6__halfLi64ELi4ELi16ELi8ELi1ELi5EEviiiiiiPKT_S3_S3_PS1_ii,"axG",@progbits,_Z16wvSplitK_hf_big_I6__halfLi64ELi4ELi16ELi8ELi1ELi5EEviiiiiiPKT_S3_S3_PS1_ii,comdat
	.protected	_Z16wvSplitK_hf_big_I6__halfLi64ELi4ELi16ELi8ELi1ELi5EEviiiiiiPKT_S3_S3_PS1_ii ; -- Begin function _Z16wvSplitK_hf_big_I6__halfLi64ELi4ELi16ELi8ELi1ELi5EEviiiiiiPKT_S3_S3_PS1_ii
	.globl	_Z16wvSplitK_hf_big_I6__halfLi64ELi4ELi16ELi8ELi1ELi5EEviiiiiiPKT_S3_S3_PS1_ii
	.p2align	8
	.type	_Z16wvSplitK_hf_big_I6__halfLi64ELi4ELi16ELi8ELi1ELi5EEviiiiiiPKT_S3_S3_PS1_ii,@function
_Z16wvSplitK_hf_big_I6__halfLi64ELi4ELi16ELi8ELi1ELi5EEviiiiiiPKT_S3_S3_PS1_ii: ; @_Z16wvSplitK_hf_big_I6__halfLi64ELi4ELi16ELi8ELi1ELi5EEviiiiiiPKT_S3_S3_PS1_ii
; %bb.0:
	s_load_dwordx2 s[8:9], s[0:1], 0x38
	v_bfe_u32 v7, v0, 10, 10
	s_waitcnt lgkmcnt(0)
	v_cmp_gt_u32_e32 vcc, s8, v7
	s_and_saveexec_b64 s[4:5], vcc
	s_cbranch_execz .LBB154_78
; %bb.1:
	s_load_dwordx4 s[20:23], s[0:1], 0x0
	s_mul_i32 s2, s2, s8
	v_add_lshl_u32 v42, s2, v7, 2
	s_mov_b32 s4, 1
	v_add_u32_e32 v1, 4, v42
	s_mov_b32 s5, s4
	s_waitcnt lgkmcnt(0)
	v_cmp_gt_u32_e32 vcc, s23, v42
	v_cmp_le_u32_e64 s[2:3], s23, v1
	s_mov_b32 s6, s4
	s_mov_b32 s7, s4
	v_mov_b64_e32 v[2:3], s[4:5]
	s_and_b64 s[10:11], vcc, s[2:3]
	v_mov_b64_e32 v[4:5], s[6:7]
	s_and_saveexec_b64 s[2:3], s[10:11]
	s_cbranch_execz .LBB154_7
; %bb.2:
	s_add_i32 s16, s23, -4
	v_mov_b64_e32 v[2:3], s[4:5]
	v_cmp_ne_u32_e32 vcc, s16, v42
	v_mov_b64_e32 v[4:5], s[6:7]
	s_and_saveexec_b64 s[10:11], vcc
	s_cbranch_execz .LBB154_6
; %bb.3:
	v_subrev_u32_e32 v1, s16, v42
	v_cmp_lt_u32_e32 vcc, 1, v1
	s_mov_b64 s[12:13], 0
	s_mov_b64 s[14:15], 0
	v_cndmask_b32_e32 v6, 1, v1, vcc
	s_mov_b32 s5, s4
	s_mov_b32 s6, s4
	;; [unrolled: 1-line block ×3, first 2 shown]
.LBB154_4:                              ; =>This Inner Loop Header: Depth=1
	s_cmp_lg_u32 s14, 3
	s_cselect_b32 s7, s7, 0
	s_cmp_lg_u32 s14, 2
	s_cselect_b32 s6, s6, 0
	;; [unrolled: 2-line block ×4, first 2 shown]
	s_add_u32 s14, s14, 1
	s_addc_u32 s15, s15, 0
	v_cmp_eq_u32_e32 vcc, s14, v6
	v_mov_b64_e32 v[2:3], s[4:5]
	s_or_b64 s[12:13], vcc, s[12:13]
	v_mov_b64_e32 v[4:5], s[6:7]
	s_andn2_b64 exec, exec, s[12:13]
	s_cbranch_execnz .LBB154_4
; %bb.5:
	s_or_b64 exec, exec, s[12:13]
	v_mov_b32_e32 v42, s16
.LBB154_6:
	s_or_b64 exec, exec, s[10:11]
.LBB154_7:
	s_or_b64 exec, exec, s[2:3]
	s_lshl_b32 s2, s8, 2
	s_abs_i32 s3, s2
	v_cvt_f32_u32_e32 v1, s3
	s_sub_i32 s6, 0, s3
	s_abs_i32 s5, s23
	s_ashr_i32 s4, s23, 31
	v_rcp_iflag_f32_e32 v1, v1
	s_nop 0
	v_mul_f32_e32 v1, 0x4f7ffffe, v1
	v_cvt_u32_f32_e32 v1, v1
	s_nop 0
	v_readfirstlane_b32 s7, v1
	s_mul_i32 s6, s6, s7
	s_mul_hi_u32 s6, s7, s6
	s_add_i32 s7, s7, s6
	s_mul_hi_u32 s6, s5, s7
	s_mul_i32 s6, s6, s3
	s_sub_i32 s5, s5, s6
	s_sub_i32 s6, s5, s3
	s_cmp_ge_u32 s5, s3
	s_cselect_b32 s5, s6, s5
	s_sub_i32 s6, s5, s3
	s_cmp_ge_u32 s5, s3
	s_cselect_b32 s3, s6, s5
	s_xor_b32 s3, s3, s4
	s_sub_i32 s3, s3, s4
	s_add_i32 s2, s2, s23
	s_sub_i32 s2, s2, s3
	s_cmp_eq_u32 s3, 0
	s_cselect_b32 s33, s23, s2
	v_cmp_gt_u32_e32 vcc, s33, v42
	s_and_b64 exec, exec, vcc
	s_cbranch_execz .LBB154_78
; %bb.8:
	s_load_dwordx8 s[12:19], s[0:1], 0x10
	s_min_u32 s40, s22, 0x1800
	s_cmp_lg_u32 s20, 0
	s_load_dwordx2 s[24:25], s[0:1], 0x30
	s_cselect_b64 s[2:3], -1, 0
	s_cmp_lg_u32 s22, 0
	s_mul_i32 s0, s9, s8
	s_cselect_b64 s[4:5], -1, 0
	s_lshl_b32 s41, s8, 9
	s_add_i32 s42, s20, -8
	s_add_i32 s43, s23, -1
	s_lshl_b32 s44, s0, 2
	s_waitcnt lgkmcnt(0)
	s_cmp_lg_u64 s[18:19], 0
	s_cselect_b64 s[28:29], -1, 0
	s_abs_i32 s6, s13
	v_cvt_f32_u32_e32 v1, s12
	v_cvt_f32_u32_e32 v6, s6
	s_sub_i32 s7, 0, s12
	s_add_i32 s13, s23, -4
	v_rcp_iflag_f32_e32 v1, v1
	v_rcp_iflag_f32_e32 v6, v6
	v_and_b32_e32 v0, 0x3ff, v0
	v_lshlrev_b32_e32 v45, 3, v0
	v_mul_f32_e32 v1, 0x4f7ffffe, v1
	v_mul_f32_e32 v6, 0x4f7ffffe, v6
	v_cvt_u32_f32_e32 v1, v1
	v_cvt_u32_f32_e32 v6, v6
	v_cmp_eq_u32_e64 s[0:1], 63, v0
	v_lshlrev_b32_e32 v0, 4, v0
	v_mul_lo_u32 v8, s7, v1
	s_sub_i32 s7, 0, s6
	v_readfirstlane_b32 s9, v6
	s_mul_i32 s7, s7, s9
	s_mul_hi_u32 s7, s9, s7
	s_add_i32 s9, s9, s7
	s_sub_i32 s7, 1, s6
	s_cmp_lt_u32 s6, 2
	s_cselect_b32 s7, s7, 1
	s_sub_i32 s10, s7, s6
	s_cmp_ge_u32 s7, s6
	s_cselect_b32 s45, s10, s7
	s_lshr_b32 s7, s9, 31
	s_mul_i32 s7, s7, s6
	s_sub_i32 s7, 2, s7
	s_sub_i32 s10, s7, s6
	s_cmp_ge_u32 s7, s6
	s_cselect_b32 s7, s10, s7
	s_sub_i32 s10, s7, s6
	s_cmp_ge_u32 s7, s6
	s_cselect_b32 s46, s10, s7
	s_mul_hi_u32 s7, s9, 3
	s_mul_i32 s7, s7, s6
	s_sub_i32 s7, 3, s7
	s_sub_i32 s10, s7, s6
	s_cmp_ge_u32 s7, s6
	s_cselect_b32 s7, s10, s7
	s_sub_i32 s10, s7, s6
	s_cmp_ge_u32 s7, s6
	s_cselect_b32 s47, s10, s7
	s_lshr_b32 s7, s9, 30
	s_mul_i32 s7, s7, s6
	s_sub_i32 s7, 4, s7
	s_sub_i32 s9, s7, s6
	s_cmp_ge_u32 s7, s6
	s_cselect_b32 s7, s9, s7
	s_sub_i32 s9, s7, s6
	s_cmp_ge_u32 s7, s6
	v_lshl_add_u32 v57, v7, 10, v0
	v_lshl_add_u32 v44, v7, 9, v45
	v_cndmask_b32_e64 v0, 0, 1, s[2:3]
	v_mul_hi_u32 v8, v1, v8
	s_cselect_b32 s48, s9, s7
	s_add_u32 s30, s24, 2
	v_mad_u64_u32 v[46:47], s[6:7], s22, 3, v[44:45]
	v_cmp_ne_u32_e64 s[2:3], 1, v0
	v_cndmask_b32_e64 v0, 0, 1, s[4:5]
	s_mov_b64 s[26:27], 0
	v_add_u32_e32 v56, v1, v8
	v_mov_b32_e32 v1, 0
	s_mul_i32 s45, s45, s12
	s_mul_i32 s46, s46, s12
	;; [unrolled: 1-line block ×4, first 2 shown]
	s_addc_u32 s31, s25, 0
	s_lshl_b32 s49, s40, 3
	s_lshl_b32 s50, s8, 10
	s_mul_i32 s51, s40, 6
	s_lshl_b32 s52, s40, 2
	s_lshl_b32 s53, s40, 1
	v_lshl_add_u32 v58, s22, 1, v44
	v_lshl_add_u32 v47, s22, 2, v44
	v_add_u32_e32 v59, s22, v44
	v_cmp_ne_u32_e64 s[4:5], 1, v0
	s_branch .LBB154_12
.LBB154_9:                              ;   in Loop: Header=BB154_12 Depth=1
	s_or_b64 exec, exec, s[10:11]
	v_mov_b32_e32 v42, s13
.LBB154_10:                             ;   in Loop: Header=BB154_12 Depth=1
	s_or_b64 exec, exec, s[8:9]
.LBB154_11:                             ;   in Loop: Header=BB154_12 Depth=1
	s_or_b64 exec, exec, s[34:35]
	v_cmp_le_u32_e32 vcc, s33, v42
	s_or_b64 s[26:27], vcc, s[26:27]
	s_andn2_b64 exec, exec, s[26:27]
	s_cbranch_execz .LBB154_78
.LBB154_12:                             ; =>This Loop Header: Depth=1
                                        ;     Child Loop BB154_16 Depth 2
                                        ;       Child Loop BB154_21 Depth 3
                                        ;     Child Loop BB154_57 Depth 2
	s_mov_b32 s36, 0
	s_and_b64 vcc, exec, s[2:3]
	v_mov_b32_e32 v78, v1
	v_mov_b32_e32 v77, v1
	s_waitcnt vmcnt(18)
	v_mov_b32_e32 v76, v1
	s_waitcnt vmcnt(17)
	v_mov_b32_e32 v75, v1
	v_mov_b32_e32 v43, v1
	s_waitcnt vmcnt(2)
	v_mov_b32_e32 v60, v1
	v_mov_b32_e32 v61, v1
	;; [unrolled: 1-line block ×15, first 2 shown]
	s_cbranch_vccnz .LBB154_27
; %bb.13:                               ;   in Loop: Header=BB154_12 Depth=1
	v_min_u32_e32 v0, s43, v42
	v_mul_lo_u32 v48, v0, s21
	v_add_u32_e32 v0, 1, v42
	v_min_u32_e32 v0, s43, v0
	v_mul_lo_u32 v50, v0, s21
	v_add_u32_e32 v0, 2, v42
	;; [unrolled: 3-line block ×3, first 2 shown]
	v_min_u32_e32 v0, s43, v0
	v_cmp_gt_u32_e64 s[6:7], s23, v42
	v_mov_b32_e32 v49, v1
	v_mov_b32_e32 v51, v1
	;; [unrolled: 1-line block ×3, first 2 shown]
	s_waitcnt vmcnt(0)
	v_mul_lo_u32 v54, v0, s21
	v_mov_b32_e32 v55, v1
	v_mov_b32_e32 v74, 0
	;; [unrolled: 1-line block ×21, first 2 shown]
	s_mov_b32 s37, 0
	s_branch .LBB154_16
.LBB154_14:                             ;   in Loop: Header=BB154_16 Depth=2
	s_or_b64 exec, exec, s[10:11]
	s_waitcnt vmcnt(3) lgkmcnt(4)
	;;#ASMSTART
	v_dot2c_f32_f16 v78, v38, v18
	;;#ASMEND
	s_waitcnt vmcnt(2)
	;;#ASMSTART
	v_dot2c_f32_f16 v77, v38, v14
	;;#ASMEND
	s_waitcnt vmcnt(1)
	;; [unrolled: 4-line block ×3, first 2 shown]
	;;#ASMSTART
	v_dot2c_f32_f16 v75, v38, v6
	;;#ASMEND
	s_waitcnt lgkmcnt(3)
	;;#ASMSTART
	v_dot2c_f32_f16 v74, v34, v18
	;;#ASMEND
	;;#ASMSTART
	v_dot2c_f32_f16 v73, v34, v14
	;;#ASMEND
	;;#ASMSTART
	v_dot2c_f32_f16 v72, v34, v10
	;;#ASMEND
	;;#ASMSTART
	v_dot2c_f32_f16 v71, v34, v6
	;;#ASMEND
	s_waitcnt lgkmcnt(2)
	;;#ASMSTART
	v_dot2c_f32_f16 v70, v30, v18
	;;#ASMEND
	;;#ASMSTART
	v_dot2c_f32_f16 v69, v30, v14
	;;#ASMEND
	;;#ASMSTART
	v_dot2c_f32_f16 v68, v30, v10
	;;#ASMEND
	;; [unrolled: 13-line block ×4, first 2 shown]
	;;#ASMSTART
	v_dot2c_f32_f16 v43, v22, v6
	;;#ASMEND
	;;#ASMSTART
	v_dot2c_f32_f16 v78, v39, v19
	;;#ASMEND
	;;#ASMSTART
	v_dot2c_f32_f16 v77, v39, v15
	;;#ASMEND
	;;#ASMSTART
	v_dot2c_f32_f16 v76, v39, v11
	;;#ASMEND
	;;#ASMSTART
	v_dot2c_f32_f16 v75, v39, v7
	;;#ASMEND
	;;#ASMSTART
	v_dot2c_f32_f16 v74, v35, v19
	;;#ASMEND
	;;#ASMSTART
	v_dot2c_f32_f16 v73, v35, v15
	;;#ASMEND
	;;#ASMSTART
	v_dot2c_f32_f16 v72, v35, v11
	;;#ASMEND
	;;#ASMSTART
	v_dot2c_f32_f16 v71, v35, v7
	;;#ASMEND
	;;#ASMSTART
	v_dot2c_f32_f16 v70, v31, v19
	;;#ASMEND
	;;#ASMSTART
	v_dot2c_f32_f16 v69, v31, v15
	;;#ASMEND
	;;#ASMSTART
	v_dot2c_f32_f16 v68, v31, v11
	;;#ASMEND
	;;#ASMSTART
	v_dot2c_f32_f16 v67, v31, v7
	;;#ASMEND
	;;#ASMSTART
	v_dot2c_f32_f16 v66, v27, v19
	;;#ASMEND
	;;#ASMSTART
	v_dot2c_f32_f16 v65, v27, v15
	;;#ASMEND
	;;#ASMSTART
	v_dot2c_f32_f16 v64, v27, v11
	;;#ASMEND
	;;#ASMSTART
	v_dot2c_f32_f16 v63, v27, v7
	;;#ASMEND
	s_nop 0
	;;#ASMSTART
	v_dot2c_f32_f16 v62, v23, v19
	;;#ASMEND
	;;#ASMSTART
	v_dot2c_f32_f16 v61, v23, v15
	;;#ASMEND
	;;#ASMSTART
	v_dot2c_f32_f16 v60, v23, v11
	;;#ASMEND
	;;#ASMSTART
	v_dot2c_f32_f16 v43, v23, v7
	;;#ASMEND
	;;#ASMSTART
	v_dot2c_f32_f16 v78, v40, v20
	;;#ASMEND
	;;#ASMSTART
	v_dot2c_f32_f16 v77, v40, v16
	;;#ASMEND
	;;#ASMSTART
	v_dot2c_f32_f16 v76, v40, v12
	;;#ASMEND
	;;#ASMSTART
	v_dot2c_f32_f16 v75, v40, v8
	;;#ASMEND
	;;#ASMSTART
	v_dot2c_f32_f16 v74, v36, v20
	;;#ASMEND
	;;#ASMSTART
	v_dot2c_f32_f16 v73, v36, v16
	;;#ASMEND
	;;#ASMSTART
	v_dot2c_f32_f16 v72, v36, v12
	;;#ASMEND
	;;#ASMSTART
	v_dot2c_f32_f16 v71, v36, v8
	;;#ASMEND
	;;#ASMSTART
	v_dot2c_f32_f16 v70, v32, v20
	;;#ASMEND
	;;#ASMSTART
	v_dot2c_f32_f16 v69, v32, v16
	;;#ASMEND
	;;#ASMSTART
	v_dot2c_f32_f16 v68, v32, v12
	;;#ASMEND
	;;#ASMSTART
	v_dot2c_f32_f16 v67, v32, v8
	;;#ASMEND
	;;#ASMSTART
	v_dot2c_f32_f16 v66, v28, v20
	;;#ASMEND
	;;#ASMSTART
	v_dot2c_f32_f16 v65, v28, v16
	;;#ASMEND
	;;#ASMSTART
	v_dot2c_f32_f16 v64, v28, v12
	;;#ASMEND
	;;#ASMSTART
	v_dot2c_f32_f16 v63, v28, v8
	;;#ASMEND
	s_nop 0
	;;#ASMSTART
	v_dot2c_f32_f16 v62, v24, v20
	;;#ASMEND
	;;#ASMSTART
	v_dot2c_f32_f16 v61, v24, v16
	;;#ASMEND
	;;#ASMSTART
	v_dot2c_f32_f16 v60, v24, v12
	;;#ASMEND
	;; [unrolled: 61-line block ×3, first 2 shown]
	;;#ASMSTART
	v_dot2c_f32_f16 v43, v25, v9
	;;#ASMEND
.LBB154_15:                             ;   in Loop: Header=BB154_16 Depth=2
	s_or_b64 exec, exec, s[8:9]
	s_addk_i32 s37, 0x200
	s_cmp_ge_u32 s37, s20
	s_cbranch_scc1 .LBB154_27
.LBB154_16:                             ;   Parent Loop BB154_12 Depth=1
                                        ; =>  This Loop Header: Depth=2
                                        ;       Child Loop BB154_21 Depth 3
	s_cmp_eq_u32 s37, 0
	s_cselect_b64 s[8:9], -1, 0
	s_add_i32 s10, s36, s40
	s_cmp_eq_u32 s37, s10
	s_cselect_b64 s[34:35], -1, 0
	s_or_b64 s[34:35], s[8:9], s[34:35]
	s_andn2_b64 vcc, exec, s[34:35]
	s_cbranch_vccz .LBB154_18
; %bb.17:                               ;   in Loop: Header=BB154_16 Depth=2
	s_and_saveexec_b64 s[8:9], s[6:7]
	s_cbranch_execz .LBB154_15
	s_branch .LBB154_25
.LBB154_18:                             ;   in Loop: Header=BB154_16 Depth=2
	s_and_b64 s[8:9], s[8:9], exec
	s_cselect_b32 s36, s36, s10
	s_and_b64 vcc, exec, s[4:5]
	s_barrier
	s_cbranch_vccnz .LBB154_24
; %bb.19:                               ;   in Loop: Header=BB154_16 Depth=2
	v_add_u32_e32 v6, s36, v58
	v_add_u32_e32 v7, s36, v46
	v_add_u32_e32 v8, s36, v47
	v_add_u32_e32 v9, s36, v59
	v_add_u32_e32 v10, s36, v44
	s_mov_b32 s38, 0
	s_mov_b64 s[10:11], 0
	v_mov_b32_e32 v11, v57
                                        ; implicit-def: $sgpr34_sgpr35
	s_branch .LBB154_21
.LBB154_20:                             ;   in Loop: Header=BB154_21 Depth=3
	s_or_b64 exec, exec, s[8:9]
	s_and_b64 s[8:9], exec, s[34:35]
	s_or_b64 s[10:11], s[8:9], s[10:11]
	s_andn2_b64 exec, exec, s[10:11]
	s_cbranch_execz .LBB154_23
.LBB154_21:                             ;   Parent Loop BB154_12 Depth=1
                                        ;     Parent Loop BB154_16 Depth=2
                                        ; =>    This Inner Loop Header: Depth=3
	v_add_u32_e32 v12, s38, v44
	v_add_u32_e32 v0, s38, v10
	v_cmp_gt_u32_e32 vcc, s22, v0
	v_cmp_gt_u32_e64 s[8:9], s40, v12
	s_and_b64 s[54:55], s[8:9], vcc
	s_or_b64 s[34:35], s[34:35], exec
	s_and_saveexec_b64 s[8:9], s[54:55]
	s_cbranch_execz .LBB154_20
; %bb.22:                               ;   in Loop: Header=BB154_21 Depth=3
	v_lshl_add_u64 v[12:13], v[0:1], 1, s[16:17]
	v_add_u32_e32 v0, s38, v9
	v_lshl_add_u64 v[16:17], v[0:1], 1, s[16:17]
	v_add_u32_e32 v0, s38, v6
	;; [unrolled: 2-line block ×3, first 2 shown]
	v_lshl_add_u64 v[24:25], v[0:1], 1, s[16:17]
	global_load_dwordx4 v[12:15], v[12:13], off
	s_nop 0
	global_load_dwordx4 v[16:19], v[16:17], off
	s_nop 0
	;; [unrolled: 2-line block ×3, first 2 shown]
	global_load_dwordx4 v[24:27], v[24:25], off
	v_add_u32_e32 v0, s38, v8
	v_lshl_add_u64 v[28:29], v[0:1], 1, s[16:17]
	global_load_dwordx4 v[28:31], v[28:29], off
	s_add_i32 s38, s38, s41
	s_cmp_ge_u32 s38, s40
	s_cselect_b64 s[54:55], -1, 0
	s_andn2_b64 s[34:35], s[34:35], exec
	s_and_b64 s[54:55], s[54:55], exec
	v_add_u32_e32 v0, s53, v11
	v_add_u32_e32 v32, s52, v11
	;; [unrolled: 1-line block ×4, first 2 shown]
	s_or_b64 s[34:35], s[34:35], s[54:55]
	s_waitcnt vmcnt(4)
	ds_write_b128 v11, v[12:15]
	v_add_u32_e32 v11, s50, v11
	s_waitcnt vmcnt(3)
	ds_write2_b64 v0, v[16:17], v[18:19] offset1:1
	s_waitcnt vmcnt(2)
	ds_write2_b32 v32, v20, v21 offset1:1
	ds_write2_b32 v32, v22, v23 offset0:2 offset1:3
	s_waitcnt vmcnt(1)
	ds_write2_b64 v33, v[24:25], v[26:27] offset1:1
	s_waitcnt vmcnt(0)
	ds_write2_b64 v34, v[28:29], v[30:31] offset1:1
	s_branch .LBB154_20
.LBB154_23:                             ;   in Loop: Header=BB154_16 Depth=2
	s_or_b64 exec, exec, s[10:11]
.LBB154_24:                             ;   in Loop: Header=BB154_16 Depth=2
	s_waitcnt lgkmcnt(0)
	s_barrier
	s_and_saveexec_b64 s[8:9], s[6:7]
	s_cbranch_execz .LBB154_15
.LBB154_25:                             ;   in Loop: Header=BB154_16 Depth=2
	v_add_u32_e32 v79, s37, v45
	v_min_u32_e32 v0, s42, v79
	v_lshl_add_u64 v[6:7], v[0:1], 1, s[14:15]
	v_lshl_add_u64 v[8:9], v[48:49], 1, v[6:7]
	;; [unrolled: 1-line block ×4, first 2 shown]
	global_load_dwordx4 v[18:21], v[8:9], off nt
	global_load_dwordx4 v[14:17], v[10:11], off nt
	v_lshl_add_u64 v[24:25], v[54:55], 1, v[6:7]
	global_load_dwordx4 v[10:13], v[22:23], off nt
	global_load_dwordx4 v[6:9], v[24:25], off nt
	v_cmp_gt_u32_e32 vcc, s20, v79
	v_mov_b32_e32 v38, 0
	v_mov_b32_e32 v39, 0
	;; [unrolled: 1-line block ×20, first 2 shown]
	s_and_saveexec_b64 s[10:11], vcc
	s_cbranch_execz .LBB154_14
; %bb.26:                               ;   in Loop: Header=BB154_16 Depth=2
	v_subrev_u32_e32 v0, s36, v79
	v_lshlrev_b32_e32 v0, 1, v0
	v_add_u32_e32 v22, s53, v0
	ds_read_b128 v[38:41], v0
	ds_read_b128 v[34:37], v22
	v_add_u32_e32 v0, s53, v22
	v_add_u32_e32 v22, s53, v0
	ds_read_b128 v[30:33], v0
	ds_read_b128 v[26:29], v22
	v_add_u32_e32 v0, s53, v22
	ds_read_b128 v[22:25], v0
	s_branch .LBB154_14
.LBB154_27:                             ;   in Loop: Header=BB154_12 Depth=1
	v_cmp_le_u32_e32 vcc, s23, v42
	s_and_saveexec_b64 s[6:7], vcc
	s_xor_b64 s[6:7], exec, s[6:7]
; %bb.28:                               ;   in Loop: Header=BB154_12 Depth=1
	v_add_u32_e32 v42, s44, v42
                                        ; implicit-def: $vgpr78
                                        ; implicit-def: $vgpr77
                                        ; implicit-def: $vgpr76
                                        ; implicit-def: $vgpr75
                                        ; implicit-def: $vgpr43
                                        ; implicit-def: $vgpr60
                                        ; implicit-def: $vgpr61
                                        ; implicit-def: $vgpr62
                                        ; implicit-def: $vgpr63
                                        ; implicit-def: $vgpr64
                                        ; implicit-def: $vgpr65
                                        ; implicit-def: $vgpr66
                                        ; implicit-def: $vgpr67
                                        ; implicit-def: $vgpr68
                                        ; implicit-def: $vgpr69
                                        ; implicit-def: $vgpr70
                                        ; implicit-def: $vgpr71
                                        ; implicit-def: $vgpr72
                                        ; implicit-def: $vgpr73
                                        ; implicit-def: $vgpr74
; %bb.29:                               ;   in Loop: Header=BB154_12 Depth=1
	s_andn2_saveexec_b64 s[34:35], s[6:7]
	s_cbranch_execz .LBB154_11
; %bb.30:                               ;   in Loop: Header=BB154_12 Depth=1
	v_cvt_i32_f32_e32 v0, v78
	v_cvt_i32_f32_e32 v6, v77
	;; [unrolled: 1-line block ×4, first 2 shown]
	v_cvt_f32_i32_dpp v0, v0 row_shr:8 row_mask:0xf bank_mask:0xf bound_ctrl:1
	v_cvt_f32_i32_dpp v6, v6 row_shr:8 row_mask:0xf bank_mask:0xf bound_ctrl:1
	;; [unrolled: 1-line block ×4, first 2 shown]
	v_add_f32_e32 v0, v78, v0
	v_cvt_i32_f32_e32 v9, v0
	v_add_f32_e32 v6, v77, v6
	v_cvt_i32_f32_e32 v10, v6
	v_add_f32_e32 v7, v76, v7
	v_cvt_f32_i32_dpp v9, v9 row_shr:4 row_mask:0xf bank_mask:0xf bound_ctrl:1
	v_cvt_i32_f32_e32 v11, v7
	v_cvt_f32_i32_dpp v10, v10 row_shr:4 row_mask:0xf bank_mask:0xf bound_ctrl:1
	v_add_f32_e32 v8, v75, v8
	v_add_f32_e32 v0, v0, v9
	v_cvt_i32_f32_e32 v9, v0
	v_add_f32_e32 v6, v6, v10
	v_cvt_i32_f32_e32 v10, v6
	v_cvt_f32_i32_dpp v11, v11 row_shr:4 row_mask:0xf bank_mask:0xf bound_ctrl:1
	v_cvt_f32_i32_dpp v9, v9 row_shr:2 row_mask:0xf bank_mask:0xf bound_ctrl:1
	v_cvt_i32_f32_e32 v12, v8
	v_cvt_f32_i32_dpp v10, v10 row_shr:2 row_mask:0xf bank_mask:0xf bound_ctrl:1
	v_add_f32_e32 v7, v7, v11
	v_add_f32_e32 v0, v0, v9
	v_cvt_i32_f32_e32 v9, v0
	v_add_f32_e32 v6, v6, v10
	v_cvt_i32_f32_e32 v10, v6
	v_cvt_i32_f32_e32 v11, v7
	v_cvt_f32_i32_dpp v9, v9 row_shr:1 row_mask:0xf bank_mask:0xf bound_ctrl:1
	v_cvt_f32_i32_dpp v12, v12 row_shr:4 row_mask:0xf bank_mask:0xf bound_ctrl:1
	;; [unrolled: 1-line block ×4, first 2 shown]
	v_add_f32_e32 v0, v0, v9
	v_cvt_i32_f32_e32 v9, v0
	v_add_f32_e32 v6, v6, v10
	v_cvt_i32_f32_e32 v10, v6
	v_add_f32_e32 v11, v7, v11
	v_cvt_f32_i32_dpp v9, v9 row_bcast:15 row_mask:0xf bank_mask:0xf bound_ctrl:1
	v_cvt_i32_f32_e32 v7, v11
	v_add_f32_e32 v8, v8, v12
	v_cvt_f32_i32_dpp v12, v10 row_bcast:15 row_mask:0xf bank_mask:0xf bound_ctrl:1
	v_add_f32_e32 v10, v0, v9
	v_cvt_i32_f32_e32 v0, v10
	v_cvt_f32_i32_dpp v9, v7 row_shr:1 row_mask:0xf bank_mask:0xf bound_ctrl:1
	v_add_f32_e32 v7, v6, v12
	v_cvt_i32_f32_e32 v6, v7
	v_mov_b32_dpp v13, v0 row_bcast:31 row_mask:0xf bank_mask:0xf bound_ctrl:1
	v_cvt_i32_f32_e32 v0, v8
	v_add_f32_e32 v9, v11, v9
	v_cvt_i32_f32_e32 v11, v74
	v_mov_b32_dpp v12, v6 row_bcast:31 row_mask:0xf bank_mask:0xf bound_ctrl:1
	v_cvt_f32_i32_dpp v0, v0 row_shr:2 row_mask:0xf bank_mask:0xf bound_ctrl:1
	v_cvt_i32_f32_e32 v14, v9
	v_cvt_f32_i32_dpp v6, v11 row_shr:8 row_mask:0xf bank_mask:0xf bound_ctrl:1
	v_add_f32_e32 v0, v8, v0
	v_cvt_f32_i32_dpp v11, v14 row_bcast:15 row_mask:0xf bank_mask:0xf bound_ctrl:1
	v_add_f32_e32 v6, v74, v6
	v_cvt_i32_f32_e32 v8, v0
	v_cvt_i32_f32_e32 v14, v6
	v_add_f32_e32 v9, v9, v11
	v_cvt_i32_f32_e32 v11, v73
	v_cvt_f32_i32_dpp v8, v8 row_shr:1 row_mask:0xf bank_mask:0xf bound_ctrl:1
	v_cvt_f32_i32_dpp v14, v14 row_shr:4 row_mask:0xf bank_mask:0xf bound_ctrl:1
	v_cvt_i32_f32_e32 v15, v9
	v_add_f32_e32 v0, v0, v8
	v_cvt_f32_i32_dpp v8, v11 row_shr:8 row_mask:0xf bank_mask:0xf bound_ctrl:1
	v_add_f32_e32 v6, v6, v14
	v_cvt_i32_f32_e32 v11, v6
	v_cvt_i32_f32_e32 v14, v0
	v_add_f32_e32 v8, v73, v8
	v_cvt_i32_f32_e32 v16, v8
	v_cvt_f32_i32_dpp v11, v11 row_shr:2 row_mask:0xf bank_mask:0xf bound_ctrl:1
	v_cvt_f32_i32_dpp v14, v14 row_bcast:15 row_mask:0xf bank_mask:0xf bound_ctrl:1
	v_mov_b32_dpp v15, v15 row_bcast:31 row_mask:0xf bank_mask:0xf bound_ctrl:1
	v_cvt_f32_i32_dpp v16, v16 row_shr:4 row_mask:0xf bank_mask:0xf bound_ctrl:1
	v_add_f32_e32 v6, v6, v11
	v_cvt_i32_f32_e32 v17, v6
	v_add_f32_e32 v11, v0, v14
	v_add_f32_e32 v0, v8, v16
	v_cvt_i32_f32_e32 v8, v0
	v_cvt_f32_i32_dpp v14, v17 row_shr:1 row_mask:0xf bank_mask:0xf bound_ctrl:1
	v_cvt_i32_f32_e32 v16, v72
	v_cvt_i32_f32_e32 v17, v11
	v_cvt_f32_i32_dpp v8, v8 row_shr:2 row_mask:0xf bank_mask:0xf bound_ctrl:1
	v_add_f32_e32 v6, v6, v14
	v_cvt_f32_i32_dpp v14, v16 row_shr:8 row_mask:0xf bank_mask:0xf bound_ctrl:1
	v_cvt_i32_f32_e32 v16, v6
	v_add_f32_e32 v0, v0, v8
	v_cvt_i32_f32_e32 v8, v0
	v_add_f32_e32 v19, v72, v14
	v_cvt_i32_f32_e32 v14, v19
	v_cvt_f32_i32_dpp v16, v16 row_bcast:15 row_mask:0xf bank_mask:0xf bound_ctrl:1
	v_cvt_f32_i32_dpp v8, v8 row_shr:1 row_mask:0xf bank_mask:0xf bound_ctrl:1
	v_mov_b32_dpp v18, v17 row_bcast:31 row_mask:0xf bank_mask:0xf bound_ctrl:1
	v_cvt_f32_i32_dpp v17, v14 row_shr:4 row_mask:0xf bank_mask:0xf bound_ctrl:1
	v_add_f32_e32 v14, v6, v16
	v_cvt_i32_f32_e32 v6, v71
	v_add_f32_e32 v0, v0, v8
	v_add_f32_e32 v8, v19, v17
	v_cvt_i32_f32_e32 v16, v8
	v_cvt_f32_i32_dpp v6, v6 row_shr:8 row_mask:0xf bank_mask:0xf bound_ctrl:1
	v_cvt_i32_f32_e32 v17, v0
	v_cvt_i32_f32_e32 v19, v14
	v_cvt_f32_i32_dpp v16, v16 row_shr:2 row_mask:0xf bank_mask:0xf bound_ctrl:1
	v_add_f32_e32 v6, v71, v6
	v_cvt_i32_f32_e32 v20, v6
	v_cvt_f32_i32_dpp v17, v17 row_bcast:15 row_mask:0xf bank_mask:0xf bound_ctrl:1
	v_add_f32_e32 v8, v8, v16
	v_cvt_i32_f32_e32 v21, v8
	v_cvt_f32_i32_dpp v20, v20 row_shr:4 row_mask:0xf bank_mask:0xf bound_ctrl:1
	v_add_f32_e32 v16, v0, v17
	v_cvt_i32_f32_e32 v17, v16
	v_cvt_f32_i32_dpp v0, v21 row_shr:1 row_mask:0xf bank_mask:0xf bound_ctrl:1
	v_add_f32_e32 v6, v6, v20
	v_cvt_i32_f32_e32 v20, v6
	v_mov_b32_dpp v21, v17 row_bcast:31 row_mask:0xf bank_mask:0xf bound_ctrl:1
	v_add_f32_e32 v0, v8, v0
	v_cvt_i32_f32_e32 v8, v70
	v_cvt_f32_i32_dpp v20, v20 row_shr:2 row_mask:0xf bank_mask:0xf bound_ctrl:1
	v_cvt_i32_f32_e32 v22, v0
	v_mov_b32_dpp v19, v19 row_bcast:31 row_mask:0xf bank_mask:0xf bound_ctrl:1
	v_cvt_f32_i32_dpp v8, v8 row_shr:8 row_mask:0xf bank_mask:0xf bound_ctrl:1
	v_add_f32_e32 v6, v6, v20
	v_cvt_f32_i32_dpp v17, v22 row_bcast:15 row_mask:0xf bank_mask:0xf bound_ctrl:1
	v_cvt_i32_f32_e32 v20, v6
	v_add_f32_e32 v8, v70, v8
	v_cvt_i32_f32_e32 v22, v8
	v_add_f32_e32 v17, v0, v17
	v_cvt_f32_i32_dpp v0, v20 row_shr:1 row_mask:0xf bank_mask:0xf bound_ctrl:1
	v_cvt_i32_f32_e32 v20, v69
	v_cvt_f32_i32_dpp v22, v22 row_shr:4 row_mask:0xf bank_mask:0xf bound_ctrl:1
	v_cvt_i32_f32_e32 v23, v17
	v_add_f32_e32 v0, v6, v0
	v_cvt_f32_i32_dpp v6, v20 row_shr:8 row_mask:0xf bank_mask:0xf bound_ctrl:1
	v_add_f32_e32 v8, v8, v22
	v_cvt_i32_f32_e32 v20, v8
	v_cvt_i32_f32_e32 v22, v0
	v_add_f32_e32 v6, v69, v6
	v_cvt_i32_f32_e32 v24, v6
	v_cvt_f32_i32_dpp v20, v20 row_shr:2 row_mask:0xf bank_mask:0xf bound_ctrl:1
	v_cvt_f32_i32_dpp v22, v22 row_bcast:15 row_mask:0xf bank_mask:0xf bound_ctrl:1
	v_mov_b32_dpp v23, v23 row_bcast:31 row_mask:0xf bank_mask:0xf bound_ctrl:1
	v_cvt_f32_i32_dpp v24, v24 row_shr:4 row_mask:0xf bank_mask:0xf bound_ctrl:1
	v_add_f32_e32 v8, v8, v20
	v_add_f32_e32 v20, v0, v22
	v_cvt_i32_f32_e32 v25, v8
	v_add_f32_e32 v0, v6, v24
	v_cvt_i32_f32_e32 v6, v0
	v_cvt_i32_f32_e32 v24, v68
	v_cvt_f32_i32_dpp v22, v25 row_shr:1 row_mask:0xf bank_mask:0xf bound_ctrl:1
	v_cvt_i32_f32_e32 v25, v20
	v_cvt_f32_i32_dpp v6, v6 row_shr:2 row_mask:0xf bank_mask:0xf bound_ctrl:1
	v_add_f32_e32 v8, v8, v22
	v_cvt_f32_i32_dpp v22, v24 row_shr:8 row_mask:0xf bank_mask:0xf bound_ctrl:1
	v_add_f32_e32 v0, v0, v6
	v_cvt_i32_f32_e32 v6, v0
	v_cvt_i32_f32_e32 v24, v8
	v_add_f32_e32 v26, v68, v22
	v_cvt_i32_f32_e32 v22, v26
	v_cvt_f32_i32_dpp v6, v6 row_shr:1 row_mask:0xf bank_mask:0xf bound_ctrl:1
	v_cvt_f32_i32_dpp v24, v24 row_bcast:15 row_mask:0xf bank_mask:0xf bound_ctrl:1
	v_mov_b32_dpp v25, v25 row_bcast:31 row_mask:0xf bank_mask:0xf bound_ctrl:1
	v_cvt_f32_i32_dpp v27, v22 row_shr:4 row_mask:0xf bank_mask:0xf bound_ctrl:1
	v_add_f32_e32 v0, v0, v6
	v_cvt_i32_f32_e32 v6, v67
	v_add_f32_e32 v22, v8, v24
	v_add_f32_e32 v8, v26, v27
	v_cvt_i32_f32_e32 v24, v8
	v_cvt_f32_i32_dpp v6, v6 row_shr:8 row_mask:0xf bank_mask:0xf bound_ctrl:1
	v_cvt_i32_f32_e32 v26, v0
	v_cvt_i32_f32_e32 v27, v22
	v_cvt_f32_i32_dpp v24, v24 row_shr:2 row_mask:0xf bank_mask:0xf bound_ctrl:1
	v_add_f32_e32 v6, v67, v6
	v_cvt_i32_f32_e32 v29, v6
	v_cvt_f32_i32_dpp v26, v26 row_bcast:15 row_mask:0xf bank_mask:0xf bound_ctrl:1
	v_add_f32_e32 v8, v8, v24
	v_mov_b32_dpp v28, v27 row_bcast:31 row_mask:0xf bank_mask:0xf bound_ctrl:1
	v_cvt_f32_i32_dpp v27, v29 row_shr:4 row_mask:0xf bank_mask:0xf bound_ctrl:1
	v_cvt_i32_f32_e32 v30, v8
	v_add_f32_e32 v24, v0, v26
	v_cvt_i32_f32_e32 v26, v66
	v_add_f32_e32 v6, v6, v27
	v_cvt_f32_i32_dpp v0, v30 row_shr:1 row_mask:0xf bank_mask:0xf bound_ctrl:1
	v_cvt_i32_f32_e32 v27, v6
	v_cvt_f32_i32_dpp v26, v26 row_shr:8 row_mask:0xf bank_mask:0xf bound_ctrl:1
	v_cvt_i32_f32_e32 v29, v24
	v_add_f32_e32 v0, v8, v0
	v_cvt_f32_i32_dpp v8, v27 row_shr:2 row_mask:0xf bank_mask:0xf bound_ctrl:1
	v_add_f32_e32 v30, v66, v26
	v_cvt_i32_f32_e32 v27, v0
	v_cvt_i32_f32_e32 v26, v30
	v_add_f32_e32 v6, v6, v8
	v_cvt_i32_f32_e32 v8, v6
	v_cvt_f32_i32_dpp v27, v27 row_bcast:15 row_mask:0xf bank_mask:0xf bound_ctrl:1
	v_cvt_f32_i32_dpp v31, v26 row_shr:4 row_mask:0xf bank_mask:0xf bound_ctrl:1
	v_mov_b32_dpp v29, v29 row_bcast:31 row_mask:0xf bank_mask:0xf bound_ctrl:1
	v_cvt_f32_i32_dpp v8, v8 row_shr:1 row_mask:0xf bank_mask:0xf bound_ctrl:1
	v_add_f32_e32 v26, v0, v27
	v_add_f32_e32 v0, v30, v31
	v_cvt_i32_f32_e32 v27, v0
	v_add_f32_e32 v6, v6, v8
	v_cvt_i32_f32_e32 v8, v65
	v_cvt_i32_f32_e32 v30, v6
	v_cvt_f32_i32_dpp v27, v27 row_shr:2 row_mask:0xf bank_mask:0xf bound_ctrl:1
	v_cvt_i32_f32_e32 v31, v26
	v_cvt_f32_i32_dpp v8, v8 row_shr:8 row_mask:0xf bank_mask:0xf bound_ctrl:1
	v_cvt_f32_i32_dpp v32, v30 row_bcast:15 row_mask:0xf bank_mask:0xf bound_ctrl:1
	v_add_f32_e32 v0, v0, v27
	v_cvt_i32_f32_e32 v27, v0
	v_add_f32_e32 v8, v65, v8
	v_cvt_i32_f32_e32 v33, v8
	v_mov_b32_dpp v30, v31 row_bcast:31 row_mask:0xf bank_mask:0xf bound_ctrl:1
	v_cvt_f32_i32_dpp v31, v27 row_shr:1 row_mask:0xf bank_mask:0xf bound_ctrl:1
	v_add_f32_e32 v27, v6, v32
	v_cvt_f32_i32_dpp v6, v33 row_shr:4 row_mask:0xf bank_mask:0xf bound_ctrl:1
	v_cvt_i32_f32_e32 v32, v27
	v_add_f32_e32 v0, v0, v31
	v_cvt_i32_f32_e32 v31, v64
	v_add_f32_e32 v6, v8, v6
	v_cvt_i32_f32_e32 v8, v6
	v_cvt_i32_f32_e32 v33, v0
	v_cvt_f32_i32_dpp v31, v31 row_shr:8 row_mask:0xf bank_mask:0xf bound_ctrl:1
	v_mov_b32_dpp v32, v32 row_bcast:31 row_mask:0xf bank_mask:0xf bound_ctrl:1
	v_cvt_f32_i32_dpp v8, v8 row_shr:2 row_mask:0xf bank_mask:0xf bound_ctrl:1
	v_cvt_f32_i32_dpp v33, v33 row_bcast:15 row_mask:0xf bank_mask:0xf bound_ctrl:1
	v_add_f32_e32 v34, v64, v31
	v_cvt_i32_f32_e32 v31, v34
	v_add_f32_e32 v6, v6, v8
	v_cvt_i32_f32_e32 v8, v63
	v_cvt_i32_f32_e32 v35, v6
	v_cvt_f32_i32_dpp v36, v31 row_shr:4 row_mask:0xf bank_mask:0xf bound_ctrl:1
	v_add_f32_e32 v31, v0, v33
	v_cvt_f32_i32_dpp v0, v8 row_shr:8 row_mask:0xf bank_mask:0xf bound_ctrl:1
	v_cvt_f32_i32_dpp v8, v35 row_shr:1 row_mask:0xf bank_mask:0xf bound_ctrl:1
	v_add_f32_e32 v33, v34, v36
	v_cvt_i32_f32_e32 v34, v33
	v_add_f32_e32 v0, v63, v0
	v_cvt_i32_f32_e32 v35, v0
	v_add_f32_e32 v6, v6, v8
	v_cvt_f32_i32_dpp v34, v34 row_shr:2 row_mask:0xf bank_mask:0xf bound_ctrl:1
	v_cvt_i32_f32_e32 v36, v31
	v_cvt_f32_i32_dpp v8, v35 row_shr:4 row_mask:0xf bank_mask:0xf bound_ctrl:1
	v_cvt_i32_f32_e32 v35, v6
	v_add_f32_e32 v34, v33, v34
	v_cvt_i32_f32_e32 v33, v34
	v_add_f32_e32 v0, v0, v8
	v_cvt_i32_f32_e32 v8, v0
	v_cvt_f32_i32_dpp v35, v35 row_bcast:15 row_mask:0xf bank_mask:0xf bound_ctrl:1
	v_cvt_f32_i32_dpp v37, v33 row_shr:1 row_mask:0xf bank_mask:0xf bound_ctrl:1
	v_mov_b32_dpp v38, v36 row_bcast:31 row_mask:0xf bank_mask:0xf bound_ctrl:1
	v_cvt_f32_i32_dpp v8, v8 row_shr:2 row_mask:0xf bank_mask:0xf bound_ctrl:1
	v_add_f32_e32 v33, v6, v35
	v_add_f32_e32 v6, v34, v37
	v_cvt_i32_f32_e32 v34, v62
	v_add_f32_e32 v0, v0, v8
	v_cvt_i32_f32_e32 v8, v0
	v_cvt_i32_f32_e32 v35, v6
	v_cvt_f32_i32_dpp v34, v34 row_shr:8 row_mask:0xf bank_mask:0xf bound_ctrl:1
	v_cvt_i32_f32_e32 v36, v33
	v_cvt_f32_i32_dpp v8, v8 row_shr:1 row_mask:0xf bank_mask:0xf bound_ctrl:1
	v_cvt_f32_i32_dpp v35, v35 row_bcast:15 row_mask:0xf bank_mask:0xf bound_ctrl:1
	v_add_f32_e32 v37, v62, v34
	v_cvt_i32_f32_e32 v34, v37
	v_add_f32_e32 v0, v0, v8
	v_cvt_i32_f32_e32 v8, v0
	v_mov_b32_dpp v40, v36 row_bcast:31 row_mask:0xf bank_mask:0xf bound_ctrl:1
	v_cvt_f32_i32_dpp v36, v34 row_shr:4 row_mask:0xf bank_mask:0xf bound_ctrl:1
	v_add_f32_e32 v34, v6, v35
	v_cvt_f32_i32_dpp v6, v8 row_bcast:15 row_mask:0xf bank_mask:0xf bound_ctrl:1
	v_cvt_i32_f32_e32 v8, v61
	v_add_f32_e32 v36, v37, v36
	v_cvt_i32_f32_e32 v37, v36
	v_add_f32_e32 v35, v0, v6
	v_cvt_f32_i32_dpp v8, v8 row_shr:8 row_mask:0xf bank_mask:0xf bound_ctrl:1
	v_cvt_i32_f32_e32 v39, v34
	v_cvt_f32_i32_dpp v0, v37 row_shr:2 row_mask:0xf bank_mask:0xf bound_ctrl:1
	v_cvt_i32_f32_e32 v6, v35
	v_add_f32_e32 v8, v61, v8
	v_cvt_i32_f32_e32 v37, v8
	v_add_f32_e32 v0, v36, v0
	v_cvt_i32_f32_e32 v36, v0
	v_mov_b32_dpp v48, v39 row_bcast:31 row_mask:0xf bank_mask:0xf bound_ctrl:1
	v_cvt_f32_i32_dpp v39, v37 row_shr:4 row_mask:0xf bank_mask:0xf bound_ctrl:1
	v_mov_b32_dpp v37, v6 row_bcast:31 row_mask:0xf bank_mask:0xf bound_ctrl:1
	v_cvt_f32_i32_dpp v6, v36 row_shr:1 row_mask:0xf bank_mask:0xf bound_ctrl:1
	v_cvt_i32_f32_e32 v36, v60
	v_add_f32_e32 v8, v8, v39
	v_cvt_i32_f32_e32 v39, v43
	v_add_f32_e32 v0, v0, v6
	v_cvt_f32_i32_dpp v36, v36 row_shr:8 row_mask:0xf bank_mask:0xf bound_ctrl:1
	v_cvt_i32_f32_e32 v41, v8
	v_cvt_f32_i32_dpp v6, v39 row_shr:8 row_mask:0xf bank_mask:0xf bound_ctrl:1
	v_cvt_i32_f32_e32 v49, v0
	v_add_f32_e32 v36, v60, v36
	v_cvt_f32_i32_dpp v39, v41 row_shr:2 row_mask:0xf bank_mask:0xf bound_ctrl:1
	v_add_f32_e32 v6, v43, v6
	v_cvt_i32_f32_e32 v41, v36
	v_cvt_i32_f32_e32 v43, v6
	v_add_f32_e32 v8, v8, v39
	v_cvt_f32_i32_dpp v49, v49 row_bcast:15 row_mask:0xf bank_mask:0xf bound_ctrl:1
	v_cvt_f32_i32_dpp v41, v41 row_shr:4 row_mask:0xf bank_mask:0xf bound_ctrl:1
	v_cvt_f32_i32_dpp v39, v43 row_shr:4 row_mask:0xf bank_mask:0xf bound_ctrl:1
	v_cvt_i32_f32_e32 v43, v8
	v_add_f32_e32 v51, v0, v49
	v_add_f32_e32 v36, v36, v41
	;; [unrolled: 1-line block ×3, first 2 shown]
	v_cvt_i32_f32_e32 v41, v36
	v_cvt_i32_f32_e32 v39, v6
	v_cvt_f32_i32_dpp v43, v43 row_shr:1 row_mask:0xf bank_mask:0xf bound_ctrl:1
	v_cvt_f32_i32_dpp v41, v41 row_shr:2 row_mask:0xf bank_mask:0xf bound_ctrl:1
	;; [unrolled: 1-line block ×3, first 2 shown]
	v_add_f32_e32 v8, v8, v43
	v_cvt_i32_f32_e32 v43, v8
	v_add_f32_e32 v36, v36, v41
	v_add_f32_e32 v6, v6, v39
	v_cvt_i32_f32_e32 v41, v36
	v_cvt_i32_f32_e32 v39, v6
	s_nop 0
	v_cvt_f32_i32_dpp v41, v41 row_shr:1 row_mask:0xf bank_mask:0xf bound_ctrl:1
	v_cvt_f32_i32_dpp v0, v39 row_shr:1 row_mask:0xf bank_mask:0xf bound_ctrl:1
	v_cvt_f32_i32_dpp v39, v43 row_bcast:15 row_mask:0xf bank_mask:0xf bound_ctrl:1
	v_cvt_i32_f32_e32 v43, v51
	v_add_f32_e32 v36, v36, v41
	v_add_f32_e32 v0, v6, v0
	v_cvt_i32_f32_e32 v41, v36
	v_cvt_i32_f32_e32 v6, v0
	v_add_f32_e32 v50, v8, v39
	v_cvt_i32_f32_e32 v8, v50
	v_cvt_f32_i32_dpp v41, v41 row_bcast:15 row_mask:0xf bank_mask:0xf bound_ctrl:1
	v_cvt_f32_i32_dpp v6, v6 row_bcast:15 row_mask:0xf bank_mask:0xf bound_ctrl:1
	v_mov_b32_dpp v53, v43 row_bcast:31 row_mask:0xf bank_mask:0xf bound_ctrl:1
	v_mov_b32_dpp v52, v8 row_bcast:31 row_mask:0xf bank_mask:0xf bound_ctrl:1
	v_add_f32_e32 v41, v36, v41
	v_add_f32_e32 v36, v0, v6
	v_cvt_i32_f32_e32 v39, v41
	v_cvt_i32_f32_e32 v0, v36
	s_nop 0
	v_mov_b32_dpp v49, v39 row_bcast:31 row_mask:0xf bank_mask:0xf bound_ctrl:1
	v_mov_b32_dpp v39, v0 row_bcast:31 row_mask:0xf bank_mask:0xf bound_ctrl:1
	s_and_saveexec_b64 s[36:37], s[0:1]
	s_cbranch_execz .LBB154_54
; %bb.31:                               ;   in Loop: Header=BB154_12 Depth=1
	s_andn2_b64 vcc, exec, s[28:29]
	v_mov_b32_e32 v43, 0
	v_add_u32_e32 v8, 2, v42
	v_add_u32_e32 v6, 3, v42
	v_mov_b32_e32 v76, 0
	v_mov_b32_e32 v75, 0
	;; [unrolled: 1-line block ×17, first 2 shown]
	s_waitcnt vmcnt(1)
	v_mov_b32_e32 v55, 0
	s_waitcnt vmcnt(0)
	v_mov_b32_e32 v54, 0
	s_cbranch_vccnz .LBB154_33
; %bb.32:                               ;   in Loop: Header=BB154_12 Depth=1
	v_mul_hi_u32 v0, v42, v56
	v_mul_lo_u32 v0, v0, s12
	v_sub_u32_e32 v0, v42, v0
	v_subrev_u32_e32 v43, s12, v0
	v_cmp_le_u32_e32 vcc, s12, v0
	v_mov_b32_e32 v61, v1
	v_mov_b32_e32 v81, v1
	v_cndmask_b32_e32 v0, v0, v43, vcc
	v_subrev_u32_e32 v43, s12, v0
	v_cmp_le_u32_e32 vcc, s12, v0
	v_mov_b32_e32 v69, v1
	v_mov_b32_e32 v71, v1
	v_cndmask_b32_e32 v0, v0, v43, vcc
	v_add_u32_e32 v43, 1, v42
	v_mul_hi_u32 v60, v43, v56
	v_mul_lo_u32 v60, v60, s12
	v_sub_u32_e32 v43, v43, v60
	v_subrev_u32_e32 v60, s12, v43
	v_cmp_le_u32_e32 vcc, s12, v43
	v_add_u32_e32 v68, s45, v0
	v_mov_b32_e32 v73, v1
	v_cndmask_b32_e32 v43, v43, v60, vcc
	v_subrev_u32_e32 v60, s12, v43
	v_cmp_le_u32_e32 vcc, s12, v43
	v_lshl_add_u64 v[54:55], v[0:1], 1, s[18:19]
	v_mov_b32_e32 v79, v1
	v_cndmask_b32_e32 v60, v43, v60, vcc
	v_mul_hi_u32 v43, v8, v56
	v_mul_lo_u32 v43, v43, s12
	v_sub_u32_e32 v43, v8, v43
	v_lshl_add_u64 v[62:63], v[60:61], 1, s[18:19]
	v_subrev_u32_e32 v61, s12, v43
	v_cmp_le_u32_e32 vcc, s12, v43
	v_add_u32_e32 v70, s45, v60
	v_lshl_add_u64 v[68:69], v[68:69], 1, s[18:19]
	v_cndmask_b32_e32 v43, v43, v61, vcc
	v_subrev_u32_e32 v61, s12, v43
	v_cmp_le_u32_e32 vcc, s12, v43
	v_lshl_add_u64 v[70:71], v[70:71], 1, s[18:19]
	s_nop 0
	v_cndmask_b32_e32 v78, v43, v61, vcc
	v_mul_hi_u32 v43, v6, v56
	v_mul_lo_u32 v43, v43, s12
	v_sub_u32_e32 v43, v6, v43
	v_subrev_u32_e32 v61, s12, v43
	v_cmp_le_u32_e32 vcc, s12, v43
	v_add_u32_e32 v72, s45, v78
	v_lshl_add_u64 v[82:83], v[72:73], 1, s[18:19]
	v_cndmask_b32_e32 v43, v43, v61, vcc
	v_subrev_u32_e32 v61, s12, v43
	v_cmp_le_u32_e32 vcc, s12, v43
	v_lshl_add_u64 v[64:65], v[78:79], 1, s[18:19]
	s_nop 0
	v_cndmask_b32_e32 v80, v43, v61, vcc
	v_lshl_add_u64 v[66:67], v[80:81], 1, s[18:19]
	v_add_u32_e32 v72, s45, v80
	v_lshl_add_u64 v[84:85], v[72:73], 1, s[18:19]
	global_load_ushort v43, v[54:55], off
	global_load_ushort v76, v[62:63], off
	;; [unrolled: 1-line block ×6, first 2 shown]
	s_nop 0
	global_load_ushort v70, v[82:83], off
	global_load_ushort v68, v[84:85], off
	v_add_u32_e32 v66, s46, v80
	v_mov_b32_e32 v67, v1
	v_lshl_add_u64 v[82:83], v[66:67], 1, s[18:19]
	v_add_u32_e32 v66, s47, v0
	v_lshl_add_u64 v[84:85], v[66:67], 1, s[18:19]
	v_add_u32_e32 v66, s47, v60
	v_add_u32_e32 v54, s46, v0
	v_mov_b32_e32 v55, v1
	v_add_u32_e32 v62, s46, v60
	v_mov_b32_e32 v63, v1
	;; [unrolled: 2-line block ×3, first 2 shown]
	v_lshl_add_u64 v[86:87], v[66:67], 1, s[18:19]
	v_add_u32_e32 v66, s47, v78
	v_lshl_add_u64 v[54:55], v[54:55], 1, s[18:19]
	v_lshl_add_u64 v[62:63], v[62:63], 1, s[18:19]
	;; [unrolled: 1-line block ×4, first 2 shown]
	v_add_u32_e32 v66, s47, v80
	v_lshl_add_u64 v[90:91], v[66:67], 1, s[18:19]
	global_load_ushort v71, v[54:55], off
	global_load_ushort v69, v[62:63], off
	;; [unrolled: 1-line block ×4, first 2 shown]
	s_nop 0
	global_load_ushort v65, v[84:85], off
	global_load_ushort v64, v[86:87], off
	;; [unrolled: 1-line block ×4, first 2 shown]
	v_add_u32_e32 v0, s48, v0
	v_lshl_add_u64 v[54:55], v[0:1], 1, s[18:19]
	v_add_u32_e32 v0, s48, v60
	v_lshl_add_u64 v[82:83], v[0:1], 1, s[18:19]
	;; [unrolled: 2-line block ×4, first 2 shown]
	global_load_ushort v62, v[54:55], off
	global_load_ushort v60, v[82:83], off
	s_nop 0
	global_load_ushort v55, v[78:79], off
	global_load_ushort v54, v[80:81], off
.LBB154_33:                             ;   in Loop: Header=BB154_12 Depth=1
	v_cmp_ne_u32_e32 vcc, 0, v2
	s_and_saveexec_b64 s[6:7], vcc
	s_cbranch_execnz .LBB154_59
; %bb.34:                               ;   in Loop: Header=BB154_12 Depth=1
	s_or_b64 exec, exec, s[6:7]
	v_cmp_ne_u32_e64 s[6:7], 0, v3
	s_and_saveexec_b64 s[8:9], s[6:7]
	s_cbranch_execnz .LBB154_60
.LBB154_35:                             ;   in Loop: Header=BB154_12 Depth=1
	s_or_b64 exec, exec, s[8:9]
	v_cmp_ne_u32_e64 s[8:9], 0, v4
	s_and_saveexec_b64 s[10:11], s[8:9]
	s_cbranch_execnz .LBB154_61
.LBB154_36:                             ;   in Loop: Header=BB154_12 Depth=1
	s_or_b64 exec, exec, s[10:11]
	v_cmp_ne_u32_e64 s[10:11], 0, v5
	s_and_saveexec_b64 s[38:39], s[10:11]
	s_cbranch_execnz .LBB154_62
.LBB154_37:                             ;   in Loop: Header=BB154_12 Depth=1
	s_or_b64 exec, exec, s[38:39]
	v_add_u32_e32 v0, s23, v42
	s_and_saveexec_b64 s[38:39], vcc
	s_cbranch_execnz .LBB154_63
.LBB154_38:                             ;   in Loop: Header=BB154_12 Depth=1
	s_or_b64 exec, exec, s[38:39]
	s_and_saveexec_b64 s[38:39], s[6:7]
	s_cbranch_execnz .LBB154_64
.LBB154_39:                             ;   in Loop: Header=BB154_12 Depth=1
	s_or_b64 exec, exec, s[38:39]
	s_and_saveexec_b64 s[38:39], s[8:9]
	s_cbranch_execnz .LBB154_65
.LBB154_40:                             ;   in Loop: Header=BB154_12 Depth=1
	s_or_b64 exec, exec, s[38:39]
	s_and_saveexec_b64 s[38:39], s[10:11]
	s_cbranch_execnz .LBB154_66
.LBB154_41:                             ;   in Loop: Header=BB154_12 Depth=1
	s_or_b64 exec, exec, s[38:39]
	v_add_u32_e32 v0, s23, v0
	s_and_saveexec_b64 s[38:39], vcc
	s_cbranch_execnz .LBB154_67
.LBB154_42:                             ;   in Loop: Header=BB154_12 Depth=1
	s_or_b64 exec, exec, s[38:39]
	s_and_saveexec_b64 s[38:39], s[6:7]
	s_cbranch_execnz .LBB154_68
.LBB154_43:                             ;   in Loop: Header=BB154_12 Depth=1
	s_or_b64 exec, exec, s[38:39]
	s_and_saveexec_b64 s[38:39], s[8:9]
	s_cbranch_execnz .LBB154_69
.LBB154_44:                             ;   in Loop: Header=BB154_12 Depth=1
	s_or_b64 exec, exec, s[38:39]
	s_and_saveexec_b64 s[38:39], s[10:11]
	s_cbranch_execnz .LBB154_70
.LBB154_45:                             ;   in Loop: Header=BB154_12 Depth=1
	s_or_b64 exec, exec, s[38:39]
	v_add_u32_e32 v0, s23, v0
	s_and_saveexec_b64 s[38:39], vcc
	s_cbranch_execnz .LBB154_71
.LBB154_46:                             ;   in Loop: Header=BB154_12 Depth=1
	s_or_b64 exec, exec, s[38:39]
	s_and_saveexec_b64 s[38:39], s[6:7]
	s_cbranch_execnz .LBB154_72
.LBB154_47:                             ;   in Loop: Header=BB154_12 Depth=1
	s_or_b64 exec, exec, s[38:39]
	s_and_saveexec_b64 s[38:39], s[8:9]
	s_cbranch_execnz .LBB154_73
.LBB154_48:                             ;   in Loop: Header=BB154_12 Depth=1
	s_or_b64 exec, exec, s[38:39]
	s_and_saveexec_b64 s[38:39], s[10:11]
	s_cbranch_execnz .LBB154_74
.LBB154_49:                             ;   in Loop: Header=BB154_12 Depth=1
	s_or_b64 exec, exec, s[38:39]
	v_add_u32_e32 v0, s23, v0
	s_and_saveexec_b64 s[38:39], vcc
	s_cbranch_execnz .LBB154_75
.LBB154_50:                             ;   in Loop: Header=BB154_12 Depth=1
	s_or_b64 exec, exec, s[38:39]
	s_and_saveexec_b64 s[38:39], s[6:7]
	s_cbranch_execnz .LBB154_76
.LBB154_51:                             ;   in Loop: Header=BB154_12 Depth=1
	s_or_b64 exec, exec, s[38:39]
	s_and_saveexec_b64 s[6:7], s[8:9]
	s_cbranch_execnz .LBB154_77
.LBB154_52:                             ;   in Loop: Header=BB154_12 Depth=1
	s_or_b64 exec, exec, s[6:7]
	s_and_b64 exec, exec, s[10:11]
	s_cbranch_execz .LBB154_54
.LBB154_53:                             ;   in Loop: Header=BB154_12 Depth=1
	v_cvt_f32_i32_e32 v6, v39
	s_waitcnt vmcnt(0)
	v_cvt_f32_f16_e32 v7, v54
	v_add_u32_e32 v0, 3, v0
	v_add_f32_e32 v6, v36, v6
	v_add_f32_e32 v6, v6, v7
	v_cvt_f16_f32_e32 v8, v6
	v_lshl_add_u64 v[6:7], v[0:1], 1, s[24:25]
	global_store_short v[6:7], v8, off
.LBB154_54:                             ;   in Loop: Header=BB154_12 Depth=1
	s_or_b64 exec, exec, s[36:37]
	v_add_u32_e32 v42, s44, v42
	v_add_u32_e32 v0, 4, v42
	v_cmp_gt_u32_e32 vcc, s23, v42
	v_cmp_le_u32_e64 s[6:7], s23, v0
	s_and_b64 s[6:7], vcc, s[6:7]
	s_and_saveexec_b64 s[8:9], s[6:7]
	s_cbranch_execz .LBB154_10
; %bb.55:                               ;   in Loop: Header=BB154_12 Depth=1
	v_cmp_ne_u32_e32 vcc, s13, v42
	s_and_saveexec_b64 s[10:11], vcc
	s_cbranch_execz .LBB154_9
; %bb.56:                               ;   in Loop: Header=BB154_12 Depth=1
	v_subrev_u32_e32 v0, s13, v42
	v_cmp_lt_u32_e32 vcc, 1, v0
	s_mov_b64 s[36:37], 0
	s_mov_b64 s[38:39], 0
	v_cndmask_b32_e32 v0, 1, v0, vcc
.LBB154_57:                             ;   Parent Loop BB154_12 Depth=1
                                        ; =>  This Inner Loop Header: Depth=2
	s_cmp_lg_u32 s38, 3
	s_cselect_b64 vcc, -1, 0
	s_cmp_lg_u32 s38, 2
	v_cndmask_b32_e32 v5, 0, v5, vcc
	s_cselect_b64 vcc, -1, 0
	s_cmp_lg_u32 s38, 1
	v_cndmask_b32_e32 v4, 0, v4, vcc
	;; [unrolled: 3-line block ×3, first 2 shown]
	s_cselect_b64 vcc, -1, 0
	s_add_u32 s38, s38, 1
	s_addc_u32 s39, s39, 0
	v_cmp_eq_u32_e64 s[6:7], s38, v0
	s_or_b64 s[36:37], s[6:7], s[36:37]
	v_cndmask_b32_e32 v2, 0, v2, vcc
	s_andn2_b64 exec, exec, s[36:37]
	s_cbranch_execnz .LBB154_57
; %bb.58:                               ;   in Loop: Header=BB154_12 Depth=1
	s_or_b64 exec, exec, s[36:37]
	s_branch .LBB154_9
.LBB154_59:                             ;   in Loop: Header=BB154_12 Depth=1
	v_cvt_f32_i32_e32 v0, v13
	s_waitcnt vmcnt(19)
	v_cvt_f32_f16_e32 v13, v43
	v_mov_b32_e32 v43, v1
	v_lshl_add_u64 v[78:79], v[42:43], 1, s[24:25]
	v_add_f32_e32 v0, v10, v0
	v_add_f32_e32 v0, v0, v13
	v_cvt_f16_f32_e32 v0, v0
	global_store_short v[78:79], v0, off
	s_or_b64 exec, exec, s[6:7]
	v_cmp_ne_u32_e64 s[6:7], 0, v3
	s_and_saveexec_b64 s[8:9], s[6:7]
	s_cbranch_execz .LBB154_35
.LBB154_60:                             ;   in Loop: Header=BB154_12 Depth=1
	v_cvt_f32_i32_e32 v0, v12
	s_waitcnt vmcnt(18)
	v_cvt_f32_f16_e32 v10, v76
	v_mov_b32_e32 v43, v1
	v_lshl_add_u64 v[12:13], v[42:43], 1, s[30:31]
	v_add_f32_e32 v0, v7, v0
	v_add_f32_e32 v0, v0, v10
	v_cvt_f16_f32_e32 v0, v0
	global_store_short v[12:13], v0, off
	s_or_b64 exec, exec, s[8:9]
	v_cmp_ne_u32_e64 s[8:9], 0, v4
	s_and_saveexec_b64 s[10:11], s[8:9]
	s_cbranch_execz .LBB154_36
.LBB154_61:                             ;   in Loop: Header=BB154_12 Depth=1
	v_cvt_f32_i32_e32 v0, v15
	s_waitcnt vmcnt(17)
	v_cvt_f32_f16_e32 v7, v75
	v_add_f32_e32 v0, v9, v0
	v_add_f32_e32 v0, v0, v7
	v_cvt_f16_f32_e32 v0, v0
	v_mov_b32_e32 v9, v1
	v_lshl_add_u64 v[8:9], v[8:9], 1, s[24:25]
	global_store_short v[8:9], v0, off
	s_or_b64 exec, exec, s[10:11]
	v_cmp_ne_u32_e64 s[10:11], 0, v5
	s_and_saveexec_b64 s[38:39], s[10:11]
	s_cbranch_execz .LBB154_37
.LBB154_62:                             ;   in Loop: Header=BB154_12 Depth=1
	v_cvt_f32_i32_e32 v0, v18
	s_waitcnt vmcnt(16)
	v_cvt_f32_f16_e32 v7, v74
	v_add_f32_e32 v0, v11, v0
	v_add_f32_e32 v0, v0, v7
	v_cvt_f16_f32_e32 v0, v0
	v_mov_b32_e32 v7, v1
	v_lshl_add_u64 v[6:7], v[6:7], 1, s[24:25]
	global_store_short v[6:7], v0, off
	s_or_b64 exec, exec, s[38:39]
	v_add_u32_e32 v0, s23, v42
	s_and_saveexec_b64 s[38:39], vcc
	s_cbranch_execz .LBB154_38
.LBB154_63:                             ;   in Loop: Header=BB154_12 Depth=1
	v_cvt_f32_i32_e32 v6, v19
	s_waitcnt vmcnt(15)
	v_cvt_f32_f16_e32 v7, v73
	v_add_f32_e32 v6, v14, v6
	v_add_f32_e32 v6, v6, v7
	v_cvt_f16_f32_e32 v8, v6
	v_lshl_add_u64 v[6:7], v[0:1], 1, s[24:25]
	global_store_short v[6:7], v8, off
	s_or_b64 exec, exec, s[38:39]
	s_and_saveexec_b64 s[38:39], s[6:7]
	s_cbranch_execz .LBB154_39
.LBB154_64:                             ;   in Loop: Header=BB154_12 Depth=1
	v_cvt_f32_i32_e32 v6, v21
	s_waitcnt vmcnt(14)
	v_cvt_f32_f16_e32 v7, v72
	v_add_f32_e32 v6, v16, v6
	v_add_f32_e32 v6, v6, v7
	v_cvt_f16_f32_e32 v8, v6
	v_add_u32_e32 v6, 1, v0
	v_mov_b32_e32 v7, v1
	v_lshl_add_u64 v[6:7], v[6:7], 1, s[24:25]
	global_store_short v[6:7], v8, off
	s_or_b64 exec, exec, s[38:39]
	s_and_saveexec_b64 s[38:39], s[8:9]
	s_cbranch_execz .LBB154_40
.LBB154_65:                             ;   in Loop: Header=BB154_12 Depth=1
	v_cvt_f32_i32_e32 v6, v23
	s_waitcnt vmcnt(13)
	v_cvt_f32_f16_e32 v7, v70
	v_add_f32_e32 v6, v17, v6
	v_add_f32_e32 v6, v6, v7
	v_cvt_f16_f32_e32 v8, v6
	v_add_u32_e32 v6, 2, v0
	v_mov_b32_e32 v7, v1
	v_lshl_add_u64 v[6:7], v[6:7], 1, s[24:25]
	global_store_short v[6:7], v8, off
	s_or_b64 exec, exec, s[38:39]
	s_and_saveexec_b64 s[38:39], s[10:11]
	s_cbranch_execz .LBB154_41
.LBB154_66:                             ;   in Loop: Header=BB154_12 Depth=1
	v_cvt_f32_i32_e32 v6, v25
	s_waitcnt vmcnt(12)
	v_cvt_f32_f16_e32 v7, v68
	v_add_f32_e32 v6, v20, v6
	v_add_f32_e32 v6, v6, v7
	v_cvt_f16_f32_e32 v8, v6
	v_add_u32_e32 v6, 3, v0
	v_mov_b32_e32 v7, v1
	v_lshl_add_u64 v[6:7], v[6:7], 1, s[24:25]
	global_store_short v[6:7], v8, off
	s_or_b64 exec, exec, s[38:39]
	v_add_u32_e32 v0, s23, v0
	s_and_saveexec_b64 s[38:39], vcc
	s_cbranch_execz .LBB154_42
.LBB154_67:                             ;   in Loop: Header=BB154_12 Depth=1
	v_cvt_f32_i32_e32 v6, v28
	s_waitcnt vmcnt(11)
	v_cvt_f32_f16_e32 v7, v71
	v_add_f32_e32 v6, v22, v6
	v_add_f32_e32 v6, v6, v7
	v_cvt_f16_f32_e32 v8, v6
	v_lshl_add_u64 v[6:7], v[0:1], 1, s[24:25]
	global_store_short v[6:7], v8, off
	s_or_b64 exec, exec, s[38:39]
	s_and_saveexec_b64 s[38:39], s[6:7]
	s_cbranch_execz .LBB154_43
.LBB154_68:                             ;   in Loop: Header=BB154_12 Depth=1
	v_cvt_f32_i32_e32 v6, v29
	s_waitcnt vmcnt(10)
	v_cvt_f32_f16_e32 v7, v69
	v_add_f32_e32 v6, v24, v6
	v_add_f32_e32 v6, v6, v7
	v_cvt_f16_f32_e32 v8, v6
	v_add_u32_e32 v6, 1, v0
	v_mov_b32_e32 v7, v1
	v_lshl_add_u64 v[6:7], v[6:7], 1, s[24:25]
	global_store_short v[6:7], v8, off
	s_or_b64 exec, exec, s[38:39]
	s_and_saveexec_b64 s[38:39], s[8:9]
	s_cbranch_execz .LBB154_44
.LBB154_69:                             ;   in Loop: Header=BB154_12 Depth=1
	v_cvt_f32_i32_e32 v6, v30
	s_waitcnt vmcnt(9)
	v_cvt_f32_f16_e32 v7, v67
	v_add_f32_e32 v6, v26, v6
	v_add_f32_e32 v6, v6, v7
	v_cvt_f16_f32_e32 v8, v6
	v_add_u32_e32 v6, 2, v0
	v_mov_b32_e32 v7, v1
	v_lshl_add_u64 v[6:7], v[6:7], 1, s[24:25]
	global_store_short v[6:7], v8, off
	s_or_b64 exec, exec, s[38:39]
	s_and_saveexec_b64 s[38:39], s[10:11]
	s_cbranch_execz .LBB154_45
.LBB154_70:                             ;   in Loop: Header=BB154_12 Depth=1
	v_cvt_f32_i32_e32 v6, v32
	s_waitcnt vmcnt(8)
	v_cvt_f32_f16_e32 v7, v66
	v_add_f32_e32 v6, v27, v6
	v_add_f32_e32 v6, v6, v7
	v_cvt_f16_f32_e32 v8, v6
	v_add_u32_e32 v6, 3, v0
	v_mov_b32_e32 v7, v1
	v_lshl_add_u64 v[6:7], v[6:7], 1, s[24:25]
	global_store_short v[6:7], v8, off
	s_or_b64 exec, exec, s[38:39]
	v_add_u32_e32 v0, s23, v0
	s_and_saveexec_b64 s[38:39], vcc
	s_cbranch_execz .LBB154_46
.LBB154_71:                             ;   in Loop: Header=BB154_12 Depth=1
	v_cvt_f32_i32_e32 v6, v38
	s_waitcnt vmcnt(7)
	v_cvt_f32_f16_e32 v7, v65
	v_add_f32_e32 v6, v31, v6
	v_add_f32_e32 v6, v6, v7
	v_cvt_f16_f32_e32 v8, v6
	v_lshl_add_u64 v[6:7], v[0:1], 1, s[24:25]
	global_store_short v[6:7], v8, off
	s_or_b64 exec, exec, s[38:39]
	s_and_saveexec_b64 s[38:39], s[6:7]
	s_cbranch_execz .LBB154_47
.LBB154_72:                             ;   in Loop: Header=BB154_12 Depth=1
	v_cvt_f32_i32_e32 v6, v40
	s_waitcnt vmcnt(6)
	v_cvt_f32_f16_e32 v7, v64
	v_add_f32_e32 v6, v33, v6
	v_add_f32_e32 v6, v6, v7
	v_cvt_f16_f32_e32 v8, v6
	v_add_u32_e32 v6, 1, v0
	v_mov_b32_e32 v7, v1
	v_lshl_add_u64 v[6:7], v[6:7], 1, s[24:25]
	global_store_short v[6:7], v8, off
	s_or_b64 exec, exec, s[38:39]
	s_and_saveexec_b64 s[38:39], s[8:9]
	s_cbranch_execz .LBB154_48
.LBB154_73:                             ;   in Loop: Header=BB154_12 Depth=1
	v_cvt_f32_i32_e32 v6, v48
	s_waitcnt vmcnt(5)
	v_cvt_f32_f16_e32 v7, v63
	v_add_f32_e32 v6, v34, v6
	v_add_f32_e32 v6, v6, v7
	v_cvt_f16_f32_e32 v8, v6
	v_add_u32_e32 v6, 2, v0
	v_mov_b32_e32 v7, v1
	v_lshl_add_u64 v[6:7], v[6:7], 1, s[24:25]
	global_store_short v[6:7], v8, off
	s_or_b64 exec, exec, s[38:39]
	s_and_saveexec_b64 s[38:39], s[10:11]
	s_cbranch_execz .LBB154_49
.LBB154_74:                             ;   in Loop: Header=BB154_12 Depth=1
	v_cvt_f32_i32_e32 v6, v37
	s_waitcnt vmcnt(4)
	v_cvt_f32_f16_e32 v7, v61
	v_add_f32_e32 v6, v35, v6
	v_add_f32_e32 v6, v6, v7
	v_cvt_f16_f32_e32 v8, v6
	v_add_u32_e32 v6, 3, v0
	v_mov_b32_e32 v7, v1
	v_lshl_add_u64 v[6:7], v[6:7], 1, s[24:25]
	global_store_short v[6:7], v8, off
	s_or_b64 exec, exec, s[38:39]
	v_add_u32_e32 v0, s23, v0
	s_and_saveexec_b64 s[38:39], vcc
	s_cbranch_execz .LBB154_50
.LBB154_75:                             ;   in Loop: Header=BB154_12 Depth=1
	v_cvt_f32_i32_e32 v6, v53
	s_waitcnt vmcnt(3)
	v_cvt_f32_f16_e32 v7, v62
	v_add_f32_e32 v6, v51, v6
	v_add_f32_e32 v6, v6, v7
	v_cvt_f16_f32_e32 v8, v6
	v_lshl_add_u64 v[6:7], v[0:1], 1, s[24:25]
	global_store_short v[6:7], v8, off
	s_or_b64 exec, exec, s[38:39]
	s_and_saveexec_b64 s[38:39], s[6:7]
	s_cbranch_execz .LBB154_51
.LBB154_76:                             ;   in Loop: Header=BB154_12 Depth=1
	v_cvt_f32_i32_e32 v6, v52
	s_waitcnt vmcnt(2)
	v_cvt_f32_f16_e32 v7, v60
	v_add_f32_e32 v6, v50, v6
	v_add_f32_e32 v6, v6, v7
	v_cvt_f16_f32_e32 v8, v6
	v_add_u32_e32 v6, 1, v0
	v_mov_b32_e32 v7, v1
	v_lshl_add_u64 v[6:7], v[6:7], 1, s[24:25]
	global_store_short v[6:7], v8, off
	s_or_b64 exec, exec, s[38:39]
	s_and_saveexec_b64 s[6:7], s[8:9]
	s_cbranch_execz .LBB154_52
.LBB154_77:                             ;   in Loop: Header=BB154_12 Depth=1
	v_cvt_f32_i32_e32 v6, v49
	s_waitcnt vmcnt(1)
	v_cvt_f32_f16_e32 v7, v55
	v_add_f32_e32 v6, v41, v6
	v_add_f32_e32 v6, v6, v7
	v_cvt_f16_f32_e32 v8, v6
	v_add_u32_e32 v6, 2, v0
	v_mov_b32_e32 v7, v1
	v_lshl_add_u64 v[6:7], v[6:7], 1, s[24:25]
	global_store_short v[6:7], v8, off
	s_or_b64 exec, exec, s[6:7]
	s_and_b64 exec, exec, s[10:11]
	s_cbranch_execnz .LBB154_53
	s_branch .LBB154_54
.LBB154_78:
	s_endpgm
	.section	.rodata,"a",@progbits
	.p2align	6, 0x0
	.amdhsa_kernel _Z16wvSplitK_hf_big_I6__halfLi64ELi4ELi16ELi8ELi1ELi5EEviiiiiiPKT_S3_S3_PS1_ii
		.amdhsa_group_segment_fixed_size 65536
		.amdhsa_private_segment_fixed_size 0
		.amdhsa_kernarg_size 64
		.amdhsa_user_sgpr_count 2
		.amdhsa_user_sgpr_dispatch_ptr 0
		.amdhsa_user_sgpr_queue_ptr 0
		.amdhsa_user_sgpr_kernarg_segment_ptr 1
		.amdhsa_user_sgpr_dispatch_id 0
		.amdhsa_user_sgpr_kernarg_preload_length 0
		.amdhsa_user_sgpr_kernarg_preload_offset 0
		.amdhsa_user_sgpr_private_segment_size 0
		.amdhsa_uses_dynamic_stack 0
		.amdhsa_enable_private_segment 0
		.amdhsa_system_sgpr_workgroup_id_x 1
		.amdhsa_system_sgpr_workgroup_id_y 0
		.amdhsa_system_sgpr_workgroup_id_z 0
		.amdhsa_system_sgpr_workgroup_info 0
		.amdhsa_system_vgpr_workitem_id 1
		.amdhsa_next_free_vgpr 92
		.amdhsa_next_free_sgpr 56
		.amdhsa_accum_offset 92
		.amdhsa_reserve_vcc 1
		.amdhsa_float_round_mode_32 0
		.amdhsa_float_round_mode_16_64 0
		.amdhsa_float_denorm_mode_32 3
		.amdhsa_float_denorm_mode_16_64 3
		.amdhsa_dx10_clamp 1
		.amdhsa_ieee_mode 1
		.amdhsa_fp16_overflow 0
		.amdhsa_tg_split 0
		.amdhsa_exception_fp_ieee_invalid_op 0
		.amdhsa_exception_fp_denorm_src 0
		.amdhsa_exception_fp_ieee_div_zero 0
		.amdhsa_exception_fp_ieee_overflow 0
		.amdhsa_exception_fp_ieee_underflow 0
		.amdhsa_exception_fp_ieee_inexact 0
		.amdhsa_exception_int_div_zero 0
	.end_amdhsa_kernel
	.section	.text._Z16wvSplitK_hf_big_I6__halfLi64ELi4ELi16ELi8ELi1ELi5EEviiiiiiPKT_S3_S3_PS1_ii,"axG",@progbits,_Z16wvSplitK_hf_big_I6__halfLi64ELi4ELi16ELi8ELi1ELi5EEviiiiiiPKT_S3_S3_PS1_ii,comdat
.Lfunc_end154:
	.size	_Z16wvSplitK_hf_big_I6__halfLi64ELi4ELi16ELi8ELi1ELi5EEviiiiiiPKT_S3_S3_PS1_ii, .Lfunc_end154-_Z16wvSplitK_hf_big_I6__halfLi64ELi4ELi16ELi8ELi1ELi5EEviiiiiiPKT_S3_S3_PS1_ii
                                        ; -- End function
	.section	.AMDGPU.csdata,"",@progbits
; Kernel info:
; codeLenInByte = 6712
; NumSgprs: 62
; NumVgprs: 92
; NumAgprs: 0
; TotalNumVgprs: 92
; ScratchSize: 0
; MemoryBound: 0
; FloatMode: 240
; IeeeMode: 1
; LDSByteSize: 65536 bytes/workgroup (compile time only)
; SGPRBlocks: 7
; VGPRBlocks: 11
; NumSGPRsForWavesPerEU: 62
; NumVGPRsForWavesPerEU: 92
; AccumOffset: 92
; Occupancy: 4
; WaveLimiterHint : 0
; COMPUTE_PGM_RSRC2:SCRATCH_EN: 0
; COMPUTE_PGM_RSRC2:USER_SGPR: 2
; COMPUTE_PGM_RSRC2:TRAP_HANDLER: 0
; COMPUTE_PGM_RSRC2:TGID_X_EN: 1
; COMPUTE_PGM_RSRC2:TGID_Y_EN: 0
; COMPUTE_PGM_RSRC2:TGID_Z_EN: 0
; COMPUTE_PGM_RSRC2:TIDIG_COMP_CNT: 1
; COMPUTE_PGM_RSRC3_GFX90A:ACCUM_OFFSET: 22
; COMPUTE_PGM_RSRC3_GFX90A:TG_SPLIT: 0
	.section	.text._Z16wvSplitK_hf_sml_I6__halfLi64ELi4ELi16ELi8ELi2ELi5EEviiiiiiPKT_S3_S3_PS1_ii,"axG",@progbits,_Z16wvSplitK_hf_sml_I6__halfLi64ELi4ELi16ELi8ELi2ELi5EEviiiiiiPKT_S3_S3_PS1_ii,comdat
	.protected	_Z16wvSplitK_hf_sml_I6__halfLi64ELi4ELi16ELi8ELi2ELi5EEviiiiiiPKT_S3_S3_PS1_ii ; -- Begin function _Z16wvSplitK_hf_sml_I6__halfLi64ELi4ELi16ELi8ELi2ELi5EEviiiiiiPKT_S3_S3_PS1_ii
	.globl	_Z16wvSplitK_hf_sml_I6__halfLi64ELi4ELi16ELi8ELi2ELi5EEviiiiiiPKT_S3_S3_PS1_ii
	.p2align	8
	.type	_Z16wvSplitK_hf_sml_I6__halfLi64ELi4ELi16ELi8ELi2ELi5EEviiiiiiPKT_S3_S3_PS1_ii,@function
_Z16wvSplitK_hf_sml_I6__halfLi64ELi4ELi16ELi8ELi2ELi5EEviiiiiiPKT_S3_S3_PS1_ii: ; @_Z16wvSplitK_hf_sml_I6__halfLi64ELi4ELi16ELi8ELi2ELi5EEviiiiiiPKT_S3_S3_PS1_ii
; %bb.0:
	s_load_dwordx4 s[4:7], s[0:1], 0x0
	s_load_dwordx2 s[8:9], s[0:1], 0x10
	s_load_dwordx2 s[10:11], s[0:1], 0x28
	v_and_b32_e32 v2, 0x3ff, v0
	v_bfe_u32 v3, v0, 10, 10
	v_lshlrev_b32_e32 v84, 3, v2
	s_waitcnt lgkmcnt(0)
	s_mul_i32 s3, s6, 5
	v_lshl_add_u32 v4, v3, 9, v84
	s_min_u32 s3, s3, 0x8000
	v_cmp_gt_u32_e32 vcc, s3, v4
	s_and_saveexec_b64 s[12:13], vcc
	s_cbranch_execz .LBB155_3
; %bb.1:
	s_load_dwordx2 s[14:15], s[0:1], 0x20
	v_mov_b32_e32 v7, 0
	v_lshlrev_b32_e32 v6, 10, v3
	v_lshlrev_b32_e32 v8, 4, v2
	v_mov_b32_e32 v9, v7
	v_lshl_add_u64 v[0:1], v[6:7], 0, v[8:9]
	s_waitcnt lgkmcnt(0)
	v_lshl_add_u64 v[0:1], s[14:15], 0, v[0:1]
	v_add_u32_e32 v5, v6, v8
	s_mov_b64 s[14:15], 0
	s_mov_b64 s[16:17], 0x4000
.LBB155_2:                              ; =>This Inner Loop Header: Depth=1
	global_load_dwordx4 v[6:9], v[0:1], off
	v_add_u32_e32 v4, 0x2000, v4
	v_cmp_le_u32_e32 vcc, s3, v4
	v_lshl_add_u64 v[0:1], v[0:1], 0, s[16:17]
	s_or_b64 s[14:15], vcc, s[14:15]
	s_waitcnt vmcnt(0)
	ds_write_b128 v5, v[6:9]
	v_add_u32_e32 v5, 0x4000, v5
	s_andn2_b64 exec, exec, s[14:15]
	s_cbranch_execnz .LBB155_2
.LBB155_3:
	s_or_b64 exec, exec, s[12:13]
	s_load_dwordx2 s[16:17], s[0:1], 0x38
	s_waitcnt lgkmcnt(0)
	s_barrier
	v_cmp_gt_u32_e32 vcc, s16, v3
	s_and_saveexec_b64 s[12:13], vcc
	s_cbranch_execz .LBB155_20
; %bb.4:
	s_mul_i32 s2, s2, s16
	v_add_lshl_u32 v64, s2, v3, 2
	v_cmp_gt_u32_e32 vcc, s7, v64
	s_and_b64 exec, exec, vcc
	s_cbranch_execz .LBB155_20
; %bb.5:
	s_cmp_lg_u32 s4, 0
	s_cselect_b64 s[2:3], -1, 0
	s_add_i32 s24, s4, -8
	s_add_i32 s25, s7, -1
	s_cmp_lg_u64 s[10:11], 0
	s_cselect_b64 s[18:19], -1, 0
	s_abs_i32 s21, s9
	v_cvt_f32_u32_e32 v0, s8
	v_cvt_f32_u32_e32 v1, s21
	s_mul_i32 s20, s16, s17
	s_lshl_b32 s9, s20, 2
	v_rcp_iflag_f32_e32 v0, v0
	v_rcp_iflag_f32_e32 v1, v1
	s_sub_i32 s20, 0, s8
	s_load_dwordx2 s[12:13], s[0:1], 0x18
	s_load_dwordx2 s[14:15], s[0:1], 0x30
	v_mul_f32_e32 v0, 0x4f7ffffe, v0
	v_mul_f32_e32 v1, 0x4f7ffffe, v1
	v_cvt_u32_f32_e32 v0, v0
	v_cvt_u32_f32_e32 v1, v1
	v_cmp_eq_u32_e64 s[0:1], 63, v2
	s_mov_b64 s[16:17], 0
	v_mul_lo_u32 v3, s20, v0
	s_sub_i32 s20, 0, s21
	v_readfirstlane_b32 s22, v1
	s_mul_i32 s20, s20, s22
	s_mul_hi_u32 s20, s22, s20
	s_add_i32 s22, s22, s20
	s_sub_i32 s20, 1, s21
	s_cmp_lt_u32 s21, 2
	s_cselect_b32 s20, s20, 1
	s_sub_i32 s23, s20, s21
	s_cmp_ge_u32 s20, s21
	s_cselect_b32 s26, s23, s20
	s_lshr_b32 s20, s22, 31
	s_mul_i32 s20, s20, s21
	s_sub_i32 s20, 2, s20
	s_sub_i32 s23, s20, s21
	s_cmp_ge_u32 s20, s21
	s_cselect_b32 s20, s23, s20
	s_sub_i32 s23, s20, s21
	s_cmp_ge_u32 s20, s21
	s_cselect_b32 s27, s23, s20
	s_mul_hi_u32 s20, s22, 3
	s_mul_i32 s20, s20, s21
	s_sub_i32 s20, 3, s20
	s_sub_i32 s23, s20, s21
	s_cmp_ge_u32 s20, s21
	s_cselect_b32 s20, s23, s20
	s_sub_i32 s23, s20, s21
	s_cmp_ge_u32 s20, s21
	s_cselect_b32 s28, s23, s20
	s_lshr_b32 s20, s22, 30
	s_mul_i32 s20, s20, s21
	s_sub_i32 s20, 4, s20
	s_sub_i32 s22, s20, s21
	s_cmp_ge_u32 s20, s21
	s_cselect_b32 s20, s22, s20
	s_sub_i32 s22, s20, s21
	v_mul_hi_u32 v3, v0, v3
	s_cmp_ge_u32 s20, s21
	v_add_u32_e32 v85, v0, v3
	s_cselect_b32 s29, s22, s20
	v_cndmask_b32_e64 v0, 0, 1, s[2:3]
	v_mov_b32_e32 v67, 0
	s_mul_i32 s26, s26, s8
	s_mul_i32 s27, s27, s8
	s_mul_i32 s28, s28, s8
	s_mul_i32 s29, s29, s8
	s_lshl_b32 s30, s6, 3
	v_lshlrev_b32_e32 v86, 4, v2
	s_mul_i32 s31, s6, 6
	s_lshl_b32 s33, s6, 2
	s_lshl_b32 s6, s6, 1
	v_cmp_ne_u32_e64 s[2:3], 1, v0
	s_branch .LBB155_8
.LBB155_6:                              ;   in Loop: Header=BB155_8 Depth=1
	v_cvt_f32_i32_e32 v2, v2
	v_cvt_f32_i32_e32 v4, v4
	;; [unrolled: 1-line block ×4, first 2 shown]
	v_add_f32_e32 v0, v0, v2
	v_cvt_f32_i32_e32 v2, v10
	v_add_f32_e32 v1, v1, v4
	v_add_f32_e32 v4, v5, v8
	;; [unrolled: 1-line block ×4, first 2 shown]
	v_cvt_f32_i32_e32 v2, v12
	v_cvt_f32_i32_e32 v7, v16
	;; [unrolled: 1-line block ×4, first 2 shown]
	v_add_f32_e32 v9, v9, v2
	v_cvt_f32_i32_e32 v2, v20
	v_add_f32_e32 v7, v13, v7
	s_waitcnt vmcnt(19)
	v_cvt_f32_f16_e32 v20, v59
	v_add_f32_e32 v6, v11, v6
	v_add_f32_e32 v13, v17, v2
	v_cvt_f32_i32_e32 v2, v28
	v_cvt_f32_i32_e32 v11, v23
	v_add_f32_e32 v0, v0, v20
	s_waitcnt vmcnt(17)
	v_cvt_f32_f16_e32 v20, v57
	v_add_f32_e32 v17, v25, v2
	v_cvt_f32_i32_e32 v2, v38
	v_add_f32_e32 v11, v21, v11
	v_cvt_f16_f32_e32 v22, v0
	s_waitcnt vmcnt(16)
	v_cvt_f32_f16_e32 v0, v56
	v_add_f32_e32 v21, v33, v2
	v_cvt_f32_f16_e32 v2, v58
	v_add_u32_e32 v66, s7, v64
	v_add_f32_e32 v0, v4, v0
	v_cvt_f32_i32_e32 v8, v18
	v_add_f32_e32 v1, v1, v2
	v_add_f32_e32 v2, v3, v20
	v_cvt_f16_f32_e32 v2, v2
	v_cvt_f16_f32_e32 v3, v0
	;; [unrolled: 1-line block ×3, first 2 shown]
	s_waitcnt vmcnt(15)
	v_cvt_f32_f16_e32 v20, v54
	s_waitcnt lgkmcnt(0)
	v_lshl_add_u64 v[0:1], v[64:65], 1, s[14:15]
	v_pack_b32_f16 v3, v2, v3
	v_pack_b32_f16 v2, v22, v4
	global_store_dwordx2 v[0:1], v[2:3], off
	v_add_f32_e32 v0, v5, v20
	v_cvt_f16_f32_e32 v2, v0
	s_waitcnt vmcnt(15)
	v_cvt_f32_f16_e32 v3, v52
	v_lshl_add_u64 v[0:1], v[66:67], 1, s[14:15]
	s_waitcnt vmcnt(11)
	v_cvt_f32_f16_e32 v4, v53
	global_store_short v[0:1], v2, off
	v_add_f32_e32 v0, v9, v3
	v_cvt_f16_f32_e32 v2, v0
	v_cvt_f32_f16_e32 v3, v50
	v_add_u32_e32 v0, 1, v66
	v_mov_b32_e32 v1, v67
	v_lshl_add_u64 v[0:1], v[0:1], 1, s[14:15]
	global_store_short v[0:1], v2, off
	v_add_f32_e32 v0, v6, v3
	v_cvt_f16_f32_e32 v2, v0
	v_cvt_f32_f16_e32 v3, v48
	v_add_u32_e32 v0, 2, v66
	v_mov_b32_e32 v1, v67
	v_lshl_add_u64 v[0:1], v[0:1], 1, s[14:15]
	global_store_short v[0:1], v2, off
	v_add_f32_e32 v0, v7, v3
	v_cvt_f16_f32_e32 v2, v0
	v_cvt_f32_f16_e32 v3, v55
	v_add_u32_e32 v0, 3, v66
	v_mov_b32_e32 v1, v67
	v_add_f32_e32 v8, v15, v8
	v_lshl_add_u64 v[0:1], v[0:1], 1, s[14:15]
	global_store_short v[0:1], v2, off
	v_add_f32_e32 v0, v8, v3
	v_cvt_f16_f32_e32 v2, v0
	v_add_f32_e32 v0, v13, v4
	v_cvt_f16_f32_e32 v3, v0
	s_waitcnt vmcnt(14)
	v_cvt_f32_f16_e32 v4, v51
	v_add_u32_e32 v66, s7, v66
	v_add_f32_e32 v10, v19, v10
	v_lshl_add_u64 v[0:1], v[66:67], 1, s[14:15]
	v_pack_b32_f16 v2, v2, v3
	global_store_dword v[0:1], v2, off
	v_add_f32_e32 v0, v10, v4
	v_cvt_f16_f32_e32 v2, v0
	s_waitcnt vmcnt(14)
	v_cvt_f32_f16_e32 v3, v49
	v_add_u32_e32 v0, 2, v66
	v_mov_b32_e32 v1, v67
	v_lshl_add_u64 v[0:1], v[0:1], 1, s[14:15]
	v_cvt_f32_i32_e32 v12, v26
	global_store_short v[0:1], v2, off
	v_add_f32_e32 v0, v11, v3
	v_cvt_f16_f32_e32 v2, v0
	s_waitcnt vmcnt(14)
	v_cvt_f32_f16_e32 v3, v47
	v_add_u32_e32 v0, 3, v66
	v_mov_b32_e32 v1, v67
	v_add_f32_e32 v12, v24, v12
	v_lshl_add_u64 v[0:1], v[0:1], 1, s[14:15]
	global_store_short v[0:1], v2, off
	v_add_f32_e32 v0, v12, v3
	v_cvt_f16_f32_e32 v2, v0
	s_waitcnt vmcnt(14)
	v_cvt_f32_f16_e32 v3, v46
	v_add_u32_e32 v66, s7, v66
	v_lshl_add_u64 v[0:1], v[66:67], 1, s[14:15]
	v_cvt_f32_i32_e32 v14, v30
	global_store_short v[0:1], v2, off
	v_add_f32_e32 v0, v17, v3
	v_cvt_f16_f32_e32 v2, v0
	s_waitcnt vmcnt(14)
	v_cvt_f32_f16_e32 v3, v45
	v_add_u32_e32 v0, 1, v66
	v_mov_b32_e32 v1, v67
	v_add_f32_e32 v14, v27, v14
	v_lshl_add_u64 v[0:1], v[0:1], 1, s[14:15]
	v_cvt_f32_i32_e32 v15, v31
	global_store_short v[0:1], v2, off
	v_add_f32_e32 v0, v14, v3
	v_cvt_f16_f32_e32 v2, v0
	s_waitcnt vmcnt(14)
	v_cvt_f32_f16_e32 v3, v42
	v_add_u32_e32 v0, 2, v66
	v_mov_b32_e32 v1, v67
	v_add_f32_e32 v15, v29, v15
	;; [unrolled: 10-line block ×3, first 2 shown]
	v_lshl_add_u64 v[0:1], v[0:1], 1, s[14:15]
	v_cvt_f32_i32_e32 v18, v37
	v_cvt_f32_i32_e32 v19, v36
	global_store_short v[0:1], v2, off
	v_add_f32_e32 v0, v16, v3
	s_waitcnt vmcnt(14)
	v_cvt_f32_f16_e32 v1, v43
	s_waitcnt vmcnt(13)
	v_cvt_f32_f16_e32 v2, v41
	v_cvt_f16_f32_e32 v4, v0
	s_waitcnt vmcnt(12)
	v_cvt_f32_f16_e32 v0, v40
	v_add_f32_e32 v18, v34, v18
	v_add_f32_e32 v19, v35, v19
	;; [unrolled: 1-line block ×5, first 2 shown]
	v_cvt_f16_f32_e32 v2, v2
	v_cvt_f16_f32_e32 v3, v0
	;; [unrolled: 1-line block ×3, first 2 shown]
	v_add_u32_e32 v66, s7, v66
	v_lshl_add_u64 v[0:1], v[66:67], 1, s[14:15]
	v_pack_b32_f16 v3, v2, v3
	v_pack_b32_f16 v2, v4, v5
	global_store_dwordx2 v[0:1], v[2:3], off
.LBB155_7:                              ;   in Loop: Header=BB155_8 Depth=1
	s_or_b64 exec, exec, s[20:21]
	v_add_u32_e32 v64, s9, v64
	v_cmp_le_u32_e32 vcc, s7, v64
	s_or_b64 s[16:17], vcc, s[16:17]
	s_andn2_b64 exec, exec, s[16:17]
	s_cbranch_execz .LBB155_20
.LBB155_8:                              ; =>This Loop Header: Depth=1
                                        ;     Child Loop BB155_12 Depth 2
	s_mov_b32 s34, 0
	s_and_b64 vcc, exec, s[2:3]
	v_mov_b32_e32 v105, v67
	v_mov_b32_e32 v104, v67
	;; [unrolled: 1-line block ×20, first 2 shown]
	s_cbranch_vccnz .LBB155_15
; %bb.9:                                ;   in Loop: Header=BB155_8 Depth=1
	v_min_u32_e32 v0, s25, v64
	v_mul_lo_u32 v66, v0, s5
	v_or_b32_e32 v0, 1, v64
	v_or_b32_e32 v2, 2, v64
	;; [unrolled: 1-line block ×3, first 2 shown]
	v_min_u32_e32 v0, s25, v0
	v_min_u32_e32 v2, s25, v2
	;; [unrolled: 1-line block ×3, first 2 shown]
	v_mul_lo_u32 v0, v0, s5
	v_mov_b32_e32 v1, v67
	v_mul_lo_u32 v2, v2, s5
	v_mov_b32_e32 v3, v67
	v_mul_lo_u32 v4, v4, s5
	v_mov_b32_e32 v5, v67
	v_mov_b32_e32 v97, 0
	v_lshlrev_b64 v[68:69], 1, v[66:67]
	v_lshlrev_b64 v[70:71], 1, v[0:1]
	;; [unrolled: 1-line block ×4, first 2 shown]
	v_mov_b32_e32 v106, v86
	v_mov_b32_e32 v96, 0
	;; [unrolled: 1-line block ×20, first 2 shown]
	s_branch .LBB155_12
.LBB155_10:                             ;   in Loop: Header=BB155_12 Depth=2
	s_or_b64 exec, exec, s[22:23]
.LBB155_11:                             ;   in Loop: Header=BB155_12 Depth=2
	s_or_b64 exec, exec, s[20:21]
	s_waitcnt vmcnt(7) lgkmcnt(1)
	;;#ASMSTART
	v_dot2c_f32_f16 v105, v60, v40
	;;#ASMEND
	s_waitcnt vmcnt(6)
	;;#ASMSTART
	v_dot2c_f32_f16 v104, v60, v36
	;;#ASMEND
	s_waitcnt vmcnt(5)
	;;#ASMSTART
	v_dot2c_f32_f16 v103, v60, v32
	;;#ASMEND
	s_waitcnt vmcnt(4)
	;;#ASMSTART
	v_dot2c_f32_f16 v102, v60, v28
	;;#ASMEND
	;;#ASMSTART
	v_dot2c_f32_f16 v101, v56, v40
	;;#ASMEND
	;; [unrolled: 3-line block ×13, first 2 shown]
	s_waitcnt lgkmcnt(0)
	;;#ASMSTART
	v_dot2c_f32_f16 v89, v48, v40
	;;#ASMEND
	;;#ASMSTART
	v_dot2c_f32_f16 v88, v48, v36
	;;#ASMEND
	;;#ASMSTART
	v_dot2c_f32_f16 v87, v48, v32
	;;#ASMEND
	;;#ASMSTART
	v_dot2c_f32_f16 v65, v48, v28
	;;#ASMEND
	;;#ASMSTART
	v_dot2c_f32_f16 v105, v61, v41
	;;#ASMEND
	;;#ASMSTART
	v_dot2c_f32_f16 v104, v61, v37
	;;#ASMEND
	;;#ASMSTART
	v_dot2c_f32_f16 v103, v61, v33
	;;#ASMEND
	;;#ASMSTART
	v_dot2c_f32_f16 v102, v61, v29
	;;#ASMEND
	;;#ASMSTART
	v_dot2c_f32_f16 v101, v57, v41
	;;#ASMEND
	;;#ASMSTART
	v_dot2c_f32_f16 v100, v57, v37
	;;#ASMEND
	;;#ASMSTART
	v_dot2c_f32_f16 v99, v57, v33
	;;#ASMEND
	;;#ASMSTART
	v_dot2c_f32_f16 v98, v57, v29
	;;#ASMEND
	;;#ASMSTART
	v_dot2c_f32_f16 v97, v81, v41
	;;#ASMEND
	;;#ASMSTART
	v_dot2c_f32_f16 v96, v81, v37
	;;#ASMEND
	;;#ASMSTART
	v_dot2c_f32_f16 v95, v81, v33
	;;#ASMEND
	;;#ASMSTART
	v_dot2c_f32_f16 v94, v81, v29
	;;#ASMEND
	;;#ASMSTART
	v_dot2c_f32_f16 v93, v53, v41
	;;#ASMEND
	;;#ASMSTART
	v_dot2c_f32_f16 v92, v53, v37
	;;#ASMEND
	;;#ASMSTART
	v_dot2c_f32_f16 v91, v53, v33
	;;#ASMEND
	;;#ASMSTART
	v_dot2c_f32_f16 v90, v53, v29
	;;#ASMEND
	s_nop 0
	;;#ASMSTART
	v_dot2c_f32_f16 v89, v49, v41
	;;#ASMEND
	;;#ASMSTART
	v_dot2c_f32_f16 v88, v49, v37
	;;#ASMEND
	;;#ASMSTART
	v_dot2c_f32_f16 v87, v49, v33
	;;#ASMEND
	;;#ASMSTART
	v_dot2c_f32_f16 v65, v49, v29
	;;#ASMEND
	;;#ASMSTART
	v_dot2c_f32_f16 v105, v62, v42
	;;#ASMEND
	;;#ASMSTART
	v_dot2c_f32_f16 v104, v62, v38
	;;#ASMEND
	;;#ASMSTART
	v_dot2c_f32_f16 v103, v62, v34
	;;#ASMEND
	;;#ASMSTART
	v_dot2c_f32_f16 v102, v62, v30
	;;#ASMEND
	;;#ASMSTART
	v_dot2c_f32_f16 v101, v58, v42
	;;#ASMEND
	;;#ASMSTART
	v_dot2c_f32_f16 v100, v58, v38
	;;#ASMEND
	;;#ASMSTART
	v_dot2c_f32_f16 v99, v58, v34
	;;#ASMEND
	;;#ASMSTART
	v_dot2c_f32_f16 v98, v58, v30
	;;#ASMEND
	;;#ASMSTART
	v_dot2c_f32_f16 v97, v82, v42
	;;#ASMEND
	;;#ASMSTART
	v_dot2c_f32_f16 v96, v82, v38
	;;#ASMEND
	;;#ASMSTART
	v_dot2c_f32_f16 v95, v82, v34
	;;#ASMEND
	;;#ASMSTART
	v_dot2c_f32_f16 v94, v82, v30
	;;#ASMEND
	;;#ASMSTART
	v_dot2c_f32_f16 v93, v54, v42
	;;#ASMEND
	;;#ASMSTART
	v_dot2c_f32_f16 v92, v54, v38
	;;#ASMEND
	;;#ASMSTART
	v_dot2c_f32_f16 v91, v54, v34
	;;#ASMEND
	;;#ASMSTART
	v_dot2c_f32_f16 v90, v54, v30
	;;#ASMEND
	s_nop 0
	;; [unrolled: 61-line block ×3, first 2 shown]
	;;#ASMSTART
	v_dot2c_f32_f16 v89, v51, v43
	;;#ASMEND
	;;#ASMSTART
	v_dot2c_f32_f16 v88, v51, v39
	;;#ASMEND
	;; [unrolled: 3-line block ×4, first 2 shown]
	s_waitcnt vmcnt(3)
	;;#ASMSTART
	v_dot2c_f32_f16 v105, v44, v12
	;;#ASMEND
	s_waitcnt vmcnt(2)
	;;#ASMSTART
	v_dot2c_f32_f16 v104, v44, v8
	;;#ASMEND
	;; [unrolled: 4-line block ×4, first 2 shown]
	;;#ASMSTART
	v_dot2c_f32_f16 v101, v24, v12
	;;#ASMEND
	;;#ASMSTART
	v_dot2c_f32_f16 v100, v24, v8
	;;#ASMEND
	;; [unrolled: 3-line block ×19, first 2 shown]
	s_nop 0
	;;#ASMSTART
	v_dot2c_f32_f16 v102, v45, v1
	;;#ASMEND
	;;#ASMSTART
	v_dot2c_f32_f16 v101, v25, v13
	;;#ASMEND
	;; [unrolled: 3-line block ×17, first 2 shown]
	s_addk_i32 s34, 0x400
	;;#ASMSTART
	v_dot2c_f32_f16 v105, v46, v14
	;;#ASMEND
	;;#ASMSTART
	v_dot2c_f32_f16 v104, v46, v10
	;;#ASMEND
	;; [unrolled: 3-line block ×20, first 2 shown]
	s_cmp_ge_u32 s34, s4
	v_add_u32_e32 v106, 0x800, v106
	;;#ASMSTART
	v_dot2c_f32_f16 v105, v47, v15
	;;#ASMEND
	;;#ASMSTART
	v_dot2c_f32_f16 v104, v47, v11
	;;#ASMEND
	;; [unrolled: 3-line block ×20, first 2 shown]
	s_cbranch_scc1 .LBB155_15
.LBB155_12:                             ;   Parent Loop BB155_8 Depth=1
                                        ; =>  This Inner Loop Header: Depth=2
	v_add_u32_e32 v16, s34, v84
	v_min_u32_e32 v66, s24, v16
	s_waitcnt lgkmcnt(0)
	v_lshl_add_u64 v[0:1], v[66:67], 1, s[12:13]
	v_lshl_add_u64 v[2:3], v[0:1], 0, v[68:69]
	v_add_u32_e32 v107, 0x200, v16
	v_lshl_add_u64 v[4:5], v[0:1], 0, v[70:71]
	global_load_dwordx4 v[40:43], v[2:3], off nt
	global_load_dwordx4 v[36:39], v[4:5], off nt
	v_lshl_add_u64 v[2:3], v[0:1], 0, v[72:73]
	v_lshl_add_u64 v[0:1], v[0:1], 0, v[74:75]
	v_min_u32_e32 v66, s24, v107
	global_load_dwordx4 v[32:35], v[2:3], off nt
	global_load_dwordx4 v[28:31], v[0:1], off nt
	v_lshl_add_u64 v[0:1], v[66:67], 1, s[12:13]
	v_lshl_add_u64 v[2:3], v[0:1], 0, v[68:69]
	;; [unrolled: 1-line block ×3, first 2 shown]
	global_load_dwordx4 v[12:15], v[2:3], off nt
	global_load_dwordx4 v[8:11], v[4:5], off nt
	v_lshl_add_u64 v[2:3], v[0:1], 0, v[72:73]
	v_lshl_add_u64 v[0:1], v[0:1], 0, v[74:75]
	global_load_dwordx4 v[4:7], v[2:3], off nt
	s_nop 0
	global_load_dwordx4 v[0:3], v[0:1], off nt
	v_cmp_gt_u32_e32 vcc, s4, v16
	v_mov_b32_e32 v60, 0
	v_mov_b32_e32 v61, 0
	;; [unrolled: 1-line block ×40, first 2 shown]
	s_and_saveexec_b64 s[20:21], vcc
	s_cbranch_execz .LBB155_11
; %bb.13:                               ;   in Loop: Header=BB155_12 Depth=2
	v_add_u32_e32 v66, s6, v106
	v_add_u32_e32 v109, s33, v106
	ds_read_b128 v[56:59], v66
	ds_read2_b32 v[80:81], v109 offset1:1
	v_add_u32_e32 v110, s31, v106
	ds_read2_b32 v[82:83], v109 offset0:2 offset1:3
	ds_read_b128 v[52:55], v110
	v_add_u32_e32 v108, s30, v106
	ds_read_b128 v[60:63], v106
	ds_read2_b64 v[48:51], v108 offset1:1
	v_cmp_gt_u32_e32 vcc, s4, v107
	v_mov_b32_e32 v19, 0
	v_mov_b32_e32 v18, 0
	;; [unrolled: 1-line block ×20, first 2 shown]
	s_and_saveexec_b64 s[22:23], vcc
	s_cbranch_execz .LBB155_10
; %bb.14:                               ;   in Loop: Header=BB155_12 Depth=2
	v_add_u32_e32 v16, 0x400, v109
	v_add_u32_e32 v17, 0x408, v109
	ds_read_b128 v[44:47], v106 offset:1024
	ds_read2_b32 v[76:77], v17 offset1:1
	ds_read_b128 v[24:27], v66 offset:1024
	ds_read_b128 v[20:23], v110 offset:1024
	ds_read2_b32 v[78:79], v16 offset1:1
	ds_read2_b64 v[16:19], v108 offset0:128 offset1:129
	s_branch .LBB155_10
.LBB155_15:                             ;   in Loop: Header=BB155_8 Depth=1
	; sched_barrier mask(0x00000000)
	v_cvt_i32_f32_e32 v0, v105
	v_cvt_i32_f32_e32 v1, v104
	v_cvt_i32_f32_e32 v2, v103
	v_cvt_i32_f32_e32 v3, v102
	v_cvt_f32_i32_dpp v0, v0 row_shr:8 row_mask:0xf bank_mask:0xf bound_ctrl:1
	v_cvt_f32_i32_dpp v1, v1 row_shr:8 row_mask:0xf bank_mask:0xf bound_ctrl:1
	v_cvt_f32_i32_dpp v2, v2 row_shr:8 row_mask:0xf bank_mask:0xf bound_ctrl:1
	v_cvt_f32_i32_dpp v3, v3 row_shr:8 row_mask:0xf bank_mask:0xf bound_ctrl:1
	v_add_f32_e32 v0, v105, v0
	v_cvt_i32_f32_e32 v4, v0
	v_add_f32_e32 v1, v104, v1
	v_cvt_i32_f32_e32 v5, v1
	v_add_f32_e32 v2, v103, v2
	v_cvt_f32_i32_dpp v4, v4 row_shr:4 row_mask:0xf bank_mask:0xf bound_ctrl:1
	v_cvt_i32_f32_e32 v6, v2
	v_cvt_f32_i32_dpp v5, v5 row_shr:4 row_mask:0xf bank_mask:0xf bound_ctrl:1
	v_add_f32_e32 v3, v102, v3
	v_add_f32_e32 v0, v0, v4
	v_cvt_i32_f32_e32 v4, v0
	v_add_f32_e32 v1, v1, v5
	v_cvt_i32_f32_e32 v5, v1
	v_cvt_f32_i32_dpp v6, v6 row_shr:4 row_mask:0xf bank_mask:0xf bound_ctrl:1
	v_cvt_f32_i32_dpp v4, v4 row_shr:2 row_mask:0xf bank_mask:0xf bound_ctrl:1
	v_cvt_i32_f32_e32 v7, v3
	v_cvt_f32_i32_dpp v5, v5 row_shr:2 row_mask:0xf bank_mask:0xf bound_ctrl:1
	v_add_f32_e32 v2, v2, v6
	v_add_f32_e32 v0, v0, v4
	v_cvt_i32_f32_e32 v4, v0
	v_add_f32_e32 v1, v1, v5
	v_cvt_i32_f32_e32 v5, v1
	v_cvt_i32_f32_e32 v6, v2
	v_cvt_f32_i32_dpp v4, v4 row_shr:1 row_mask:0xf bank_mask:0xf bound_ctrl:1
	v_cvt_f32_i32_dpp v7, v7 row_shr:4 row_mask:0xf bank_mask:0xf bound_ctrl:1
	;; [unrolled: 1-line block ×4, first 2 shown]
	v_add_f32_e32 v0, v0, v4
	v_cvt_i32_f32_e32 v4, v0
	v_add_f32_e32 v1, v1, v5
	v_cvt_i32_f32_e32 v5, v1
	v_add_f32_e32 v6, v2, v6
	v_cvt_f32_i32_dpp v4, v4 row_bcast:15 row_mask:0xf bank_mask:0xf bound_ctrl:1
	v_cvt_i32_f32_e32 v2, v6
	v_cvt_f32_i32_dpp v5, v5 row_bcast:15 row_mask:0xf bank_mask:0xf bound_ctrl:1
	v_add_f32_e32 v3, v3, v7
	v_add_f32_e32 v0, v0, v4
	v_cvt_i32_f32_e32 v4, v0
	v_cvt_f32_i32_dpp v7, v2 row_shr:1 row_mask:0xf bank_mask:0xf bound_ctrl:1
	v_add_f32_e32 v1, v1, v5
	v_cvt_i32_f32_e32 v5, v1
	v_mov_b32_dpp v2, v4 row_bcast:31 row_mask:0xf bank_mask:0xf bound_ctrl:1
	v_cvt_i32_f32_e32 v4, v3
	v_add_f32_e32 v6, v6, v7
	v_cvt_i32_f32_e32 v7, v101
	v_cvt_i32_f32_e32 v8, v6
	v_cvt_f32_i32_dpp v9, v4 row_shr:2 row_mask:0xf bank_mask:0xf bound_ctrl:1
	v_mov_b32_dpp v4, v5 row_bcast:31 row_mask:0xf bank_mask:0xf bound_ctrl:1
	v_cvt_f32_i32_dpp v5, v7 row_shr:8 row_mask:0xf bank_mask:0xf bound_ctrl:1
	v_cvt_f32_i32_dpp v7, v8 row_bcast:15 row_mask:0xf bank_mask:0xf bound_ctrl:1
	v_add_f32_e32 v8, v3, v9
	v_cvt_i32_f32_e32 v9, v8
	v_add_f32_e32 v5, v101, v5
	v_cvt_i32_f32_e32 v10, v5
	v_add_f32_e32 v3, v6, v7
	v_cvt_f32_i32_dpp v6, v9 row_shr:1 row_mask:0xf bank_mask:0xf bound_ctrl:1
	v_cvt_i32_f32_e32 v7, v100
	v_cvt_f32_i32_dpp v9, v10 row_shr:4 row_mask:0xf bank_mask:0xf bound_ctrl:1
	v_cvt_i32_f32_e32 v10, v3
	v_add_f32_e32 v8, v8, v6
	v_cvt_f32_i32_dpp v6, v7 row_shr:8 row_mask:0xf bank_mask:0xf bound_ctrl:1
	v_add_f32_e32 v5, v5, v9
	v_cvt_i32_f32_e32 v7, v5
	v_cvt_i32_f32_e32 v9, v8
	v_add_f32_e32 v11, v100, v6
	v_cvt_i32_f32_e32 v12, v11
	v_cvt_f32_i32_dpp v7, v7 row_shr:2 row_mask:0xf bank_mask:0xf bound_ctrl:1
	v_mov_b32_dpp v6, v10 row_bcast:31 row_mask:0xf bank_mask:0xf bound_ctrl:1
	v_cvt_f32_i32_dpp v9, v9 row_bcast:15 row_mask:0xf bank_mask:0xf bound_ctrl:1
	v_cvt_f32_i32_dpp v10, v12 row_shr:4 row_mask:0xf bank_mask:0xf bound_ctrl:1
	v_add_f32_e32 v7, v5, v7
	v_cvt_i32_f32_e32 v12, v7
	v_add_f32_e32 v5, v8, v9
	v_add_f32_e32 v8, v11, v10
	v_cvt_i32_f32_e32 v9, v8
	v_cvt_f32_i32_dpp v10, v12 row_shr:1 row_mask:0xf bank_mask:0xf bound_ctrl:1
	v_cvt_i32_f32_e32 v11, v99
	v_cvt_i32_f32_e32 v12, v5
	v_cvt_f32_i32_dpp v9, v9 row_shr:2 row_mask:0xf bank_mask:0xf bound_ctrl:1
	v_add_f32_e32 v7, v7, v10
	v_cvt_f32_i32_dpp v10, v11 row_shr:8 row_mask:0xf bank_mask:0xf bound_ctrl:1
	v_cvt_i32_f32_e32 v11, v7
	v_add_f32_e32 v9, v8, v9
	v_cvt_i32_f32_e32 v8, v9
	v_add_f32_e32 v10, v99, v10
	v_cvt_i32_f32_e32 v13, v10
	v_cvt_f32_i32_dpp v11, v11 row_bcast:15 row_mask:0xf bank_mask:0xf bound_ctrl:1
	v_cvt_f32_i32_dpp v14, v8 row_shr:1 row_mask:0xf bank_mask:0xf bound_ctrl:1
	v_mov_b32_dpp v8, v12 row_bcast:31 row_mask:0xf bank_mask:0xf bound_ctrl:1
	v_cvt_f32_i32_dpp v12, v13 row_shr:4 row_mask:0xf bank_mask:0xf bound_ctrl:1
	v_add_f32_e32 v7, v7, v11
	v_cvt_i32_f32_e32 v11, v98
	v_add_f32_e32 v9, v9, v14
	v_add_f32_e32 v10, v10, v12
	v_cvt_i32_f32_e32 v12, v10
	v_cvt_f32_i32_dpp v11, v11 row_shr:8 row_mask:0xf bank_mask:0xf bound_ctrl:1
	v_cvt_i32_f32_e32 v14, v7
	v_cvt_i32_f32_e32 v13, v9
	v_cvt_f32_i32_dpp v12, v12 row_shr:2 row_mask:0xf bank_mask:0xf bound_ctrl:1
	v_add_f32_e32 v11, v98, v11
	v_cvt_i32_f32_e32 v15, v11
	v_cvt_f32_i32_dpp v13, v13 row_bcast:15 row_mask:0xf bank_mask:0xf bound_ctrl:1
	v_add_f32_e32 v12, v10, v12
	v_mov_b32_dpp v10, v14 row_bcast:31 row_mask:0xf bank_mask:0xf bound_ctrl:1
	v_cvt_f32_i32_dpp v14, v15 row_shr:4 row_mask:0xf bank_mask:0xf bound_ctrl:1
	v_cvt_i32_f32_e32 v16, v12
	v_add_f32_e32 v9, v9, v13
	v_cvt_i32_f32_e32 v15, v9
	v_add_f32_e32 v11, v11, v14
	v_cvt_f32_i32_dpp v13, v16 row_shr:1 row_mask:0xf bank_mask:0xf bound_ctrl:1
	v_cvt_i32_f32_e32 v14, v11
	v_cvt_i32_f32_e32 v16, v97
	;; [unrolled: 1-line block ×3, first 2 shown]
	v_add_f32_e32 v13, v12, v13
	v_cvt_f32_i32_dpp v14, v14 row_shr:2 row_mask:0xf bank_mask:0xf bound_ctrl:1
	v_cvt_i32_f32_e32 v17, v13
	v_mov_b32_dpp v12, v15 row_bcast:31 row_mask:0xf bank_mask:0xf bound_ctrl:1
	v_cvt_f32_i32_dpp v15, v16 row_shr:8 row_mask:0xf bank_mask:0xf bound_ctrl:1
	v_add_f32_e32 v14, v11, v14
	v_cvt_f32_i32_dpp v16, v17 row_bcast:15 row_mask:0xf bank_mask:0xf bound_ctrl:1
	v_cvt_i32_f32_e32 v17, v14
	v_add_f32_e32 v15, v97, v15
	v_cvt_i32_f32_e32 v18, v15
	v_add_f32_e32 v11, v13, v16
	v_cvt_f32_i32_dpp v13, v17 row_shr:1 row_mask:0xf bank_mask:0xf bound_ctrl:1
	v_cvt_i32_f32_e32 v16, v96
	v_cvt_f32_i32_dpp v17, v18 row_shr:4 row_mask:0xf bank_mask:0xf bound_ctrl:1
	v_cvt_i32_f32_e32 v18, v11
	v_add_f32_e32 v13, v14, v13
	v_cvt_f32_i32_dpp v14, v16 row_shr:8 row_mask:0xf bank_mask:0xf bound_ctrl:1
	v_add_f32_e32 v15, v15, v17
	v_cvt_i32_f32_e32 v16, v15
	v_cvt_i32_f32_e32 v17, v13
	v_add_f32_e32 v19, v96, v14
	v_cvt_i32_f32_e32 v20, v19
	v_cvt_f32_i32_dpp v16, v16 row_shr:2 row_mask:0xf bank_mask:0xf bound_ctrl:1
	v_mov_b32_dpp v14, v18 row_bcast:31 row_mask:0xf bank_mask:0xf bound_ctrl:1
	v_cvt_f32_i32_dpp v17, v17 row_bcast:15 row_mask:0xf bank_mask:0xf bound_ctrl:1
	v_cvt_f32_i32_dpp v18, v20 row_shr:4 row_mask:0xf bank_mask:0xf bound_ctrl:1
	v_add_f32_e32 v15, v15, v16
	v_cvt_i32_f32_e32 v16, v15
	v_add_f32_e32 v13, v13, v17
	v_add_f32_e32 v17, v19, v18
	v_cvt_i32_f32_e32 v18, v17
	v_cvt_f32_i32_dpp v16, v16 row_shr:1 row_mask:0xf bank_mask:0xf bound_ctrl:1
	v_cvt_i32_f32_e32 v19, v95
	v_cvt_i32_f32_e32 v20, v13
	v_cvt_f32_i32_dpp v18, v18 row_shr:2 row_mask:0xf bank_mask:0xf bound_ctrl:1
	v_add_f32_e32 v15, v15, v16
	v_cvt_f32_i32_dpp v16, v19 row_shr:8 row_mask:0xf bank_mask:0xf bound_ctrl:1
	v_cvt_i32_f32_e32 v19, v15
	v_add_f32_e32 v17, v17, v18
	v_cvt_i32_f32_e32 v18, v17
	v_add_f32_e32 v21, v95, v16
	v_cvt_i32_f32_e32 v22, v21
	v_cvt_f32_i32_dpp v19, v19 row_bcast:15 row_mask:0xf bank_mask:0xf bound_ctrl:1
	v_cvt_f32_i32_dpp v18, v18 row_shr:1 row_mask:0xf bank_mask:0xf bound_ctrl:1
	v_mov_b32_dpp v16, v20 row_bcast:31 row_mask:0xf bank_mask:0xf bound_ctrl:1
	v_cvt_f32_i32_dpp v20, v22 row_shr:4 row_mask:0xf bank_mask:0xf bound_ctrl:1
	v_add_f32_e32 v15, v15, v19
	v_add_f32_e32 v17, v17, v18
	v_cvt_i32_f32_e32 v18, v94
	v_add_f32_e32 v19, v21, v20
	v_cvt_i32_f32_e32 v20, v19
	v_cvt_i32_f32_e32 v21, v17
	v_cvt_f32_i32_dpp v18, v18 row_shr:8 row_mask:0xf bank_mask:0xf bound_ctrl:1
	v_cvt_i32_f32_e32 v22, v15
	v_cvt_f32_i32_dpp v20, v20 row_shr:2 row_mask:0xf bank_mask:0xf bound_ctrl:1
	v_cvt_f32_i32_dpp v21, v21 row_bcast:15 row_mask:0xf bank_mask:0xf bound_ctrl:1
	v_add_f32_e32 v23, v94, v18
	v_cvt_i32_f32_e32 v24, v23
	v_add_f32_e32 v19, v19, v20
	v_mov_b32_dpp v18, v22 row_bcast:31 row_mask:0xf bank_mask:0xf bound_ctrl:1
	v_cvt_i32_f32_e32 v20, v19
	v_cvt_f32_i32_dpp v22, v24 row_shr:4 row_mask:0xf bank_mask:0xf bound_ctrl:1
	v_add_f32_e32 v17, v17, v21
	v_cvt_i32_f32_e32 v21, v93
	v_cvt_f32_i32_dpp v20, v20 row_shr:1 row_mask:0xf bank_mask:0xf bound_ctrl:1
	v_add_f32_e32 v22, v23, v22
	;; [unrolled: 3-line block ×4, first 2 shown]
	v_cvt_i32_f32_e32 v25, v21
	v_cvt_i32_f32_e32 v23, v19
	v_add_f32_e32 v22, v22, v20
	v_cvt_i32_f32_e32 v26, v22
	v_cvt_f32_i32_dpp v25, v25 row_shr:4 row_mask:0xf bank_mask:0xf bound_ctrl:1
	v_cvt_f32_i32_dpp v23, v23 row_bcast:15 row_mask:0xf bank_mask:0xf bound_ctrl:1
	v_mov_b32_dpp v20, v24 row_bcast:31 row_mask:0xf bank_mask:0xf bound_ctrl:1
	v_cvt_f32_i32_dpp v24, v26 row_shr:1 row_mask:0xf bank_mask:0xf bound_ctrl:1
	v_add_f32_e32 v21, v21, v25
	v_add_f32_e32 v19, v19, v23
	v_cvt_i32_f32_e32 v23, v21
	v_add_f32_e32 v24, v22, v24
	v_cvt_i32_f32_e32 v22, v92
	v_cvt_i32_f32_e32 v25, v24
	v_cvt_f32_i32_dpp v23, v23 row_shr:2 row_mask:0xf bank_mask:0xf bound_ctrl:1
	v_cvt_i32_f32_e32 v26, v19
	v_cvt_f32_i32_dpp v22, v22 row_shr:8 row_mask:0xf bank_mask:0xf bound_ctrl:1
	v_cvt_f32_i32_dpp v25, v25 row_bcast:15 row_mask:0xf bank_mask:0xf bound_ctrl:1
	v_add_f32_e32 v23, v21, v23
	v_cvt_i32_f32_e32 v21, v23
	v_add_f32_e32 v27, v92, v22
	v_cvt_i32_f32_e32 v28, v27
	v_mov_b32_dpp v22, v26 row_bcast:31 row_mask:0xf bank_mask:0xf bound_ctrl:1
	v_cvt_f32_i32_dpp v26, v21 row_shr:1 row_mask:0xf bank_mask:0xf bound_ctrl:1
	v_add_f32_e32 v21, v24, v25
	v_cvt_f32_i32_dpp v24, v28 row_shr:4 row_mask:0xf bank_mask:0xf bound_ctrl:1
	v_cvt_i32_f32_e32 v25, v21
	v_add_f32_e32 v26, v23, v26
	v_cvt_i32_f32_e32 v23, v91
	v_add_f32_e32 v24, v27, v24
	v_cvt_i32_f32_e32 v27, v24
	v_cvt_i32_f32_e32 v28, v26
	v_cvt_f32_i32_dpp v29, v23 row_shr:8 row_mask:0xf bank_mask:0xf bound_ctrl:1
	v_mov_b32_dpp v23, v25 row_bcast:31 row_mask:0xf bank_mask:0xf bound_ctrl:1
	v_cvt_f32_i32_dpp v25, v27 row_shr:2 row_mask:0xf bank_mask:0xf bound_ctrl:1
	v_cvt_f32_i32_dpp v27, v28 row_bcast:15 row_mask:0xf bank_mask:0xf bound_ctrl:1
	v_add_f32_e32 v28, v91, v29
	v_cvt_i32_f32_e32 v29, v28
	v_add_f32_e32 v25, v24, v25
	v_add_f32_e32 v24, v26, v27
	v_cvt_f32_i32_dpp v26, v30 row_shr:8 row_mask:0xf bank_mask:0xf bound_ctrl:1
	v_cvt_f32_i32_dpp v29, v29 row_shr:4 row_mask:0xf bank_mask:0xf bound_ctrl:1
	v_cvt_i32_f32_e32 v31, v25
	v_add_f32_e32 v26, v90, v26
	v_add_f32_e32 v28, v28, v29
	v_cvt_i32_f32_e32 v29, v28
	v_cvt_f32_i32_dpp v27, v31 row_shr:1 row_mask:0xf bank_mask:0xf bound_ctrl:1
	v_cvt_i32_f32_e32 v30, v26
	v_cvt_i32_f32_e32 v31, v24
	v_cvt_f32_i32_dpp v29, v29 row_shr:2 row_mask:0xf bank_mask:0xf bound_ctrl:1
	v_add_f32_e32 v25, v25, v27
	v_cvt_f32_i32_dpp v27, v30 row_shr:4 row_mask:0xf bank_mask:0xf bound_ctrl:1
	v_cvt_i32_f32_e32 v30, v25
	v_add_f32_e32 v28, v28, v29
	v_cvt_i32_f32_e32 v29, v28
	v_add_f32_e32 v27, v26, v27
	v_cvt_i32_f32_e32 v32, v27
	v_mov_b32_dpp v26, v31 row_bcast:31 row_mask:0xf bank_mask:0xf bound_ctrl:1
	v_cvt_f32_i32_dpp v29, v29 row_shr:1 row_mask:0xf bank_mask:0xf bound_ctrl:1
	v_cvt_f32_i32_dpp v30, v30 row_bcast:15 row_mask:0xf bank_mask:0xf bound_ctrl:1
	v_cvt_f32_i32_dpp v31, v32 row_shr:2 row_mask:0xf bank_mask:0xf bound_ctrl:1
	v_add_f32_e32 v29, v28, v29
	v_cvt_i32_f32_e32 v28, v89
	v_add_f32_e32 v27, v27, v31
	v_add_f32_e32 v25, v25, v30
	v_cvt_i32_f32_e32 v30, v27
	v_cvt_f32_i32_dpp v28, v28 row_shr:8 row_mask:0xf bank_mask:0xf bound_ctrl:1
	v_cvt_i32_f32_e32 v31, v29
	v_cvt_i32_f32_e32 v32, v25
	v_cvt_f32_i32_dpp v30, v30 row_shr:1 row_mask:0xf bank_mask:0xf bound_ctrl:1
	v_add_f32_e32 v33, v89, v28
	v_cvt_i32_f32_e32 v34, v33
	v_cvt_f32_i32_dpp v31, v31 row_bcast:15 row_mask:0xf bank_mask:0xf bound_ctrl:1
	v_add_f32_e32 v30, v27, v30
	v_mov_b32_dpp v28, v32 row_bcast:31 row_mask:0xf bank_mask:0xf bound_ctrl:1
	v_cvt_f32_i32_dpp v32, v34 row_shr:4 row_mask:0xf bank_mask:0xf bound_ctrl:1
	v_cvt_i32_f32_e32 v35, v30
	v_add_f32_e32 v27, v29, v31
	v_cvt_i32_f32_e32 v31, v88
	v_add_f32_e32 v32, v33, v32
	v_cvt_f32_i32_dpp v29, v35 row_bcast:15 row_mask:0xf bank_mask:0xf bound_ctrl:1
	v_cvt_i32_f32_e32 v33, v32
	v_cvt_f32_i32_dpp v31, v31 row_shr:8 row_mask:0xf bank_mask:0xf bound_ctrl:1
	v_cvt_i32_f32_e32 v34, v27
	v_add_f32_e32 v29, v30, v29
	v_cvt_f32_i32_dpp v30, v33 row_shr:2 row_mask:0xf bank_mask:0xf bound_ctrl:1
	v_add_f32_e32 v35, v88, v31
	v_cvt_i32_f32_e32 v31, v35
	v_cvt_i32_f32_e32 v33, v29
	v_add_f32_e32 v32, v32, v30
	v_cvt_i32_f32_e32 v36, v32
	v_mov_b32_dpp v30, v34 row_bcast:31 row_mask:0xf bank_mask:0xf bound_ctrl:1
	v_cvt_f32_i32_dpp v34, v31 row_shr:4 row_mask:0xf bank_mask:0xf bound_ctrl:1
	v_mov_b32_dpp v31, v33 row_bcast:31 row_mask:0xf bank_mask:0xf bound_ctrl:1
	v_cvt_f32_i32_dpp v33, v36 row_shr:1 row_mask:0xf bank_mask:0xf bound_ctrl:1
	v_cvt_i32_f32_e32 v36, v87
	v_add_f32_e32 v34, v35, v34
	v_cvt_i32_f32_e32 v35, v65
	v_add_f32_e32 v32, v32, v33
	v_cvt_f32_i32_dpp v36, v36 row_shr:8 row_mask:0xf bank_mask:0xf bound_ctrl:1
	v_cvt_i32_f32_e32 v37, v34
	v_cvt_f32_i32_dpp v33, v35 row_shr:8 row_mask:0xf bank_mask:0xf bound_ctrl:1
	v_cvt_i32_f32_e32 v39, v32
	v_add_f32_e32 v36, v87, v36
	v_cvt_f32_i32_dpp v35, v37 row_shr:2 row_mask:0xf bank_mask:0xf bound_ctrl:1
	v_add_f32_e32 v33, v65, v33
	v_cvt_i32_f32_e32 v37, v36
	v_cvt_i32_f32_e32 v38, v33
	v_add_f32_e32 v34, v34, v35
	v_cvt_f32_i32_dpp v39, v39 row_bcast:15 row_mask:0xf bank_mask:0xf bound_ctrl:1
	v_cvt_f32_i32_dpp v37, v37 row_shr:4 row_mask:0xf bank_mask:0xf bound_ctrl:1
	v_cvt_f32_i32_dpp v35, v38 row_shr:4 row_mask:0xf bank_mask:0xf bound_ctrl:1
	v_cvt_i32_f32_e32 v38, v34
	v_add_f32_e32 v32, v32, v39
	v_add_f32_e32 v36, v36, v37
	;; [unrolled: 1-line block ×3, first 2 shown]
	v_cvt_i32_f32_e32 v37, v36
	v_cvt_i32_f32_e32 v35, v33
	v_cvt_f32_i32_dpp v38, v38 row_shr:1 row_mask:0xf bank_mask:0xf bound_ctrl:1
	v_cvt_i32_f32_e32 v40, v32
	v_cvt_f32_i32_dpp v37, v37 row_shr:2 row_mask:0xf bank_mask:0xf bound_ctrl:1
	v_cvt_f32_i32_dpp v35, v35 row_shr:2 row_mask:0xf bank_mask:0xf bound_ctrl:1
	v_add_f32_e32 v34, v34, v38
	v_cvt_i32_f32_e32 v38, v34
	v_add_f32_e32 v36, v36, v37
	v_add_f32_e32 v33, v33, v35
	v_cvt_i32_f32_e32 v37, v36
	v_cvt_i32_f32_e32 v35, v33
	v_cvt_f32_i32_dpp v38, v38 row_bcast:15 row_mask:0xf bank_mask:0xf bound_ctrl:1
	v_cvt_f32_i32_dpp v37, v37 row_shr:1 row_mask:0xf bank_mask:0xf bound_ctrl:1
	v_cvt_f32_i32_dpp v35, v35 row_shr:1 row_mask:0xf bank_mask:0xf bound_ctrl:1
	v_add_f32_e32 v36, v36, v37
	v_add_f32_e32 v35, v33, v35
	v_cvt_i32_f32_e32 v37, v36
	v_cvt_i32_f32_e32 v39, v35
	v_add_f32_e32 v33, v34, v38
	v_cvt_i32_f32_e32 v41, v33
	v_cvt_f32_i32_dpp v37, v37 row_bcast:15 row_mask:0xf bank_mask:0xf bound_ctrl:1
	v_cvt_f32_i32_dpp v38, v39 row_bcast:15 row_mask:0xf bank_mask:0xf bound_ctrl:1
	v_mov_b32_dpp v39, v40 row_bcast:31 row_mask:0xf bank_mask:0xf bound_ctrl:1
	v_add_f32_e32 v34, v36, v37
	v_add_f32_e32 v35, v35, v38
	v_cvt_i32_f32_e32 v36, v34
	v_cvt_i32_f32_e32 v42, v35
	v_mov_b32_dpp v38, v41 row_bcast:31 row_mask:0xf bank_mask:0xf bound_ctrl:1
	v_mov_b32_dpp v37, v36 row_bcast:31 row_mask:0xf bank_mask:0xf bound_ctrl:1
	;; [unrolled: 1-line block ×3, first 2 shown]
	s_and_saveexec_b64 s[20:21], s[0:1]
	s_cbranch_execz .LBB155_7
; %bb.16:                               ;   in Loop: Header=BB155_8 Depth=1
	s_and_b64 vcc, exec, s[18:19]
	s_cbranch_vccz .LBB155_18
; %bb.17:                               ;   in Loop: Header=BB155_8 Depth=1
	v_mul_hi_u32 v40, v64, v85
	v_mul_lo_u32 v40, v40, s8
	v_sub_u32_e32 v40, v64, v40
	v_or_b32_e32 v42, 1, v64
	v_subrev_u32_e32 v41, s8, v40
	v_cmp_le_u32_e32 vcc, s8, v40
	v_mul_hi_u32 v43, v42, v85
	v_mul_lo_u32 v43, v43, s8
	v_cndmask_b32_e32 v40, v40, v41, vcc
	v_subrev_u32_e32 v41, s8, v40
	v_cmp_le_u32_e32 vcc, s8, v40
	v_sub_u32_e32 v42, v42, v43
	v_subrev_u32_e32 v43, s8, v42
	v_cndmask_b32_e32 v66, v40, v41, vcc
	v_cmp_le_u32_e32 vcc, s8, v42
	v_mov_b32_e32 v45, v67
	v_mov_b32_e32 v53, v67
	v_cndmask_b32_e32 v42, v42, v43, vcc
	v_subrev_u32_e32 v43, s8, v42
	v_cmp_le_u32_e32 vcc, s8, v42
	v_mov_b32_e32 v61, v67
	v_mov_b32_e32 v63, v67
	v_cndmask_b32_e32 v44, v42, v43, vcc
	v_lshl_add_u64 v[42:43], v[44:45], 1, s[10:11]
	v_or_b32_e32 v45, 2, v64
	v_mul_hi_u32 v46, v45, v85
	v_mul_lo_u32 v46, v46, s8
	v_sub_u32_e32 v45, v45, v46
	v_subrev_u32_e32 v46, s8, v45
	v_cmp_le_u32_e32 vcc, s8, v45
	v_add_u32_e32 v52, s26, v44
	v_add_u32_e32 v50, s26, v66
	v_cndmask_b32_e32 v45, v45, v46, vcc
	v_subrev_u32_e32 v46, s8, v45
	v_cmp_le_u32_e32 vcc, s8, v45
	v_mov_b32_e32 v51, v67
	v_lshl_add_u64 v[68:69], v[52:53], 1, s[10:11]
	v_cndmask_b32_e32 v60, v45, v46, vcc
	v_or_b32_e32 v45, 3, v64
	v_mul_hi_u32 v48, v45, v85
	v_mul_lo_u32 v48, v48, s8
	v_sub_u32_e32 v45, v45, v48
	v_subrev_u32_e32 v48, s8, v45
	v_cmp_le_u32_e32 vcc, s8, v45
	v_add_u32_e32 v52, s26, v60
	v_lshl_add_u64 v[40:41], v[66:67], 1, s[10:11]
	v_cndmask_b32_e32 v45, v45, v48, vcc
	v_subrev_u32_e32 v48, s8, v45
	v_cmp_le_u32_e32 vcc, s8, v45
	v_lshl_add_u64 v[46:47], v[60:61], 1, s[10:11]
	v_lshl_add_u64 v[50:51], v[50:51], 1, s[10:11]
	v_cndmask_b32_e32 v62, v45, v48, vcc
	v_lshl_add_u64 v[48:49], v[62:63], 1, s[10:11]
	v_lshl_add_u64 v[70:71], v[52:53], 1, s[10:11]
	v_add_u32_e32 v52, s26, v62
	v_lshl_add_u64 v[72:73], v[52:53], 1, s[10:11]
	global_load_ushort v59, v[40:41], off
	global_load_ushort v58, v[42:43], off
	;; [unrolled: 1-line block ×5, first 2 shown]
                                        ; kill: killed $vgpr48_vgpr49
                                        ; kill: killed $vgpr50_vgpr51
	global_load_ushort v52, v[68:69], off
	s_nop 0
	global_load_ushort v50, v[70:71], off
	global_load_ushort v48, v[72:73], off
	v_add_u32_e32 v40, s27, v66
	v_mov_b32_e32 v41, v67
	v_add_u32_e32 v42, s27, v44
	v_mov_b32_e32 v43, v67
	;; [unrolled: 2-line block ×3, first 2 shown]
	v_lshl_add_u64 v[40:41], v[40:41], 1, s[10:11]
	v_lshl_add_u64 v[42:43], v[42:43], 1, s[10:11]
	v_lshl_add_u64 v[46:47], v[46:47], 1, s[10:11]
	v_add_u32_e32 v68, s27, v62
	v_mov_b32_e32 v69, v67
	v_add_u32_e32 v70, s28, v66
	v_mov_b32_e32 v71, v67
	;; [unrolled: 2-line block ×5, first 2 shown]
	v_lshl_add_u64 v[68:69], v[68:69], 1, s[10:11]
	v_lshl_add_u64 v[70:71], v[70:71], 1, s[10:11]
	;; [unrolled: 1-line block ×5, first 2 shown]
	global_load_ushort v55, v[40:41], off
	global_load_ushort v53, v[42:43], off
	;; [unrolled: 1-line block ×4, first 2 shown]
	s_nop 0
	global_load_ushort v47, v[70:71], off
	global_load_ushort v46, v[72:73], off
	;; [unrolled: 1-line block ×4, first 2 shown]
	v_add_u32_e32 v66, s29, v66
	v_lshl_add_u64 v[40:41], v[66:67], 1, s[10:11]
	v_add_u32_e32 v66, s29, v44
	v_lshl_add_u64 v[68:69], v[66:67], 1, s[10:11]
	;; [unrolled: 2-line block ×4, first 2 shown]
	global_load_ushort v44, v[40:41], off
	global_load_ushort v43, v[68:69], off
	s_nop 0
	global_load_ushort v41, v[60:61], off
	global_load_ushort v40, v[62:63], off
	v_mov_b32_e32 v65, v67
	s_cbranch_execnz .LBB155_6
	s_branch .LBB155_19
.LBB155_18:                             ;   in Loop: Header=BB155_8 Depth=1
                                        ; implicit-def: $vgpr40
                                        ; implicit-def: $vgpr41
                                        ; implicit-def: $vgpr43
                                        ; implicit-def: $vgpr44
                                        ; implicit-def: $vgpr42
                                        ; implicit-def: $vgpr45
                                        ; implicit-def: $vgpr46
                                        ; implicit-def: $vgpr47
                                        ; implicit-def: $vgpr49
                                        ; implicit-def: $vgpr51
                                        ; implicit-def: $vgpr53
                                        ; implicit-def: $vgpr55
                                        ; implicit-def: $vgpr48
                                        ; implicit-def: $vgpr50
                                        ; implicit-def: $vgpr52
                                        ; implicit-def: $vgpr54
                                        ; implicit-def: $vgpr56
                                        ; implicit-def: $vgpr57
                                        ; implicit-def: $vgpr58
                                        ; implicit-def: $vgpr59
.LBB155_19:                             ;   in Loop: Header=BB155_8 Depth=1
	v_mov_b32_e32 v65, v67
	s_waitcnt vmcnt(19)
	v_mov_b32_e32 v59, 0
	s_waitcnt vmcnt(18)
	;; [unrolled: 2-line block ×20, first 2 shown]
	v_mov_b32_e32 v40, 0
	s_branch .LBB155_6
.LBB155_20:
	s_endpgm
	.section	.rodata,"a",@progbits
	.p2align	6, 0x0
	.amdhsa_kernel _Z16wvSplitK_hf_sml_I6__halfLi64ELi4ELi16ELi8ELi2ELi5EEviiiiiiPKT_S3_S3_PS1_ii
		.amdhsa_group_segment_fixed_size 65536
		.amdhsa_private_segment_fixed_size 0
		.amdhsa_kernarg_size 64
		.amdhsa_user_sgpr_count 2
		.amdhsa_user_sgpr_dispatch_ptr 0
		.amdhsa_user_sgpr_queue_ptr 0
		.amdhsa_user_sgpr_kernarg_segment_ptr 1
		.amdhsa_user_sgpr_dispatch_id 0
		.amdhsa_user_sgpr_kernarg_preload_length 0
		.amdhsa_user_sgpr_kernarg_preload_offset 0
		.amdhsa_user_sgpr_private_segment_size 0
		.amdhsa_uses_dynamic_stack 0
		.amdhsa_enable_private_segment 0
		.amdhsa_system_sgpr_workgroup_id_x 1
		.amdhsa_system_sgpr_workgroup_id_y 0
		.amdhsa_system_sgpr_workgroup_id_z 0
		.amdhsa_system_sgpr_workgroup_info 0
		.amdhsa_system_vgpr_workitem_id 1
		.amdhsa_next_free_vgpr 111
		.amdhsa_next_free_sgpr 35
		.amdhsa_accum_offset 112
		.amdhsa_reserve_vcc 1
		.amdhsa_float_round_mode_32 0
		.amdhsa_float_round_mode_16_64 0
		.amdhsa_float_denorm_mode_32 3
		.amdhsa_float_denorm_mode_16_64 3
		.amdhsa_dx10_clamp 1
		.amdhsa_ieee_mode 1
		.amdhsa_fp16_overflow 0
		.amdhsa_tg_split 0
		.amdhsa_exception_fp_ieee_invalid_op 0
		.amdhsa_exception_fp_denorm_src 0
		.amdhsa_exception_fp_ieee_div_zero 0
		.amdhsa_exception_fp_ieee_overflow 0
		.amdhsa_exception_fp_ieee_underflow 0
		.amdhsa_exception_fp_ieee_inexact 0
		.amdhsa_exception_int_div_zero 0
	.end_amdhsa_kernel
	.section	.text._Z16wvSplitK_hf_sml_I6__halfLi64ELi4ELi16ELi8ELi2ELi5EEviiiiiiPKT_S3_S3_PS1_ii,"axG",@progbits,_Z16wvSplitK_hf_sml_I6__halfLi64ELi4ELi16ELi8ELi2ELi5EEviiiiiiPKT_S3_S3_PS1_ii,comdat
.Lfunc_end155:
	.size	_Z16wvSplitK_hf_sml_I6__halfLi64ELi4ELi16ELi8ELi2ELi5EEviiiiiiPKT_S3_S3_PS1_ii, .Lfunc_end155-_Z16wvSplitK_hf_sml_I6__halfLi64ELi4ELi16ELi8ELi2ELi5EEviiiiiiPKT_S3_S3_PS1_ii
                                        ; -- End function
	.section	.AMDGPU.csdata,"",@progbits
; Kernel info:
; codeLenInByte = 6304
; NumSgprs: 41
; NumVgprs: 111
; NumAgprs: 0
; TotalNumVgprs: 111
; ScratchSize: 0
; MemoryBound: 0
; FloatMode: 240
; IeeeMode: 1
; LDSByteSize: 65536 bytes/workgroup (compile time only)
; SGPRBlocks: 5
; VGPRBlocks: 13
; NumSGPRsForWavesPerEU: 41
; NumVGPRsForWavesPerEU: 111
; AccumOffset: 112
; Occupancy: 4
; WaveLimiterHint : 0
; COMPUTE_PGM_RSRC2:SCRATCH_EN: 0
; COMPUTE_PGM_RSRC2:USER_SGPR: 2
; COMPUTE_PGM_RSRC2:TRAP_HANDLER: 0
; COMPUTE_PGM_RSRC2:TGID_X_EN: 1
; COMPUTE_PGM_RSRC2:TGID_Y_EN: 0
; COMPUTE_PGM_RSRC2:TGID_Z_EN: 0
; COMPUTE_PGM_RSRC2:TIDIG_COMP_CNT: 1
; COMPUTE_PGM_RSRC3_GFX90A:ACCUM_OFFSET: 27
; COMPUTE_PGM_RSRC3_GFX90A:TG_SPLIT: 0
	.section	.text._Z12wvSplitK_hf_I6__halfLi64ELi4ELi16ELi8ELi2ELi5EEviiiiiiPKT_S3_S3_PS1_ii,"axG",@progbits,_Z12wvSplitK_hf_I6__halfLi64ELi4ELi16ELi8ELi2ELi5EEviiiiiiPKT_S3_S3_PS1_ii,comdat
	.protected	_Z12wvSplitK_hf_I6__halfLi64ELi4ELi16ELi8ELi2ELi5EEviiiiiiPKT_S3_S3_PS1_ii ; -- Begin function _Z12wvSplitK_hf_I6__halfLi64ELi4ELi16ELi8ELi2ELi5EEviiiiiiPKT_S3_S3_PS1_ii
	.globl	_Z12wvSplitK_hf_I6__halfLi64ELi4ELi16ELi8ELi2ELi5EEviiiiiiPKT_S3_S3_PS1_ii
	.p2align	8
	.type	_Z12wvSplitK_hf_I6__halfLi64ELi4ELi16ELi8ELi2ELi5EEviiiiiiPKT_S3_S3_PS1_ii,@function
_Z12wvSplitK_hf_I6__halfLi64ELi4ELi16ELi8ELi2ELi5EEviiiiiiPKT_S3_S3_PS1_ii: ; @_Z12wvSplitK_hf_I6__halfLi64ELi4ELi16ELi8ELi2ELi5EEviiiiiiPKT_S3_S3_PS1_ii
; %bb.0:
	s_load_dwordx2 s[8:9], s[0:1], 0x38
	s_load_dwordx4 s[12:15], s[0:1], 0x0
	s_load_dwordx2 s[10:11], s[0:1], 0x10
	v_bfe_u32 v1, v0, 10, 10
	s_mov_b32 s4, 1
	s_waitcnt lgkmcnt(0)
	s_mul_i32 s2, s2, s8
	v_add_lshl_u32 v78, s2, v1, 2
	v_add_u32_e32 v2, 4, v78
	s_mov_b32 s5, s4
	v_cmp_gt_u32_e32 vcc, s15, v78
	v_cmp_le_u32_e64 s[2:3], s15, v2
	s_mov_b32 s6, s4
	s_mov_b32 s7, s4
	v_mov_b64_e32 v[2:3], s[4:5]
	s_and_b64 s[16:17], vcc, s[2:3]
	v_mov_b64_e32 v[4:5], s[6:7]
	s_and_saveexec_b64 s[2:3], s[16:17]
	s_cbranch_execz .LBB156_6
; %bb.1:
	s_add_i32 s22, s15, -4
	v_mov_b64_e32 v[2:3], s[4:5]
	v_cmp_ne_u32_e32 vcc, s22, v78
	v_mov_b64_e32 v[4:5], s[6:7]
	s_and_saveexec_b64 s[16:17], vcc
	s_cbranch_execz .LBB156_5
; %bb.2:
	v_subrev_u32_e32 v2, s22, v78
	v_cmp_lt_u32_e32 vcc, 1, v2
	s_mov_b64 s[18:19], 0
	s_mov_b64 s[20:21], 0
	v_cndmask_b32_e32 v6, 1, v2, vcc
	s_mov_b32 s5, s4
	s_mov_b32 s6, s4
	s_mov_b32 s7, s4
.LBB156_3:                              ; =>This Inner Loop Header: Depth=1
	s_cmp_lg_u32 s20, 3
	s_cselect_b32 s7, s7, 0
	s_cmp_lg_u32 s20, 2
	s_cselect_b32 s6, s6, 0
	s_cmp_lg_u32 s20, 1
	s_cselect_b32 s5, s5, 0
	s_cmp_lg_u32 s20, 0
	s_cselect_b32 s4, s4, 0
	s_add_u32 s20, s20, 1
	s_addc_u32 s21, s21, 0
	v_cmp_eq_u32_e32 vcc, s20, v6
	v_mov_b64_e32 v[2:3], s[4:5]
	s_or_b64 s[18:19], vcc, s[18:19]
	v_mov_b64_e32 v[4:5], s[6:7]
	s_andn2_b64 exec, exec, s[18:19]
	s_cbranch_execnz .LBB156_3
; %bb.4:
	s_or_b64 exec, exec, s[18:19]
	v_mov_b32_e32 v78, s22
.LBB156_5:
	s_or_b64 exec, exec, s[16:17]
.LBB156_6:
	s_or_b64 exec, exec, s[2:3]
	s_load_dwordx4 s[16:19], s[0:1], 0x20
	v_and_b32_e32 v8, 0x3ff, v0
	v_lshlrev_b32_e32 v0, 3, v8
	s_mul_i32 s2, s14, 5
	v_lshl_add_u32 v9, v1, 9, v0
	s_min_u32 s20, s2, 0x8000
	v_cmp_gt_u32_e32 vcc, s20, v9
	s_and_saveexec_b64 s[2:3], vcc
	s_cbranch_execz .LBB156_9
; %bb.7:
	v_mov_b32_e32 v11, 0
	v_lshlrev_b32_e32 v10, 10, v1
	v_lshlrev_b32_e32 v12, 4, v8
	v_mov_b32_e32 v13, v11
	v_lshl_add_u64 v[6:7], v[10:11], 0, v[12:13]
	s_waitcnt lgkmcnt(0)
	v_lshl_add_u64 v[6:7], s[16:17], 0, v[6:7]
	v_add_u32_e32 v10, v10, v12
	s_mov_b64 s[4:5], 0
	s_mov_b64 s[6:7], 0x4000
.LBB156_8:                              ; =>This Inner Loop Header: Depth=1
	global_load_dwordx4 v[12:15], v[6:7], off
	v_add_u32_e32 v9, 0x2000, v9
	v_cmp_le_u32_e32 vcc, s20, v9
	v_lshl_add_u64 v[6:7], v[6:7], 0, s[6:7]
	s_or_b64 s[4:5], vcc, s[4:5]
	s_waitcnt vmcnt(0)
	ds_write_b128 v10, v[12:15]
	v_add_u32_e32 v10, 0x4000, v10
	s_andn2_b64 exec, exec, s[4:5]
	s_cbranch_execnz .LBB156_8
.LBB156_9:
	s_or_b64 exec, exec, s[2:3]
	v_cmp_gt_u32_e32 vcc, s8, v1
	v_cmp_gt_u32_e64 s[2:3], s15, v78
	s_and_b64 s[2:3], vcc, s[2:3]
	s_waitcnt lgkmcnt(0)
	s_barrier
	s_and_saveexec_b64 s[4:5], s[2:3]
	s_cbranch_execz .LBB156_108
; %bb.10:
	s_cmp_lg_u32 s12, 0
	s_cselect_b64 s[2:3], -1, 0
	s_add_i32 s33, s12, -8
	s_add_i32 s36, s15, -1
	s_mul_i32 s4, s8, s9
	s_cmp_lg_u64 s[18:19], 0
	s_cselect_b64 s[26:27], -1, 0
	s_lshl_b32 s37, s4, 2
	s_abs_i32 s4, s11
	v_cvt_f32_u32_e32 v1, s10
	v_cvt_f32_u32_e32 v6, s4
	s_sub_i32 s5, 0, s10
	s_add_i32 s38, s15, -4
	v_rcp_iflag_f32_e32 v1, v1
	v_rcp_iflag_f32_e32 v6, v6
	s_lshl_b32 s11, s14, 1
	s_load_dwordx2 s[20:21], s[0:1], 0x18
	s_load_dwordx2 s[22:23], s[0:1], 0x30
	v_mul_f32_e32 v1, 0x4f7ffffe, v1
	v_mul_f32_e32 v6, 0x4f7ffffe, v6
	v_cvt_u32_f32_e32 v1, v1
	v_cvt_u32_f32_e32 v6, v6
	v_cmp_eq_u32_e64 s[0:1], 63, v8
	s_mov_b64 s[24:25], 0
	v_mul_lo_u32 v7, s5, v1
	s_sub_i32 s5, 0, s4
	v_readfirstlane_b32 s6, v6
	s_mul_i32 s5, s5, s6
	s_mul_hi_u32 s5, s6, s5
	s_add_i32 s6, s6, s5
	s_sub_i32 s5, 1, s4
	s_cmp_lt_u32 s4, 2
	s_cselect_b32 s5, s5, 1
	s_sub_i32 s7, s5, s4
	s_cmp_ge_u32 s5, s4
	s_cselect_b32 s39, s7, s5
	s_lshr_b32 s5, s6, 31
	s_mul_i32 s5, s5, s4
	s_sub_i32 s5, 2, s5
	s_sub_i32 s7, s5, s4
	s_cmp_ge_u32 s5, s4
	s_cselect_b32 s5, s7, s5
	s_sub_i32 s7, s5, s4
	s_cmp_ge_u32 s5, s4
	s_cselect_b32 s40, s7, s5
	s_mul_hi_u32 s5, s6, 3
	s_mul_i32 s5, s5, s4
	s_sub_i32 s5, 3, s5
	s_sub_i32 s7, s5, s4
	s_cmp_ge_u32 s5, s4
	s_cselect_b32 s5, s7, s5
	s_sub_i32 s7, s5, s4
	s_cmp_ge_u32 s5, s4
	s_cselect_b32 s41, s7, s5
	s_lshr_b32 s5, s6, 30
	s_mul_i32 s5, s5, s4
	s_sub_i32 s5, 4, s5
	s_sub_i32 s6, s5, s4
	s_cmp_ge_u32 s5, s4
	s_cselect_b32 s5, s6, s5
	v_mul_hi_u32 v7, v1, v7
	s_sub_i32 s6, s5, s4
	v_add_u32_e32 v1, v1, v7
	s_cmp_ge_u32 s5, s4
	s_cselect_b32 s42, s6, s5
	s_lshl_b32 s43, s14, 2
	v_mad_u64_u32 v[82:83], s[4:5], s14, 3, v[0:1]
	v_cndmask_b32_e64 v6, 0, 1, s[2:3]
	v_mov_b32_e32 v81, 0
	s_mul_i32 s39, s39, s10
	s_mul_i32 s40, s40, s10
	;; [unrolled: 1-line block ×4, first 2 shown]
	v_lshlrev_b32_e32 v106, 4, v8
	v_add_u32_e32 v107, s11, v0
	s_mul_i32 s44, s14, 6
	s_lshl_b32 s45, s14, 3
	v_add_u32_e32 v83, s43, v0
	v_add_u32_e32 v108, s14, v0
	v_cmp_ne_u32_e64 s[2:3], 1, v6
	s_movk_i32 s14, 0x7fff
	s_mov_b32 s28, 0
	s_branch .LBB156_13
.LBB156_11:                             ;   in Loop: Header=BB156_13 Depth=1
	s_or_b64 exec, exec, s[8:9]
	v_mov_b32_e32 v78, s38
.LBB156_12:                             ;   in Loop: Header=BB156_13 Depth=1
	s_or_b64 exec, exec, s[6:7]
	v_cmp_le_u32_e32 vcc, s15, v78
	s_or_b64 s[24:25], vcc, s[24:25]
	s_andn2_b64 exec, exec, s[24:25]
	s_cbranch_execz .LBB156_108
.LBB156_13:                             ; =>This Loop Header: Depth=1
                                        ;     Child Loop BB156_18 Depth 2
                                        ;     Child Loop BB156_87 Depth 2
	s_and_b64 vcc, exec, s[2:3]
	v_add_u32_e32 v88, 1, v78
	v_add_u32_e32 v86, 2, v78
	;; [unrolled: 1-line block ×3, first 2 shown]
	v_mov_b32_e32 v124, v81
	v_mov_b32_e32 v123, v81
	;; [unrolled: 1-line block ×20, first 2 shown]
	s_cbranch_vccnz .LBB156_60
; %bb.14:                               ;   in Loop: Header=BB156_13 Depth=1
	v_min_u32_e32 v6, s36, v78
	v_mul_lo_u32 v80, v6, s13
	v_min_u32_e32 v6, s36, v88
	v_min_u32_e32 v8, s36, v86
	;; [unrolled: 1-line block ×3, first 2 shown]
	v_mul_lo_u32 v6, v6, s13
	v_mov_b32_e32 v7, v81
	v_mul_lo_u32 v8, v8, s13
	v_mov_b32_e32 v9, v81
	;; [unrolled: 2-line block ×3, first 2 shown]
	v_mov_b32_e32 v116, 0
	v_lshlrev_b64 v[90:91], 1, v[80:81]
	v_lshlrev_b64 v[92:93], 1, v[6:7]
	v_lshlrev_b64 v[94:95], 1, v[8:9]
	v_lshlrev_b64 v[96:97], 1, v[10:11]
	v_mov_b32_e32 v125, v106
	v_mov_b32_e32 v115, 0
	;; [unrolled: 1-line block ×20, first 2 shown]
	s_mov_b32 s30, s28
	s_branch .LBB156_18
.LBB156_15:                             ;   in Loop: Header=BB156_18 Depth=2
	s_or_b64 exec, exec, s[8:9]
.LBB156_16:                             ;   in Loop: Header=BB156_18 Depth=2
	s_or_b64 exec, exec, s[6:7]
.LBB156_17:                             ;   in Loop: Header=BB156_18 Depth=2
	s_or_b64 exec, exec, s[4:5]
	s_waitcnt vmcnt(0) lgkmcnt(0)
	;;#ASMSTART
	v_dot2c_f32_f16 v124, v54, v34
	;;#ASMEND
	;;#ASMSTART
	v_dot2c_f32_f16 v123, v54, v30
	;;#ASMEND
	;;#ASMSTART
	v_dot2c_f32_f16 v122, v54, v26
	;;#ASMEND
	;;#ASMSTART
	v_dot2c_f32_f16 v121, v54, v22
	;;#ASMEND
	;;#ASMSTART
	v_dot2c_f32_f16 v120, v50, v34
	;;#ASMEND
	;;#ASMSTART
	v_dot2c_f32_f16 v119, v50, v30
	;;#ASMEND
	;;#ASMSTART
	v_dot2c_f32_f16 v118, v50, v26
	;;#ASMEND
	;;#ASMSTART
	v_dot2c_f32_f16 v117, v50, v22
	;;#ASMEND
	;;#ASMSTART
	v_dot2c_f32_f16 v116, v46, v34
	;;#ASMEND
	;;#ASMSTART
	v_dot2c_f32_f16 v115, v46, v30
	;;#ASMEND
	;;#ASMSTART
	v_dot2c_f32_f16 v114, v46, v26
	;;#ASMEND
	;;#ASMSTART
	v_dot2c_f32_f16 v113, v46, v22
	;;#ASMEND
	;;#ASMSTART
	v_dot2c_f32_f16 v112, v42, v34
	;;#ASMEND
	;;#ASMSTART
	v_dot2c_f32_f16 v111, v42, v30
	;;#ASMEND
	;;#ASMSTART
	v_dot2c_f32_f16 v110, v42, v26
	;;#ASMEND
	;;#ASMSTART
	v_dot2c_f32_f16 v109, v42, v22
	;;#ASMEND
	;;#ASMSTART
	v_dot2c_f32_f16 v89, v38, v34
	;;#ASMEND
	;;#ASMSTART
	v_dot2c_f32_f16 v87, v38, v30
	;;#ASMEND
	;;#ASMSTART
	v_dot2c_f32_f16 v85, v38, v26
	;;#ASMEND
	;;#ASMSTART
	v_dot2c_f32_f16 v79, v38, v22
	;;#ASMEND
	s_nop 0
	;;#ASMSTART
	v_dot2c_f32_f16 v124, v55, v35
	;;#ASMEND
	;;#ASMSTART
	v_dot2c_f32_f16 v123, v55, v31
	;;#ASMEND
	;;#ASMSTART
	v_dot2c_f32_f16 v122, v55, v27
	;;#ASMEND
	;;#ASMSTART
	v_dot2c_f32_f16 v121, v55, v23
	;;#ASMEND
	;;#ASMSTART
	v_dot2c_f32_f16 v120, v51, v35
	;;#ASMEND
	;;#ASMSTART
	v_dot2c_f32_f16 v119, v51, v31
	;;#ASMEND
	;;#ASMSTART
	v_dot2c_f32_f16 v118, v51, v27
	;;#ASMEND
	;;#ASMSTART
	v_dot2c_f32_f16 v117, v51, v23
	;;#ASMEND
	;;#ASMSTART
	v_dot2c_f32_f16 v116, v47, v35
	;;#ASMEND
	;;#ASMSTART
	v_dot2c_f32_f16 v115, v47, v31
	;;#ASMEND
	;;#ASMSTART
	v_dot2c_f32_f16 v114, v47, v27
	;;#ASMEND
	;;#ASMSTART
	v_dot2c_f32_f16 v113, v47, v23
	;;#ASMEND
	;;#ASMSTART
	v_dot2c_f32_f16 v112, v43, v35
	;;#ASMEND
	;;#ASMSTART
	v_dot2c_f32_f16 v111, v43, v31
	;;#ASMEND
	;;#ASMSTART
	v_dot2c_f32_f16 v110, v43, v27
	;;#ASMEND
	;;#ASMSTART
	v_dot2c_f32_f16 v109, v43, v23
	;;#ASMEND
	;;#ASMSTART
	v_dot2c_f32_f16 v89, v39, v35
	;;#ASMEND
	;;#ASMSTART
	v_dot2c_f32_f16 v87, v39, v31
	;;#ASMEND
	;;#ASMSTART
	v_dot2c_f32_f16 v85, v39, v27
	;;#ASMEND
	;;#ASMSTART
	v_dot2c_f32_f16 v79, v39, v23
	;;#ASMEND
	s_nop 0
	;; [unrolled: 61-line block ×5, first 2 shown]
	;;#ASMSTART
	v_dot2c_f32_f16 v124, v75, v19
	;;#ASMEND
	;;#ASMSTART
	v_dot2c_f32_f16 v123, v75, v15
	;;#ASMEND
	;; [unrolled: 3-line block ×20, first 2 shown]
	s_addk_i32 s30, 0x400
	;;#ASMSTART
	v_dot2c_f32_f16 v124, v76, v20
	;;#ASMEND
	;;#ASMSTART
	v_dot2c_f32_f16 v123, v76, v16
	;;#ASMEND
	;; [unrolled: 3-line block ×20, first 2 shown]
	s_cmp_ge_u32 s30, s12
	v_add_u32_e32 v125, 0x800, v125
	;;#ASMSTART
	v_dot2c_f32_f16 v124, v77, v21
	;;#ASMEND
	;;#ASMSTART
	v_dot2c_f32_f16 v123, v77, v17
	;;#ASMEND
	;; [unrolled: 3-line block ×20, first 2 shown]
	s_cbranch_scc1 .LBB156_60
.LBB156_18:                             ;   Parent Loop BB156_13 Depth=1
                                        ; =>  This Inner Loop Header: Depth=2
	v_add_u32_e32 v100, s30, v0
	v_min_u32_e32 v80, s33, v100
	s_waitcnt lgkmcnt(0)
	v_lshl_add_u64 v[6:7], v[80:81], 1, s[20:21]
	v_lshl_add_u64 v[8:9], v[6:7], 0, v[90:91]
	v_add_u32_e32 v98, 0x200, v100
	v_lshl_add_u64 v[10:11], v[6:7], 0, v[92:93]
	global_load_dwordx4 v[34:37], v[8:9], off nt
	global_load_dwordx4 v[30:33], v[10:11], off nt
	v_lshl_add_u64 v[8:9], v[6:7], 0, v[94:95]
	v_lshl_add_u64 v[6:7], v[6:7], 0, v[96:97]
	v_min_u32_e32 v80, s33, v98
	global_load_dwordx4 v[26:29], v[8:9], off nt
	global_load_dwordx4 v[22:25], v[6:7], off nt
	v_lshl_add_u64 v[6:7], v[80:81], 1, s[20:21]
	v_lshl_add_u64 v[8:9], v[6:7], 0, v[90:91]
	;; [unrolled: 1-line block ×3, first 2 shown]
	global_load_dwordx4 v[18:21], v[8:9], off nt
	global_load_dwordx4 v[14:17], v[10:11], off nt
	v_lshl_add_u64 v[8:9], v[6:7], 0, v[94:95]
	v_lshl_add_u64 v[6:7], v[6:7], 0, v[96:97]
	global_load_dwordx4 v[10:13], v[8:9], off nt
	s_nop 0
	global_load_dwordx4 v[6:9], v[6:7], off nt
	s_mov_b32 s29, s28
	v_cmp_gt_u32_e32 vcc, s12, v100
	s_waitcnt vmcnt(26)
	v_mov_b64_e32 v[64:65], s[28:29]
	s_waitcnt vmcnt(23)
	v_mov_b32_e32 v61, 0
	s_waitcnt vmcnt(22)
	v_mov_b32_e32 v60, 0
	;; [unrolled: 2-line block ×3, first 2 shown]
	v_mov_b32_e32 v58, 0
	v_mov_b64_e32 v[62:63], s[28:29]
	v_mov_b64_e32 v[68:69], s[28:29]
	;; [unrolled: 1-line block ×11, first 2 shown]
	s_waitcnt vmcnt(10)
	v_mov_b64_e32 v[48:49], s[28:29]
	s_waitcnt vmcnt(8)
	v_mov_b64_e32 v[46:47], s[28:29]
	v_mov_b64_e32 v[52:53], s[28:29]
	;; [unrolled: 1-line block ×5, first 2 shown]
	s_and_saveexec_b64 s[4:5], vcc
	s_cbranch_execz .LBB156_17
; %bb.19:                               ;   in Loop: Header=BB156_18 Depth=2
	v_cmp_lt_u32_e32 vcc, s14, v100
                                        ; implicit-def: $vgpr56_vgpr57
	s_and_saveexec_b64 s[6:7], vcc
	s_xor_b64 s[6:7], exec, s[6:7]
	s_cbranch_execz .LBB156_21
; %bb.20:                               ;   in Loop: Header=BB156_18 Depth=2
	v_mov_b32_e32 v101, v81
	v_lshl_add_u64 v[38:39], v[100:101], 1, s[16:17]
	global_load_dwordx4 v[54:57], v[38:39], off
.LBB156_21:                             ;   in Loop: Header=BB156_18 Depth=2
	s_andn2_saveexec_b64 s[6:7], s[6:7]
	s_cbranch_execz .LBB156_23
; %bb.22:                               ;   in Loop: Header=BB156_18 Depth=2
	s_waitcnt vmcnt(0)
	ds_read_b128 v[54:57], v125
.LBB156_23:                             ;   in Loop: Header=BB156_18 Depth=2
	s_or_b64 exec, exec, s[6:7]
	v_add_u32_e32 v80, s30, v108
	v_cmp_lt_u32_e32 vcc, s14, v80
                                        ; implicit-def: $vgpr52_vgpr53
	s_and_saveexec_b64 s[6:7], vcc
	s_xor_b64 s[6:7], exec, s[6:7]
	s_cbranch_execz .LBB156_25
; %bb.24:                               ;   in Loop: Header=BB156_18 Depth=2
	v_lshl_add_u64 v[38:39], v[80:81], 1, s[16:17]
	global_load_dwordx4 v[50:53], v[38:39], off
.LBB156_25:                             ;   in Loop: Header=BB156_18 Depth=2
	s_andn2_saveexec_b64 s[6:7], s[6:7]
	s_cbranch_execz .LBB156_27
; %bb.26:                               ;   in Loop: Header=BB156_18 Depth=2
	v_add_u32_e32 v38, s11, v125
	s_waitcnt vmcnt(0)
	ds_read_b128 v[50:53], v38
.LBB156_27:                             ;   in Loop: Header=BB156_18 Depth=2
	s_or_b64 exec, exec, s[6:7]
	v_add_u32_e32 v104, s30, v107
	v_cmp_lt_u32_e32 vcc, s14, v104
                                        ; implicit-def: $vgpr48_vgpr49
	s_and_saveexec_b64 s[6:7], vcc
	s_xor_b64 s[6:7], exec, s[6:7]
	s_cbranch_execz .LBB156_29
; %bb.28:                               ;   in Loop: Header=BB156_18 Depth=2
	v_mov_b32_e32 v105, v81
	v_lshl_add_u64 v[38:39], v[104:105], 1, s[16:17]
	global_load_dwordx4 v[46:49], v[38:39], off
.LBB156_29:                             ;   in Loop: Header=BB156_18 Depth=2
	s_andn2_saveexec_b64 s[6:7], s[6:7]
	s_cbranch_execz .LBB156_31
; %bb.30:                               ;   in Loop: Header=BB156_18 Depth=2
	v_add_u32_e32 v38, s43, v125
	s_waitcnt vmcnt(0)
	ds_read2_b32 v[46:47], v38 offset1:1
	ds_read2_b32 v[48:49], v38 offset0:2 offset1:3
.LBB156_31:                             ;   in Loop: Header=BB156_18 Depth=2
	s_or_b64 exec, exec, s[6:7]
	v_add_u32_e32 v102, s30, v82
	v_cmp_lt_u32_e32 vcc, s14, v102
                                        ; implicit-def: $vgpr44_vgpr45
	s_and_saveexec_b64 s[6:7], vcc
	s_xor_b64 s[6:7], exec, s[6:7]
	s_cbranch_execz .LBB156_33
; %bb.32:                               ;   in Loop: Header=BB156_18 Depth=2
	v_mov_b32_e32 v103, v81
	v_lshl_add_u64 v[38:39], v[102:103], 1, s[16:17]
	global_load_dwordx4 v[42:45], v[38:39], off
.LBB156_33:                             ;   in Loop: Header=BB156_18 Depth=2
	s_andn2_saveexec_b64 s[6:7], s[6:7]
	s_cbranch_execz .LBB156_35
; %bb.34:                               ;   in Loop: Header=BB156_18 Depth=2
	v_add_u32_e32 v38, s44, v125
	s_waitcnt vmcnt(0)
	ds_read_b128 v[42:45], v38
.LBB156_35:                             ;   in Loop: Header=BB156_18 Depth=2
	s_or_b64 exec, exec, s[6:7]
	v_add_u32_e32 v100, s30, v83
	v_cmp_lt_u32_e32 vcc, s14, v100
                                        ; implicit-def: $vgpr40_vgpr41
	s_and_saveexec_b64 s[6:7], vcc
	s_xor_b64 s[6:7], exec, s[6:7]
	s_cbranch_execz .LBB156_37
; %bb.36:                               ;   in Loop: Header=BB156_18 Depth=2
	v_mov_b32_e32 v101, v81
	v_lshl_add_u64 v[38:39], v[100:101], 1, s[16:17]
	global_load_dwordx4 v[38:41], v[38:39], off
.LBB156_37:                             ;   in Loop: Header=BB156_18 Depth=2
	s_andn2_saveexec_b64 s[6:7], s[6:7]
	s_cbranch_execz .LBB156_39
; %bb.38:                               ;   in Loop: Header=BB156_18 Depth=2
	s_waitcnt vmcnt(0)
	v_add_u32_e32 v38, s45, v125
	ds_read2_b64 v[38:41], v38 offset1:1
.LBB156_39:                             ;   in Loop: Header=BB156_18 Depth=2
	s_or_b64 exec, exec, s[6:7]
	s_mov_b32 s29, s28
	v_cmp_gt_u32_e32 vcc, s12, v98
	v_mov_b32_e32 v61, 0
	v_mov_b64_e32 v[64:65], s[28:29]
	v_mov_b32_e32 v60, 0
	v_mov_b32_e32 v59, 0
	;; [unrolled: 1-line block ×3, first 2 shown]
	v_mov_b64_e32 v[62:63], s[28:29]
	v_mov_b64_e32 v[68:69], s[28:29]
	;; [unrolled: 1-line block ×7, first 2 shown]
	s_and_saveexec_b64 s[6:7], vcc
	s_cbranch_execz .LBB156_16
; %bb.40:                               ;   in Loop: Header=BB156_18 Depth=2
	v_cmp_lt_u32_e32 vcc, s14, v98
                                        ; implicit-def: $vgpr76_vgpr77
	s_and_saveexec_b64 s[8:9], vcc
	s_xor_b64 s[8:9], exec, s[8:9]
	s_cbranch_execz .LBB156_42
; %bb.41:                               ;   in Loop: Header=BB156_18 Depth=2
	v_mov_b32_e32 v99, v81
	v_lshl_add_u64 v[58:59], v[98:99], 1, s[16:17]
	global_load_dwordx4 v[74:77], v[58:59], off
.LBB156_42:                             ;   in Loop: Header=BB156_18 Depth=2
	s_andn2_saveexec_b64 s[8:9], s[8:9]
	s_cbranch_execz .LBB156_44
; %bb.43:                               ;   in Loop: Header=BB156_18 Depth=2
	s_waitcnt vmcnt(0)
	ds_read_b128 v[74:77], v125 offset:1024
.LBB156_44:                             ;   in Loop: Header=BB156_18 Depth=2
	s_or_b64 exec, exec, s[8:9]
	v_add_u32_e32 v80, 0x200, v80
	v_cmp_lt_u32_e32 vcc, s14, v80
                                        ; implicit-def: $vgpr72_vgpr73
	s_and_saveexec_b64 s[8:9], vcc
	s_xor_b64 s[8:9], exec, s[8:9]
	s_cbranch_execz .LBB156_46
; %bb.45:                               ;   in Loop: Header=BB156_18 Depth=2
	v_lshl_add_u64 v[58:59], v[80:81], 1, s[16:17]
	global_load_dwordx4 v[70:73], v[58:59], off
.LBB156_46:                             ;   in Loop: Header=BB156_18 Depth=2
	s_andn2_saveexec_b64 s[8:9], s[8:9]
	s_cbranch_execz .LBB156_48
; %bb.47:                               ;   in Loop: Header=BB156_18 Depth=2
	v_add_u32_e32 v58, s11, v125
	s_waitcnt vmcnt(0)
	ds_read_b128 v[70:73], v58 offset:1024
.LBB156_48:                             ;   in Loop: Header=BB156_18 Depth=2
	s_or_b64 exec, exec, s[8:9]
	v_add_u32_e32 v80, 0x200, v104
	v_cmp_lt_u32_e32 vcc, s14, v80
                                        ; implicit-def: $vgpr68_vgpr69
	s_and_saveexec_b64 s[8:9], vcc
	s_xor_b64 s[8:9], exec, s[8:9]
	s_cbranch_execz .LBB156_50
; %bb.49:                               ;   in Loop: Header=BB156_18 Depth=2
	v_lshl_add_u64 v[58:59], v[80:81], 1, s[16:17]
	global_load_dwordx4 v[66:69], v[58:59], off
.LBB156_50:                             ;   in Loop: Header=BB156_18 Depth=2
	s_andn2_saveexec_b64 s[8:9], s[8:9]
	s_cbranch_execz .LBB156_52
; %bb.51:                               ;   in Loop: Header=BB156_18 Depth=2
	v_add_u32_e32 v58, s43, v125
	v_add_u32_e32 v59, 0x400, v58
	;; [unrolled: 1-line block ×3, first 2 shown]
	s_waitcnt vmcnt(0)
	ds_read2_b32 v[66:67], v59 offset1:1
	ds_read2_b32 v[68:69], v58 offset1:1
.LBB156_52:                             ;   in Loop: Header=BB156_18 Depth=2
	s_or_b64 exec, exec, s[8:9]
	v_add_u32_e32 v80, 0x200, v102
	v_cmp_lt_u32_e32 vcc, s14, v80
                                        ; implicit-def: $vgpr64_vgpr65
	s_and_saveexec_b64 s[8:9], vcc
	s_xor_b64 s[8:9], exec, s[8:9]
	s_cbranch_execz .LBB156_54
; %bb.53:                               ;   in Loop: Header=BB156_18 Depth=2
	v_lshl_add_u64 v[58:59], v[80:81], 1, s[16:17]
	global_load_dwordx4 v[62:65], v[58:59], off
.LBB156_54:                             ;   in Loop: Header=BB156_18 Depth=2
	s_andn2_saveexec_b64 s[8:9], s[8:9]
	s_cbranch_execz .LBB156_56
; %bb.55:                               ;   in Loop: Header=BB156_18 Depth=2
	v_add_u32_e32 v58, s44, v125
	s_waitcnt vmcnt(0)
	ds_read_b128 v[62:65], v58 offset:1024
.LBB156_56:                             ;   in Loop: Header=BB156_18 Depth=2
	s_or_b64 exec, exec, s[8:9]
	v_add_u32_e32 v80, 0x200, v100
	v_cmp_lt_u32_e32 vcc, s14, v80
                                        ; implicit-def: $vgpr61
	s_and_saveexec_b64 s[8:9], vcc
	s_xor_b64 s[8:9], exec, s[8:9]
	s_cbranch_execz .LBB156_58
; %bb.57:                               ;   in Loop: Header=BB156_18 Depth=2
	v_lshl_add_u64 v[58:59], v[80:81], 1, s[16:17]
	global_load_dwordx4 v[58:61], v[58:59], off
.LBB156_58:                             ;   in Loop: Header=BB156_18 Depth=2
	s_andn2_saveexec_b64 s[8:9], s[8:9]
	s_cbranch_execz .LBB156_15
; %bb.59:                               ;   in Loop: Header=BB156_18 Depth=2
	s_waitcnt vmcnt(0)
	v_add_u32_e32 v58, s45, v125
	ds_read2_b64 v[58:61], v58 offset0:128 offset1:129
	s_branch .LBB156_15
.LBB156_60:                             ;   in Loop: Header=BB156_13 Depth=1
	v_cvt_i32_f32_e32 v6, v124
	v_cvt_i32_f32_e32 v7, v123
	;; [unrolled: 1-line block ×4, first 2 shown]
	v_cvt_f32_i32_dpp v6, v6 row_shr:8 row_mask:0xf bank_mask:0xf bound_ctrl:1
	v_cvt_f32_i32_dpp v7, v7 row_shr:8 row_mask:0xf bank_mask:0xf bound_ctrl:1
	v_cvt_f32_i32_dpp v8, v8 row_shr:8 row_mask:0xf bank_mask:0xf bound_ctrl:1
	v_cvt_f32_i32_dpp v9, v9 row_shr:8 row_mask:0xf bank_mask:0xf bound_ctrl:1
	v_add_f32_e32 v6, v124, v6
	v_cvt_i32_f32_e32 v10, v6
	v_add_f32_e32 v7, v123, v7
	v_cvt_i32_f32_e32 v11, v7
	v_add_f32_e32 v8, v122, v8
	v_cvt_f32_i32_dpp v10, v10 row_shr:4 row_mask:0xf bank_mask:0xf bound_ctrl:1
	v_cvt_i32_f32_e32 v12, v8
	v_cvt_f32_i32_dpp v11, v11 row_shr:4 row_mask:0xf bank_mask:0xf bound_ctrl:1
	v_add_f32_e32 v9, v121, v9
	v_add_f32_e32 v6, v6, v10
	v_cvt_i32_f32_e32 v10, v6
	v_add_f32_e32 v7, v7, v11
	v_cvt_i32_f32_e32 v11, v7
	v_cvt_f32_i32_dpp v12, v12 row_shr:4 row_mask:0xf bank_mask:0xf bound_ctrl:1
	v_cvt_f32_i32_dpp v10, v10 row_shr:2 row_mask:0xf bank_mask:0xf bound_ctrl:1
	v_cvt_i32_f32_e32 v13, v9
	v_cvt_f32_i32_dpp v11, v11 row_shr:2 row_mask:0xf bank_mask:0xf bound_ctrl:1
	v_add_f32_e32 v8, v8, v12
	v_add_f32_e32 v6, v6, v10
	v_cvt_i32_f32_e32 v10, v6
	v_add_f32_e32 v7, v7, v11
	v_cvt_i32_f32_e32 v11, v7
	v_cvt_i32_f32_e32 v12, v8
	v_cvt_f32_i32_dpp v10, v10 row_shr:1 row_mask:0xf bank_mask:0xf bound_ctrl:1
	v_cvt_f32_i32_dpp v13, v13 row_shr:4 row_mask:0xf bank_mask:0xf bound_ctrl:1
	;; [unrolled: 1-line block ×4, first 2 shown]
	v_add_f32_e32 v6, v6, v10
	v_cvt_i32_f32_e32 v10, v6
	v_add_f32_e32 v7, v7, v11
	v_cvt_i32_f32_e32 v11, v7
	v_add_f32_e32 v12, v8, v12
	v_cvt_f32_i32_dpp v10, v10 row_bcast:15 row_mask:0xf bank_mask:0xf bound_ctrl:1
	v_add_f32_e32 v9, v9, v13
	v_cvt_i32_f32_e32 v13, v12
	v_cvt_f32_i32_dpp v11, v11 row_bcast:15 row_mask:0xf bank_mask:0xf bound_ctrl:1
	v_add_f32_e32 v8, v6, v10
	v_cvt_i32_f32_e32 v10, v8
	v_cvt_f32_i32_dpp v13, v13 row_shr:1 row_mask:0xf bank_mask:0xf bound_ctrl:1
	v_add_f32_e32 v6, v7, v11
	v_cvt_i32_f32_e32 v7, v6
	v_mov_b32_dpp v11, v10 row_bcast:31 row_mask:0xf bank_mask:0xf bound_ctrl:1
	v_cvt_i32_f32_e32 v10, v9
	v_add_f32_e32 v12, v12, v13
	v_cvt_i32_f32_e32 v13, v120
	v_cvt_i32_f32_e32 v14, v12
	v_cvt_f32_i32_dpp v15, v10 row_shr:2 row_mask:0xf bank_mask:0xf bound_ctrl:1
	v_mov_b32_dpp v10, v7 row_bcast:31 row_mask:0xf bank_mask:0xf bound_ctrl:1
	v_cvt_f32_i32_dpp v7, v13 row_shr:8 row_mask:0xf bank_mask:0xf bound_ctrl:1
	v_cvt_f32_i32_dpp v13, v14 row_bcast:15 row_mask:0xf bank_mask:0xf bound_ctrl:1
	v_add_f32_e32 v9, v9, v15
	v_cvt_i32_f32_e32 v14, v9
	v_add_f32_e32 v15, v120, v7
	v_cvt_i32_f32_e32 v16, v15
	v_add_f32_e32 v7, v12, v13
	v_cvt_f32_i32_dpp v12, v14 row_shr:1 row_mask:0xf bank_mask:0xf bound_ctrl:1
	v_cvt_i32_f32_e32 v13, v119
	v_cvt_f32_i32_dpp v14, v16 row_shr:4 row_mask:0xf bank_mask:0xf bound_ctrl:1
	v_cvt_i32_f32_e32 v16, v7
	v_add_f32_e32 v9, v9, v12
	v_cvt_f32_i32_dpp v12, v13 row_shr:8 row_mask:0xf bank_mask:0xf bound_ctrl:1
	v_add_f32_e32 v14, v15, v14
	v_cvt_i32_f32_e32 v13, v14
	v_cvt_i32_f32_e32 v15, v9
	v_add_f32_e32 v12, v119, v12
	v_cvt_i32_f32_e32 v17, v12
	v_cvt_f32_i32_dpp v18, v13 row_shr:2 row_mask:0xf bank_mask:0xf bound_ctrl:1
	v_mov_b32_dpp v13, v16 row_bcast:31 row_mask:0xf bank_mask:0xf bound_ctrl:1
	v_cvt_f32_i32_dpp v15, v15 row_bcast:15 row_mask:0xf bank_mask:0xf bound_ctrl:1
	v_cvt_f32_i32_dpp v16, v17 row_shr:4 row_mask:0xf bank_mask:0xf bound_ctrl:1
	v_add_f32_e32 v14, v14, v18
	v_cvt_i32_f32_e32 v17, v14
	v_add_f32_e32 v9, v9, v15
	v_add_f32_e32 v12, v12, v16
	v_cvt_i32_f32_e32 v15, v12
	v_cvt_f32_i32_dpp v16, v17 row_shr:1 row_mask:0xf bank_mask:0xf bound_ctrl:1
	v_cvt_i32_f32_e32 v17, v118
	v_cvt_i32_f32_e32 v18, v9
	v_cvt_f32_i32_dpp v15, v15 row_shr:2 row_mask:0xf bank_mask:0xf bound_ctrl:1
	v_add_f32_e32 v14, v14, v16
	v_cvt_f32_i32_dpp v16, v17 row_shr:8 row_mask:0xf bank_mask:0xf bound_ctrl:1
	v_cvt_i32_f32_e32 v17, v14
	v_add_f32_e32 v15, v12, v15
	v_cvt_i32_f32_e32 v12, v15
	v_add_f32_e32 v19, v118, v16
	v_cvt_i32_f32_e32 v20, v19
	v_cvt_f32_i32_dpp v17, v17 row_bcast:15 row_mask:0xf bank_mask:0xf bound_ctrl:1
	v_cvt_f32_i32_dpp v21, v12 row_shr:1 row_mask:0xf bank_mask:0xf bound_ctrl:1
	v_mov_b32_dpp v16, v18 row_bcast:31 row_mask:0xf bank_mask:0xf bound_ctrl:1
	v_cvt_f32_i32_dpp v18, v20 row_shr:4 row_mask:0xf bank_mask:0xf bound_ctrl:1
	v_add_f32_e32 v12, v14, v17
	v_add_f32_e32 v14, v15, v21
	v_cvt_i32_f32_e32 v15, v117
	v_add_f32_e32 v17, v19, v18
	v_cvt_i32_f32_e32 v18, v17
	v_cvt_i32_f32_e32 v19, v14
	v_cvt_f32_i32_dpp v15, v15 row_shr:8 row_mask:0xf bank_mask:0xf bound_ctrl:1
	v_cvt_i32_f32_e32 v20, v12
	v_cvt_f32_i32_dpp v18, v18 row_shr:2 row_mask:0xf bank_mask:0xf bound_ctrl:1
	v_cvt_f32_i32_dpp v19, v19 row_bcast:15 row_mask:0xf bank_mask:0xf bound_ctrl:1
	v_add_f32_e32 v15, v117, v15
	v_cvt_i32_f32_e32 v21, v15
	v_add_f32_e32 v18, v17, v18
	v_mov_b32_dpp v17, v20 row_bcast:31 row_mask:0xf bank_mask:0xf bound_ctrl:1
	v_cvt_i32_f32_e32 v22, v18
	v_cvt_f32_i32_dpp v20, v21 row_shr:4 row_mask:0xf bank_mask:0xf bound_ctrl:1
	v_add_f32_e32 v14, v14, v19
	v_cvt_i32_f32_e32 v21, v14
	v_cvt_f32_i32_dpp v19, v22 row_shr:1 row_mask:0xf bank_mask:0xf bound_ctrl:1
	v_add_f32_e32 v15, v15, v20
	v_cvt_i32_f32_e32 v20, v15
	v_cvt_i32_f32_e32 v22, v116
	v_add_f32_e32 v18, v18, v19
	v_mov_b32_dpp v19, v21 row_bcast:31 row_mask:0xf bank_mask:0xf bound_ctrl:1
	v_cvt_f32_i32_dpp v20, v20 row_shr:2 row_mask:0xf bank_mask:0xf bound_ctrl:1
	v_cvt_f32_i32_dpp v21, v22 row_shr:8 row_mask:0xf bank_mask:0xf bound_ctrl:1
	v_cvt_i32_f32_e32 v23, v18
	v_add_f32_e32 v20, v15, v20
	v_add_f32_e32 v21, v116, v21
	v_cvt_f32_i32_dpp v22, v23 row_bcast:15 row_mask:0xf bank_mask:0xf bound_ctrl:1
	v_cvt_i32_f32_e32 v23, v20
	v_cvt_i32_f32_e32 v24, v21
	v_add_f32_e32 v15, v18, v22
	v_cvt_f32_i32_dpp v18, v23 row_shr:1 row_mask:0xf bank_mask:0xf bound_ctrl:1
	v_cvt_i32_f32_e32 v22, v115
	v_cvt_f32_i32_dpp v23, v24 row_shr:4 row_mask:0xf bank_mask:0xf bound_ctrl:1
	v_cvt_i32_f32_e32 v24, v15
	v_add_f32_e32 v18, v20, v18
	v_cvt_f32_i32_dpp v20, v22 row_shr:8 row_mask:0xf bank_mask:0xf bound_ctrl:1
	v_add_f32_e32 v22, v21, v23
	v_cvt_i32_f32_e32 v21, v22
	v_cvt_i32_f32_e32 v23, v18
	v_add_f32_e32 v20, v115, v20
	v_cvt_i32_f32_e32 v25, v20
	v_cvt_f32_i32_dpp v26, v21 row_shr:2 row_mask:0xf bank_mask:0xf bound_ctrl:1
	v_mov_b32_dpp v21, v24 row_bcast:31 row_mask:0xf bank_mask:0xf bound_ctrl:1
	v_cvt_f32_i32_dpp v23, v23 row_bcast:15 row_mask:0xf bank_mask:0xf bound_ctrl:1
	v_cvt_f32_i32_dpp v24, v25 row_shr:4 row_mask:0xf bank_mask:0xf bound_ctrl:1
	v_add_f32_e32 v22, v22, v26
	v_cvt_i32_f32_e32 v25, v22
	v_add_f32_e32 v18, v18, v23
	v_add_f32_e32 v20, v20, v24
	v_cvt_i32_f32_e32 v23, v20
	v_cvt_f32_i32_dpp v24, v25 row_shr:1 row_mask:0xf bank_mask:0xf bound_ctrl:1
	v_cvt_i32_f32_e32 v25, v114
	v_cvt_i32_f32_e32 v26, v18
	v_cvt_f32_i32_dpp v23, v23 row_shr:2 row_mask:0xf bank_mask:0xf bound_ctrl:1
	v_add_f32_e32 v22, v22, v24
	v_cvt_f32_i32_dpp v24, v25 row_shr:8 row_mask:0xf bank_mask:0xf bound_ctrl:1
	v_cvt_i32_f32_e32 v25, v22
	v_add_f32_e32 v27, v20, v23
	v_cvt_i32_f32_e32 v20, v27
	v_add_f32_e32 v24, v114, v24
	v_cvt_i32_f32_e32 v28, v24
	v_cvt_f32_i32_dpp v25, v25 row_bcast:15 row_mask:0xf bank_mask:0xf bound_ctrl:1
	v_mov_b32_dpp v23, v26 row_bcast:31 row_mask:0xf bank_mask:0xf bound_ctrl:1
	v_cvt_f32_i32_dpp v29, v20 row_shr:1 row_mask:0xf bank_mask:0xf bound_ctrl:1
	v_cvt_f32_i32_dpp v26, v28 row_shr:4 row_mask:0xf bank_mask:0xf bound_ctrl:1
	v_add_f32_e32 v20, v22, v25
	v_cvt_i32_f32_e32 v25, v113
	v_add_f32_e32 v22, v27, v29
	v_add_f32_e32 v24, v24, v26
	v_cvt_i32_f32_e32 v26, v24
	v_cvt_f32_i32_dpp v25, v25 row_shr:8 row_mask:0xf bank_mask:0xf bound_ctrl:1
	v_cvt_i32_f32_e32 v27, v22
	v_cvt_i32_f32_e32 v28, v20
	v_cvt_f32_i32_dpp v26, v26 row_shr:2 row_mask:0xf bank_mask:0xf bound_ctrl:1
	v_add_f32_e32 v25, v113, v25
	v_cvt_i32_f32_e32 v29, v25
	v_cvt_f32_i32_dpp v27, v27 row_bcast:15 row_mask:0xf bank_mask:0xf bound_ctrl:1
	v_add_f32_e32 v24, v24, v26
	v_cvt_i32_f32_e32 v30, v24
	v_mov_b32_dpp v26, v28 row_bcast:31 row_mask:0xf bank_mask:0xf bound_ctrl:1
	v_cvt_f32_i32_dpp v28, v29 row_shr:4 row_mask:0xf bank_mask:0xf bound_ctrl:1
	v_cvt_i32_f32_e32 v29, v112
	v_add_f32_e32 v22, v22, v27
	v_cvt_f32_i32_dpp v27, v30 row_shr:1 row_mask:0xf bank_mask:0xf bound_ctrl:1
	v_add_f32_e32 v25, v25, v28
	v_cvt_f32_i32_dpp v29, v29 row_shr:8 row_mask:0xf bank_mask:0xf bound_ctrl:1
	v_cvt_i32_f32_e32 v28, v25
	v_add_f32_e32 v24, v24, v27
	v_cvt_i32_f32_e32 v30, v22
	v_add_f32_e32 v29, v112, v29
	v_cvt_f32_i32_dpp v27, v28 row_shr:2 row_mask:0xf bank_mask:0xf bound_ctrl:1
	v_cvt_i32_f32_e32 v28, v24
	v_cvt_i32_f32_e32 v31, v29
	v_add_f32_e32 v25, v25, v27
	v_cvt_f32_i32_dpp v28, v28 row_bcast:15 row_mask:0xf bank_mask:0xf bound_ctrl:1
	v_cvt_f32_i32_dpp v31, v31 row_shr:4 row_mask:0xf bank_mask:0xf bound_ctrl:1
	v_cvt_i32_f32_e32 v32, v25
	v_mov_b32_dpp v27, v30 row_bcast:31 row_mask:0xf bank_mask:0xf bound_ctrl:1
	v_add_f32_e32 v24, v24, v28
	v_add_f32_e32 v28, v29, v31
	v_cvt_f32_i32_dpp v30, v32 row_shr:1 row_mask:0xf bank_mask:0xf bound_ctrl:1
	v_cvt_i32_f32_e32 v29, v28
	v_cvt_i32_f32_e32 v32, v24
	v_add_f32_e32 v25, v25, v30
	v_cvt_i32_f32_e32 v30, v111
	v_cvt_f32_i32_dpp v29, v29 row_shr:2 row_mask:0xf bank_mask:0xf bound_ctrl:1
	v_cvt_i32_f32_e32 v31, v25
	v_cvt_f32_i32_dpp v30, v30 row_shr:8 row_mask:0xf bank_mask:0xf bound_ctrl:1
	v_add_f32_e32 v29, v28, v29
	v_cvt_i32_f32_e32 v33, v29
	v_cvt_f32_i32_dpp v31, v31 row_bcast:15 row_mask:0xf bank_mask:0xf bound_ctrl:1
	v_add_f32_e32 v30, v111, v30
	v_cvt_i32_f32_e32 v34, v30
	v_mov_b32_dpp v28, v32 row_bcast:31 row_mask:0xf bank_mask:0xf bound_ctrl:1
	v_cvt_f32_i32_dpp v32, v33 row_shr:1 row_mask:0xf bank_mask:0xf bound_ctrl:1
	v_add_f32_e32 v25, v25, v31
	v_cvt_f32_i32_dpp v31, v34 row_shr:4 row_mask:0xf bank_mask:0xf bound_ctrl:1
	v_cvt_i32_f32_e32 v33, v25
	v_add_f32_e32 v29, v29, v32
	v_cvt_i32_f32_e32 v32, v110
	v_add_f32_e32 v31, v30, v31
	v_cvt_i32_f32_e32 v34, v31
	v_cvt_i32_f32_e32 v35, v29
	v_cvt_f32_i32_dpp v32, v32 row_shr:8 row_mask:0xf bank_mask:0xf bound_ctrl:1
	v_mov_b32_dpp v30, v33 row_bcast:31 row_mask:0xf bank_mask:0xf bound_ctrl:1
	v_cvt_f32_i32_dpp v33, v34 row_shr:2 row_mask:0xf bank_mask:0xf bound_ctrl:1
	v_cvt_f32_i32_dpp v34, v35 row_bcast:15 row_mask:0xf bank_mask:0xf bound_ctrl:1
	v_add_f32_e32 v32, v110, v32
	v_cvt_i32_f32_e32 v35, v32
	v_add_f32_e32 v31, v31, v33
	v_cvt_i32_f32_e32 v33, v109
	v_cvt_i32_f32_e32 v36, v31
	v_cvt_f32_i32_dpp v35, v35 row_shr:4 row_mask:0xf bank_mask:0xf bound_ctrl:1
	v_add_f32_e32 v29, v29, v34
	v_cvt_f32_i32_dpp v33, v33 row_shr:8 row_mask:0xf bank_mask:0xf bound_ctrl:1
	v_cvt_f32_i32_dpp v34, v36 row_shr:1 row_mask:0xf bank_mask:0xf bound_ctrl:1
	v_add_f32_e32 v32, v32, v35
	v_cvt_i32_f32_e32 v35, v32
	v_add_f32_e32 v33, v109, v33
	v_cvt_i32_f32_e32 v36, v33
	v_add_f32_e32 v31, v31, v34
	v_cvt_f32_i32_dpp v35, v35 row_shr:2 row_mask:0xf bank_mask:0xf bound_ctrl:1
	v_cvt_i32_f32_e32 v37, v29
	v_cvt_f32_i32_dpp v34, v36 row_shr:4 row_mask:0xf bank_mask:0xf bound_ctrl:1
	v_cvt_i32_f32_e32 v36, v31
	v_add_f32_e32 v32, v32, v35
	v_cvt_i32_f32_e32 v35, v32
	v_add_f32_e32 v33, v33, v34
	v_cvt_i32_f32_e32 v34, v33
	v_cvt_f32_i32_dpp v38, v36 row_bcast:15 row_mask:0xf bank_mask:0xf bound_ctrl:1
	v_cvt_f32_i32_dpp v35, v35 row_shr:1 row_mask:0xf bank_mask:0xf bound_ctrl:1
	v_mov_b32_dpp v36, v37 row_bcast:31 row_mask:0xf bank_mask:0xf bound_ctrl:1
	v_cvt_f32_i32_dpp v34, v34 row_shr:2 row_mask:0xf bank_mask:0xf bound_ctrl:1
	v_add_f32_e32 v31, v31, v38
	v_add_f32_e32 v32, v32, v35
	v_cvt_i32_f32_e32 v35, v89
	v_add_f32_e32 v33, v33, v34
	v_cvt_i32_f32_e32 v34, v33
	v_cvt_i32_f32_e32 v37, v32
	v_cvt_f32_i32_dpp v35, v35 row_shr:8 row_mask:0xf bank_mask:0xf bound_ctrl:1
	v_cvt_i32_f32_e32 v38, v31
	v_cvt_f32_i32_dpp v34, v34 row_shr:1 row_mask:0xf bank_mask:0xf bound_ctrl:1
	v_cvt_f32_i32_dpp v37, v37 row_bcast:15 row_mask:0xf bank_mask:0xf bound_ctrl:1
	v_add_f32_e32 v35, v89, v35
	v_cvt_i32_f32_e32 v39, v35
	v_add_f32_e32 v33, v33, v34
	v_cvt_i32_f32_e32 v34, v33
	v_add_f32_e32 v32, v32, v37
	v_cvt_f32_i32_dpp v39, v39 row_shr:4 row_mask:0xf bank_mask:0xf bound_ctrl:1
	v_cvt_i32_f32_e32 v37, v87
	v_cvt_f32_i32_dpp v34, v34 row_bcast:15 row_mask:0xf bank_mask:0xf bound_ctrl:1
	v_cvt_i32_f32_e32 v40, v32
	v_add_f32_e32 v35, v35, v39
	v_cvt_i32_f32_e32 v39, v35
	v_cvt_f32_i32_dpp v37, v37 row_shr:8 row_mask:0xf bank_mask:0xf bound_ctrl:1
	v_add_f32_e32 v33, v33, v34
	v_mov_b32_dpp v38, v38 row_bcast:31 row_mask:0xf bank_mask:0xf bound_ctrl:1
	v_cvt_f32_i32_dpp v34, v39 row_shr:2 row_mask:0xf bank_mask:0xf bound_ctrl:1
	v_add_f32_e32 v37, v87, v37
	v_cvt_i32_f32_e32 v41, v37
	v_cvt_i32_f32_e32 v39, v33
	v_add_f32_e32 v34, v35, v34
	v_cvt_i32_f32_e32 v42, v34
	v_cvt_f32_i32_dpp v41, v41 row_shr:4 row_mask:0xf bank_mask:0xf bound_ctrl:1
	v_mov_b32_dpp v35, v39 row_bcast:31 row_mask:0xf bank_mask:0xf bound_ctrl:1
	v_mov_b32_dpp v40, v40 row_bcast:31 row_mask:0xf bank_mask:0xf bound_ctrl:1
	v_cvt_f32_i32_dpp v39, v42 row_shr:1 row_mask:0xf bank_mask:0xf bound_ctrl:1
	v_cvt_i32_f32_e32 v42, v85
	v_add_f32_e32 v37, v37, v41
	v_cvt_i32_f32_e32 v41, v79
	v_add_f32_e32 v34, v34, v39
	v_cvt_f32_i32_dpp v42, v42 row_shr:8 row_mask:0xf bank_mask:0xf bound_ctrl:1
	v_cvt_i32_f32_e32 v43, v37
	v_cvt_f32_i32_dpp v39, v41 row_shr:8 row_mask:0xf bank_mask:0xf bound_ctrl:1
	v_cvt_i32_f32_e32 v45, v34
	v_add_f32_e32 v42, v85, v42
	v_cvt_f32_i32_dpp v41, v43 row_shr:2 row_mask:0xf bank_mask:0xf bound_ctrl:1
	v_add_f32_e32 v39, v79, v39
	v_cvt_i32_f32_e32 v43, v42
	v_cvt_i32_f32_e32 v44, v39
	v_add_f32_e32 v37, v37, v41
	v_cvt_f32_i32_dpp v45, v45 row_bcast:15 row_mask:0xf bank_mask:0xf bound_ctrl:1
	v_cvt_f32_i32_dpp v43, v43 row_shr:4 row_mask:0xf bank_mask:0xf bound_ctrl:1
	v_cvt_f32_i32_dpp v41, v44 row_shr:4 row_mask:0xf bank_mask:0xf bound_ctrl:1
	v_cvt_i32_f32_e32 v44, v37
	v_add_f32_e32 v42, v42, v43
	v_add_f32_e32 v39, v39, v41
	v_cvt_i32_f32_e32 v43, v42
	v_cvt_i32_f32_e32 v41, v39
	v_cvt_f32_i32_dpp v44, v44 row_shr:1 row_mask:0xf bank_mask:0xf bound_ctrl:1
	v_cvt_f32_i32_dpp v43, v43 row_shr:2 row_mask:0xf bank_mask:0xf bound_ctrl:1
	;; [unrolled: 1-line block ×3, first 2 shown]
	v_add_f32_e32 v37, v37, v44
	v_cvt_i32_f32_e32 v44, v37
	v_add_f32_e32 v42, v42, v43
	v_add_f32_e32 v39, v39, v41
	v_cvt_i32_f32_e32 v43, v42
	v_cvt_i32_f32_e32 v41, v39
	s_waitcnt vmcnt(0)
	v_cvt_f32_i32_dpp v46, v43 row_shr:1 row_mask:0xf bank_mask:0xf bound_ctrl:1
	v_add_f32_e32 v43, v34, v45
	v_cvt_f32_i32_dpp v34, v41 row_shr:1 row_mask:0xf bank_mask:0xf bound_ctrl:1
	v_cvt_f32_i32_dpp v41, v44 row_bcast:15 row_mask:0xf bank_mask:0xf bound_ctrl:1
	v_add_f32_e32 v44, v42, v46
	v_cvt_i32_f32_e32 v42, v44
	v_add_f32_e32 v34, v39, v34
	v_cvt_i32_f32_e32 v39, v34
	v_cvt_i32_f32_e32 v45, v43
	v_cvt_f32_i32_dpp v46, v42 row_bcast:15 row_mask:0xf bank_mask:0xf bound_ctrl:1
	v_add_f32_e32 v42, v37, v41
	v_cvt_f32_i32_dpp v37, v39 row_bcast:15 row_mask:0xf bank_mask:0xf bound_ctrl:1
	v_cvt_i32_f32_e32 v41, v42
	v_add_f32_e32 v39, v44, v46
	v_cvt_i32_f32_e32 v46, v39
	v_add_f32_e32 v34, v34, v37
	v_cvt_i32_f32_e32 v37, v34
	v_mov_b32_dpp v45, v45 row_bcast:31 row_mask:0xf bank_mask:0xf bound_ctrl:1
	v_mov_b32_dpp v44, v41 row_bcast:31 row_mask:0xf bank_mask:0xf bound_ctrl:1
	;; [unrolled: 1-line block ×4, first 2 shown]
	s_and_saveexec_b64 s[30:31], s[0:1]
	s_cbranch_execz .LBB156_84
; %bb.61:                               ;   in Loop: Header=BB156_13 Depth=1
	s_andn2_b64 vcc, exec, s[26:27]
	v_mov_b32_e32 v65, 0
	v_mov_b32_e32 v64, 0
	;; [unrolled: 1-line block ×20, first 2 shown]
	s_cbranch_vccnz .LBB156_63
; %bb.62:                               ;   in Loop: Header=BB156_13 Depth=1
	v_mul_hi_u32 v46, v78, v1
	v_mul_lo_u32 v46, v46, s10
	v_sub_u32_e32 v46, v78, v46
	v_subrev_u32_e32 v47, s10, v46
	v_cmp_le_u32_e32 vcc, s10, v46
	v_mul_hi_u32 v48, v88, v1
	v_mul_lo_u32 v48, v48, s10
	v_cndmask_b32_e32 v46, v46, v47, vcc
	v_subrev_u32_e32 v47, s10, v46
	v_cmp_le_u32_e32 vcc, s10, v46
	v_sub_u32_e32 v48, v88, v48
	v_subrev_u32_e32 v49, s10, v48
	v_cndmask_b32_e32 v80, v46, v47, vcc
	v_cmp_le_u32_e32 vcc, s10, v48
	v_mov_b32_e32 v69, v81
	v_add_u32_e32 v56, s39, v80
	v_cndmask_b32_e32 v48, v48, v49, vcc
	v_subrev_u32_e32 v49, s10, v48
	v_cmp_le_u32_e32 vcc, s10, v48
	v_mov_b32_e32 v57, v81
	v_mov_b32_e32 v59, v81
	v_cndmask_b32_e32 v48, v48, v49, vcc
	v_mov_b32_e32 v49, v81
	v_lshl_add_u64 v[50:51], v[48:49], 1, s[18:19]
	v_mul_hi_u32 v49, v86, v1
	v_mul_lo_u32 v49, v49, s10
	v_sub_u32_e32 v49, v86, v49
	v_subrev_u32_e32 v52, s10, v49
	v_cmp_le_u32_e32 vcc, s10, v49
	v_add_u32_e32 v58, s39, v48
	v_mov_b32_e32 v61, v81
	v_cndmask_b32_e32 v49, v49, v52, vcc
	v_subrev_u32_e32 v52, s10, v49
	v_cmp_le_u32_e32 vcc, s10, v49
	v_lshl_add_u64 v[46:47], v[80:81], 1, s[18:19]
	v_mov_b32_e32 v67, v81
	v_cndmask_b32_e32 v66, v49, v52, vcc
	v_mul_hi_u32 v49, v84, v1
	v_mul_lo_u32 v49, v49, s10
	v_sub_u32_e32 v49, v84, v49
	v_subrev_u32_e32 v54, s10, v49
	v_cmp_le_u32_e32 vcc, s10, v49
	v_add_u32_e32 v60, s39, v66
	v_lshl_add_u64 v[56:57], v[56:57], 1, s[18:19]
	v_cndmask_b32_e32 v49, v49, v54, vcc
	v_subrev_u32_e32 v54, s10, v49
	v_cmp_le_u32_e32 vcc, s10, v49
	v_lshl_add_u64 v[58:59], v[58:59], 1, s[18:19]
	v_lshl_add_u64 v[70:71], v[60:61], 1, s[18:19]
	v_cndmask_b32_e32 v68, v49, v54, vcc
	v_lshl_add_u64 v[54:55], v[68:69], 1, s[18:19]
	v_add_u32_e32 v60, s39, v68
	v_lshl_add_u64 v[52:53], v[66:67], 1, s[18:19]
	v_lshl_add_u64 v[72:73], v[60:61], 1, s[18:19]
	global_load_ushort v65, v[46:47], off
	global_load_ushort v64, v[50:51], off
	;; [unrolled: 1-line block ×6, first 2 shown]
	s_nop 0
	global_load_ushort v58, v[70:71], off
	global_load_ushort v56, v[72:73], off
	v_add_u32_e32 v54, s40, v68
	v_mov_b32_e32 v55, v81
	v_lshl_add_u64 v[70:71], v[54:55], 1, s[18:19]
	v_add_u32_e32 v54, s41, v80
	v_lshl_add_u64 v[72:73], v[54:55], 1, s[18:19]
	v_add_u32_e32 v54, s41, v48
	v_add_u32_e32 v46, s40, v80
	v_mov_b32_e32 v47, v81
	v_add_u32_e32 v50, s40, v48
	v_mov_b32_e32 v51, v81
	;; [unrolled: 2-line block ×3, first 2 shown]
	v_lshl_add_u64 v[74:75], v[54:55], 1, s[18:19]
	v_add_u32_e32 v54, s41, v66
	v_lshl_add_u64 v[46:47], v[46:47], 1, s[18:19]
	v_lshl_add_u64 v[50:51], v[50:51], 1, s[18:19]
	;; [unrolled: 1-line block ×4, first 2 shown]
	v_add_u32_e32 v54, s41, v68
	v_lshl_add_u64 v[90:91], v[54:55], 1, s[18:19]
	global_load_ushort v59, v[46:47], off
	global_load_ushort v57, v[50:51], off
	;; [unrolled: 1-line block ×4, first 2 shown]
	s_nop 0
	global_load_ushort v53, v[72:73], off
	global_load_ushort v52, v[74:75], off
	;; [unrolled: 1-line block ×4, first 2 shown]
	v_add_u32_e32 v80, s42, v80
	v_lshl_add_u64 v[46:47], v[80:81], 1, s[18:19]
	v_add_u32_e32 v80, s42, v48
	v_lshl_add_u64 v[70:71], v[80:81], 1, s[18:19]
	;; [unrolled: 2-line block ×4, first 2 shown]
	global_load_ushort v50, v[46:47], off
	global_load_ushort v48, v[70:71], off
	s_nop 0
	global_load_ushort v47, v[66:67], off
	global_load_ushort v46, v[68:69], off
.LBB156_63:                             ;   in Loop: Header=BB156_13 Depth=1
	v_cmp_ne_u32_e32 vcc, 0, v2
	s_and_saveexec_b64 s[4:5], vcc
	s_cbranch_execnz .LBB156_89
; %bb.64:                               ;   in Loop: Header=BB156_13 Depth=1
	s_or_b64 exec, exec, s[4:5]
	v_cmp_ne_u32_e64 s[4:5], 0, v3
	s_and_saveexec_b64 s[6:7], s[4:5]
	s_cbranch_execnz .LBB156_90
.LBB156_65:                             ;   in Loop: Header=BB156_13 Depth=1
	s_or_b64 exec, exec, s[6:7]
	v_cmp_ne_u32_e64 s[6:7], 0, v4
	s_and_saveexec_b64 s[8:9], s[6:7]
	s_cbranch_execnz .LBB156_91
.LBB156_66:                             ;   in Loop: Header=BB156_13 Depth=1
	s_or_b64 exec, exec, s[8:9]
	v_cmp_ne_u32_e64 s[8:9], 0, v5
	s_and_saveexec_b64 s[34:35], s[8:9]
	s_cbranch_execnz .LBB156_92
.LBB156_67:                             ;   in Loop: Header=BB156_13 Depth=1
	s_or_b64 exec, exec, s[34:35]
	v_add_u32_e32 v80, s15, v78
	s_and_saveexec_b64 s[34:35], vcc
	s_cbranch_execnz .LBB156_93
.LBB156_68:                             ;   in Loop: Header=BB156_13 Depth=1
	s_or_b64 exec, exec, s[34:35]
	s_and_saveexec_b64 s[34:35], s[4:5]
	s_cbranch_execnz .LBB156_94
.LBB156_69:                             ;   in Loop: Header=BB156_13 Depth=1
	s_or_b64 exec, exec, s[34:35]
	s_and_saveexec_b64 s[34:35], s[6:7]
	s_cbranch_execnz .LBB156_95
.LBB156_70:                             ;   in Loop: Header=BB156_13 Depth=1
	s_or_b64 exec, exec, s[34:35]
	s_and_saveexec_b64 s[34:35], s[8:9]
	s_cbranch_execnz .LBB156_96
.LBB156_71:                             ;   in Loop: Header=BB156_13 Depth=1
	s_or_b64 exec, exec, s[34:35]
	v_add_u32_e32 v80, s15, v80
	s_and_saveexec_b64 s[34:35], vcc
	s_cbranch_execnz .LBB156_97
.LBB156_72:                             ;   in Loop: Header=BB156_13 Depth=1
	s_or_b64 exec, exec, s[34:35]
	s_and_saveexec_b64 s[34:35], s[4:5]
	s_cbranch_execnz .LBB156_98
.LBB156_73:                             ;   in Loop: Header=BB156_13 Depth=1
	s_or_b64 exec, exec, s[34:35]
	s_and_saveexec_b64 s[34:35], s[6:7]
	s_cbranch_execnz .LBB156_99
.LBB156_74:                             ;   in Loop: Header=BB156_13 Depth=1
	s_or_b64 exec, exec, s[34:35]
	s_and_saveexec_b64 s[34:35], s[8:9]
	s_cbranch_execnz .LBB156_100
.LBB156_75:                             ;   in Loop: Header=BB156_13 Depth=1
	s_or_b64 exec, exec, s[34:35]
	v_add_u32_e32 v80, s15, v80
	s_and_saveexec_b64 s[34:35], vcc
	s_cbranch_execnz .LBB156_101
.LBB156_76:                             ;   in Loop: Header=BB156_13 Depth=1
	s_or_b64 exec, exec, s[34:35]
	s_and_saveexec_b64 s[34:35], s[4:5]
	s_cbranch_execnz .LBB156_102
.LBB156_77:                             ;   in Loop: Header=BB156_13 Depth=1
	s_or_b64 exec, exec, s[34:35]
	s_and_saveexec_b64 s[34:35], s[6:7]
	s_cbranch_execnz .LBB156_103
.LBB156_78:                             ;   in Loop: Header=BB156_13 Depth=1
	s_or_b64 exec, exec, s[34:35]
	s_and_saveexec_b64 s[34:35], s[8:9]
	s_cbranch_execnz .LBB156_104
.LBB156_79:                             ;   in Loop: Header=BB156_13 Depth=1
	s_or_b64 exec, exec, s[34:35]
	v_add_u32_e32 v80, s15, v80
	s_and_saveexec_b64 s[34:35], vcc
	s_cbranch_execnz .LBB156_105
.LBB156_80:                             ;   in Loop: Header=BB156_13 Depth=1
	s_or_b64 exec, exec, s[34:35]
	s_and_saveexec_b64 s[34:35], s[4:5]
	s_cbranch_execnz .LBB156_106
.LBB156_81:                             ;   in Loop: Header=BB156_13 Depth=1
	s_or_b64 exec, exec, s[34:35]
	s_and_saveexec_b64 s[4:5], s[6:7]
	s_cbranch_execnz .LBB156_107
.LBB156_82:                             ;   in Loop: Header=BB156_13 Depth=1
	s_or_b64 exec, exec, s[4:5]
	s_and_b64 exec, exec, s[8:9]
	s_cbranch_execz .LBB156_84
.LBB156_83:                             ;   in Loop: Header=BB156_13 Depth=1
	v_cvt_f32_i32_e32 v6, v37
	s_waitcnt vmcnt(0)
	v_cvt_f32_f16_e32 v7, v46
	v_add_u32_e32 v80, 3, v80
	v_add_f32_e32 v6, v34, v6
	v_add_f32_e32 v6, v6, v7
	v_cvt_f16_f32_e32 v8, v6
	s_waitcnt lgkmcnt(0)
	v_lshl_add_u64 v[6:7], v[80:81], 1, s[22:23]
	global_store_short v[6:7], v8, off
.LBB156_84:                             ;   in Loop: Header=BB156_13 Depth=1
	s_or_b64 exec, exec, s[30:31]
	v_add_u32_e32 v78, s37, v78
	v_add_u32_e32 v6, 4, v78
	v_cmp_gt_u32_e32 vcc, s15, v78
	v_cmp_le_u32_e64 s[4:5], s15, v6
	s_and_b64 s[4:5], vcc, s[4:5]
	s_and_saveexec_b64 s[6:7], s[4:5]
	s_cbranch_execz .LBB156_12
; %bb.85:                               ;   in Loop: Header=BB156_13 Depth=1
	v_cmp_ne_u32_e32 vcc, s38, v78
	s_and_saveexec_b64 s[8:9], vcc
	s_cbranch_execz .LBB156_11
; %bb.86:                               ;   in Loop: Header=BB156_13 Depth=1
	v_subrev_u32_e32 v6, s38, v78
	v_cmp_lt_u32_e32 vcc, 1, v6
	s_mov_b64 s[30:31], 0
	s_mov_b64 s[34:35], 0
	v_cndmask_b32_e32 v6, 1, v6, vcc
.LBB156_87:                             ;   Parent Loop BB156_13 Depth=1
                                        ; =>  This Inner Loop Header: Depth=2
	s_cmp_lg_u32 s34, 3
	s_cselect_b64 vcc, -1, 0
	s_cmp_lg_u32 s34, 2
	v_cndmask_b32_e32 v5, 0, v5, vcc
	s_cselect_b64 vcc, -1, 0
	s_cmp_lg_u32 s34, 1
	v_cndmask_b32_e32 v4, 0, v4, vcc
	s_cselect_b64 vcc, -1, 0
	s_cmp_lg_u32 s34, 0
	v_cndmask_b32_e32 v3, 0, v3, vcc
	s_cselect_b64 vcc, -1, 0
	s_add_u32 s34, s34, 1
	s_addc_u32 s35, s35, 0
	v_cmp_eq_u32_e64 s[4:5], s34, v6
	s_or_b64 s[30:31], s[4:5], s[30:31]
	v_cndmask_b32_e32 v2, 0, v2, vcc
	s_andn2_b64 exec, exec, s[30:31]
	s_cbranch_execnz .LBB156_87
; %bb.88:                               ;   in Loop: Header=BB156_13 Depth=1
	s_or_b64 exec, exec, s[30:31]
	s_branch .LBB156_11
.LBB156_89:                             ;   in Loop: Header=BB156_13 Depth=1
	v_cvt_f32_i32_e32 v11, v11
	s_waitcnt vmcnt(19)
	v_cvt_f32_f16_e32 v65, v65
	v_mov_b32_e32 v79, v81
	s_waitcnt lgkmcnt(0)
	v_lshl_add_u64 v[66:67], v[78:79], 1, s[22:23]
	v_add_f32_e32 v8, v8, v11
	v_add_f32_e32 v8, v8, v65
	v_cvt_f16_f32_e32 v8, v8
	global_store_short v[66:67], v8, off
	s_or_b64 exec, exec, s[4:5]
	v_cmp_ne_u32_e64 s[4:5], 0, v3
	s_and_saveexec_b64 s[6:7], s[4:5]
	s_cbranch_execz .LBB156_65
.LBB156_90:                             ;   in Loop: Header=BB156_13 Depth=1
	v_cvt_f32_i32_e32 v8, v10
	s_waitcnt vmcnt(18)
	v_cvt_f32_f16_e32 v10, v64
	v_mov_b32_e32 v89, v81
	v_add_f32_e32 v6, v6, v8
	v_add_f32_e32 v6, v6, v10
	v_cvt_f16_f32_e32 v6, v6
	s_waitcnt lgkmcnt(0)
	v_lshl_add_u64 v[10:11], v[88:89], 1, s[22:23]
	global_store_short v[10:11], v6, off
	s_or_b64 exec, exec, s[6:7]
	v_cmp_ne_u32_e64 s[6:7], 0, v4
	s_and_saveexec_b64 s[8:9], s[6:7]
	s_cbranch_execz .LBB156_66
.LBB156_91:                             ;   in Loop: Header=BB156_13 Depth=1
	v_cvt_f32_i32_e32 v6, v13
	s_waitcnt vmcnt(17)
	v_cvt_f32_f16_e32 v8, v63
	v_mov_b32_e32 v87, v81
	v_add_f32_e32 v6, v7, v6
	v_add_f32_e32 v6, v6, v8
	v_cvt_f16_f32_e32 v8, v6
	s_waitcnt lgkmcnt(0)
	v_lshl_add_u64 v[6:7], v[86:87], 1, s[22:23]
	global_store_short v[6:7], v8, off
	s_or_b64 exec, exec, s[8:9]
	v_cmp_ne_u32_e64 s[8:9], 0, v5
	s_and_saveexec_b64 s[34:35], s[8:9]
	s_cbranch_execz .LBB156_67
.LBB156_92:                             ;   in Loop: Header=BB156_13 Depth=1
	v_cvt_f32_i32_e32 v6, v16
	s_waitcnt vmcnt(16)
	v_cvt_f32_f16_e32 v7, v62
	v_mov_b32_e32 v85, v81
	v_add_f32_e32 v6, v9, v6
	v_add_f32_e32 v6, v6, v7
	v_cvt_f16_f32_e32 v8, v6
	s_waitcnt lgkmcnt(0)
	v_lshl_add_u64 v[6:7], v[84:85], 1, s[22:23]
	global_store_short v[6:7], v8, off
	s_or_b64 exec, exec, s[34:35]
	v_add_u32_e32 v80, s15, v78
	s_and_saveexec_b64 s[34:35], vcc
	s_cbranch_execz .LBB156_68
.LBB156_93:                             ;   in Loop: Header=BB156_13 Depth=1
	v_cvt_f32_i32_e32 v6, v17
	s_waitcnt vmcnt(15)
	v_cvt_f32_f16_e32 v7, v61
	v_add_f32_e32 v6, v12, v6
	v_add_f32_e32 v6, v6, v7
	v_cvt_f16_f32_e32 v8, v6
	s_waitcnt lgkmcnt(0)
	v_lshl_add_u64 v[6:7], v[80:81], 1, s[22:23]
	global_store_short v[6:7], v8, off
	s_or_b64 exec, exec, s[34:35]
	s_and_saveexec_b64 s[34:35], s[4:5]
	s_cbranch_execz .LBB156_69
.LBB156_94:                             ;   in Loop: Header=BB156_13 Depth=1
	v_cvt_f32_i32_e32 v6, v19
	s_waitcnt vmcnt(14)
	v_cvt_f32_f16_e32 v7, v60
	v_add_f32_e32 v6, v14, v6
	v_add_f32_e32 v6, v6, v7
	v_cvt_f16_f32_e32 v8, v6
	v_add_u32_e32 v6, 1, v80
	v_mov_b32_e32 v7, v81
	s_waitcnt lgkmcnt(0)
	v_lshl_add_u64 v[6:7], v[6:7], 1, s[22:23]
	global_store_short v[6:7], v8, off
	s_or_b64 exec, exec, s[34:35]
	s_and_saveexec_b64 s[34:35], s[6:7]
	s_cbranch_execz .LBB156_70
.LBB156_95:                             ;   in Loop: Header=BB156_13 Depth=1
	v_cvt_f32_i32_e32 v6, v21
	s_waitcnt vmcnt(13)
	v_cvt_f32_f16_e32 v7, v58
	v_add_f32_e32 v6, v15, v6
	v_add_f32_e32 v6, v6, v7
	v_cvt_f16_f32_e32 v8, v6
	v_add_u32_e32 v6, 2, v80
	v_mov_b32_e32 v7, v81
	s_waitcnt lgkmcnt(0)
	v_lshl_add_u64 v[6:7], v[6:7], 1, s[22:23]
	global_store_short v[6:7], v8, off
	s_or_b64 exec, exec, s[34:35]
	s_and_saveexec_b64 s[34:35], s[8:9]
	s_cbranch_execz .LBB156_71
.LBB156_96:                             ;   in Loop: Header=BB156_13 Depth=1
	v_cvt_f32_i32_e32 v6, v23
	s_waitcnt vmcnt(12)
	v_cvt_f32_f16_e32 v7, v56
	v_add_f32_e32 v6, v18, v6
	v_add_f32_e32 v6, v6, v7
	v_cvt_f16_f32_e32 v8, v6
	v_add_u32_e32 v6, 3, v80
	v_mov_b32_e32 v7, v81
	s_waitcnt lgkmcnt(0)
	v_lshl_add_u64 v[6:7], v[6:7], 1, s[22:23]
	global_store_short v[6:7], v8, off
	s_or_b64 exec, exec, s[34:35]
	v_add_u32_e32 v80, s15, v80
	s_and_saveexec_b64 s[34:35], vcc
	s_cbranch_execz .LBB156_72
.LBB156_97:                             ;   in Loop: Header=BB156_13 Depth=1
	v_cvt_f32_i32_e32 v6, v26
	s_waitcnt vmcnt(11)
	v_cvt_f32_f16_e32 v7, v59
	v_add_f32_e32 v6, v20, v6
	v_add_f32_e32 v6, v6, v7
	v_cvt_f16_f32_e32 v8, v6
	s_waitcnt lgkmcnt(0)
	v_lshl_add_u64 v[6:7], v[80:81], 1, s[22:23]
	global_store_short v[6:7], v8, off
	s_or_b64 exec, exec, s[34:35]
	s_and_saveexec_b64 s[34:35], s[4:5]
	s_cbranch_execz .LBB156_73
.LBB156_98:                             ;   in Loop: Header=BB156_13 Depth=1
	v_cvt_f32_i32_e32 v6, v27
	s_waitcnt vmcnt(10)
	v_cvt_f32_f16_e32 v7, v57
	v_add_f32_e32 v6, v22, v6
	v_add_f32_e32 v6, v6, v7
	v_cvt_f16_f32_e32 v8, v6
	v_add_u32_e32 v6, 1, v80
	v_mov_b32_e32 v7, v81
	s_waitcnt lgkmcnt(0)
	v_lshl_add_u64 v[6:7], v[6:7], 1, s[22:23]
	global_store_short v[6:7], v8, off
	s_or_b64 exec, exec, s[34:35]
	s_and_saveexec_b64 s[34:35], s[6:7]
	s_cbranch_execz .LBB156_74
.LBB156_99:                             ;   in Loop: Header=BB156_13 Depth=1
	v_cvt_f32_i32_e32 v6, v28
	s_waitcnt vmcnt(9)
	v_cvt_f32_f16_e32 v7, v55
	v_add_f32_e32 v6, v24, v6
	v_add_f32_e32 v6, v6, v7
	v_cvt_f16_f32_e32 v8, v6
	v_add_u32_e32 v6, 2, v80
	v_mov_b32_e32 v7, v81
	s_waitcnt lgkmcnt(0)
	v_lshl_add_u64 v[6:7], v[6:7], 1, s[22:23]
	global_store_short v[6:7], v8, off
	s_or_b64 exec, exec, s[34:35]
	s_and_saveexec_b64 s[34:35], s[8:9]
	s_cbranch_execz .LBB156_75
.LBB156_100:                            ;   in Loop: Header=BB156_13 Depth=1
	v_cvt_f32_i32_e32 v6, v30
	s_waitcnt vmcnt(8)
	v_cvt_f32_f16_e32 v7, v54
	v_add_f32_e32 v6, v25, v6
	v_add_f32_e32 v6, v6, v7
	v_cvt_f16_f32_e32 v8, v6
	v_add_u32_e32 v6, 3, v80
	v_mov_b32_e32 v7, v81
	s_waitcnt lgkmcnt(0)
	v_lshl_add_u64 v[6:7], v[6:7], 1, s[22:23]
	global_store_short v[6:7], v8, off
	s_or_b64 exec, exec, s[34:35]
	v_add_u32_e32 v80, s15, v80
	s_and_saveexec_b64 s[34:35], vcc
	s_cbranch_execz .LBB156_76
.LBB156_101:                            ;   in Loop: Header=BB156_13 Depth=1
	v_cvt_f32_i32_e32 v6, v36
	s_waitcnt vmcnt(7)
	v_cvt_f32_f16_e32 v7, v53
	v_add_f32_e32 v6, v29, v6
	v_add_f32_e32 v6, v6, v7
	v_cvt_f16_f32_e32 v8, v6
	s_waitcnt lgkmcnt(0)
	v_lshl_add_u64 v[6:7], v[80:81], 1, s[22:23]
	global_store_short v[6:7], v8, off
	s_or_b64 exec, exec, s[34:35]
	s_and_saveexec_b64 s[34:35], s[4:5]
	s_cbranch_execz .LBB156_77
.LBB156_102:                            ;   in Loop: Header=BB156_13 Depth=1
	v_cvt_f32_i32_e32 v6, v38
	s_waitcnt vmcnt(6)
	v_cvt_f32_f16_e32 v7, v52
	v_add_f32_e32 v6, v31, v6
	v_add_f32_e32 v6, v6, v7
	v_cvt_f16_f32_e32 v8, v6
	v_add_u32_e32 v6, 1, v80
	v_mov_b32_e32 v7, v81
	s_waitcnt lgkmcnt(0)
	v_lshl_add_u64 v[6:7], v[6:7], 1, s[22:23]
	global_store_short v[6:7], v8, off
	s_or_b64 exec, exec, s[34:35]
	s_and_saveexec_b64 s[34:35], s[6:7]
	s_cbranch_execz .LBB156_78
.LBB156_103:                            ;   in Loop: Header=BB156_13 Depth=1
	v_cvt_f32_i32_e32 v6, v40
	s_waitcnt vmcnt(5)
	v_cvt_f32_f16_e32 v7, v51
	v_add_f32_e32 v6, v32, v6
	v_add_f32_e32 v6, v6, v7
	v_cvt_f16_f32_e32 v8, v6
	v_add_u32_e32 v6, 2, v80
	v_mov_b32_e32 v7, v81
	s_waitcnt lgkmcnt(0)
	v_lshl_add_u64 v[6:7], v[6:7], 1, s[22:23]
	global_store_short v[6:7], v8, off
	s_or_b64 exec, exec, s[34:35]
	s_and_saveexec_b64 s[34:35], s[8:9]
	s_cbranch_execz .LBB156_79
.LBB156_104:                            ;   in Loop: Header=BB156_13 Depth=1
	v_cvt_f32_i32_e32 v6, v35
	s_waitcnt vmcnt(4)
	v_cvt_f32_f16_e32 v7, v49
	v_add_f32_e32 v6, v33, v6
	v_add_f32_e32 v6, v6, v7
	v_cvt_f16_f32_e32 v8, v6
	v_add_u32_e32 v6, 3, v80
	v_mov_b32_e32 v7, v81
	s_waitcnt lgkmcnt(0)
	v_lshl_add_u64 v[6:7], v[6:7], 1, s[22:23]
	global_store_short v[6:7], v8, off
	s_or_b64 exec, exec, s[34:35]
	v_add_u32_e32 v80, s15, v80
	s_and_saveexec_b64 s[34:35], vcc
	s_cbranch_execz .LBB156_80
.LBB156_105:                            ;   in Loop: Header=BB156_13 Depth=1
	v_cvt_f32_i32_e32 v6, v45
	s_waitcnt vmcnt(3)
	v_cvt_f32_f16_e32 v7, v50
	v_add_f32_e32 v6, v43, v6
	v_add_f32_e32 v6, v6, v7
	v_cvt_f16_f32_e32 v8, v6
	s_waitcnt lgkmcnt(0)
	v_lshl_add_u64 v[6:7], v[80:81], 1, s[22:23]
	global_store_short v[6:7], v8, off
	s_or_b64 exec, exec, s[34:35]
	s_and_saveexec_b64 s[34:35], s[4:5]
	s_cbranch_execz .LBB156_81
.LBB156_106:                            ;   in Loop: Header=BB156_13 Depth=1
	v_cvt_f32_i32_e32 v6, v44
	s_waitcnt vmcnt(2)
	v_cvt_f32_f16_e32 v7, v48
	v_add_f32_e32 v6, v42, v6
	v_add_f32_e32 v6, v6, v7
	v_cvt_f16_f32_e32 v8, v6
	v_add_u32_e32 v6, 1, v80
	v_mov_b32_e32 v7, v81
	s_waitcnt lgkmcnt(0)
	v_lshl_add_u64 v[6:7], v[6:7], 1, s[22:23]
	global_store_short v[6:7], v8, off
	s_or_b64 exec, exec, s[34:35]
	s_and_saveexec_b64 s[4:5], s[6:7]
	s_cbranch_execz .LBB156_82
.LBB156_107:                            ;   in Loop: Header=BB156_13 Depth=1
	v_cvt_f32_i32_e32 v6, v41
	s_waitcnt vmcnt(1)
	v_cvt_f32_f16_e32 v7, v47
	v_add_f32_e32 v6, v39, v6
	v_add_f32_e32 v6, v6, v7
	v_cvt_f16_f32_e32 v8, v6
	v_add_u32_e32 v6, 2, v80
	v_mov_b32_e32 v7, v81
	s_waitcnt lgkmcnt(0)
	v_lshl_add_u64 v[6:7], v[6:7], 1, s[22:23]
	global_store_short v[6:7], v8, off
	s_or_b64 exec, exec, s[4:5]
	s_and_b64 exec, exec, s[8:9]
	s_cbranch_execnz .LBB156_83
	s_branch .LBB156_84
.LBB156_108:
	s_endpgm
	.section	.rodata,"a",@progbits
	.p2align	6, 0x0
	.amdhsa_kernel _Z12wvSplitK_hf_I6__halfLi64ELi4ELi16ELi8ELi2ELi5EEviiiiiiPKT_S3_S3_PS1_ii
		.amdhsa_group_segment_fixed_size 65536
		.amdhsa_private_segment_fixed_size 0
		.amdhsa_kernarg_size 64
		.amdhsa_user_sgpr_count 2
		.amdhsa_user_sgpr_dispatch_ptr 0
		.amdhsa_user_sgpr_queue_ptr 0
		.amdhsa_user_sgpr_kernarg_segment_ptr 1
		.amdhsa_user_sgpr_dispatch_id 0
		.amdhsa_user_sgpr_kernarg_preload_length 0
		.amdhsa_user_sgpr_kernarg_preload_offset 0
		.amdhsa_user_sgpr_private_segment_size 0
		.amdhsa_uses_dynamic_stack 0
		.amdhsa_enable_private_segment 0
		.amdhsa_system_sgpr_workgroup_id_x 1
		.amdhsa_system_sgpr_workgroup_id_y 0
		.amdhsa_system_sgpr_workgroup_id_z 0
		.amdhsa_system_sgpr_workgroup_info 0
		.amdhsa_system_vgpr_workitem_id 1
		.amdhsa_next_free_vgpr 126
		.amdhsa_next_free_sgpr 46
		.amdhsa_accum_offset 128
		.amdhsa_reserve_vcc 1
		.amdhsa_float_round_mode_32 0
		.amdhsa_float_round_mode_16_64 0
		.amdhsa_float_denorm_mode_32 3
		.amdhsa_float_denorm_mode_16_64 3
		.amdhsa_dx10_clamp 1
		.amdhsa_ieee_mode 1
		.amdhsa_fp16_overflow 0
		.amdhsa_tg_split 0
		.amdhsa_exception_fp_ieee_invalid_op 0
		.amdhsa_exception_fp_denorm_src 0
		.amdhsa_exception_fp_ieee_div_zero 0
		.amdhsa_exception_fp_ieee_overflow 0
		.amdhsa_exception_fp_ieee_underflow 0
		.amdhsa_exception_fp_ieee_inexact 0
		.amdhsa_exception_int_div_zero 0
	.end_amdhsa_kernel
	.section	.text._Z12wvSplitK_hf_I6__halfLi64ELi4ELi16ELi8ELi2ELi5EEviiiiiiPKT_S3_S3_PS1_ii,"axG",@progbits,_Z12wvSplitK_hf_I6__halfLi64ELi4ELi16ELi8ELi2ELi5EEviiiiiiPKT_S3_S3_PS1_ii,comdat
.Lfunc_end156:
	.size	_Z12wvSplitK_hf_I6__halfLi64ELi4ELi16ELi8ELi2ELi5EEviiiiiiPKT_S3_S3_PS1_ii, .Lfunc_end156-_Z12wvSplitK_hf_I6__halfLi64ELi4ELi16ELi8ELi2ELi5EEviiiiiiPKT_S3_S3_PS1_ii
                                        ; -- End function
	.section	.AMDGPU.csdata,"",@progbits
; Kernel info:
; codeLenInByte = 7760
; NumSgprs: 52
; NumVgprs: 126
; NumAgprs: 0
; TotalNumVgprs: 126
; ScratchSize: 0
; MemoryBound: 1
; FloatMode: 240
; IeeeMode: 1
; LDSByteSize: 65536 bytes/workgroup (compile time only)
; SGPRBlocks: 6
; VGPRBlocks: 15
; NumSGPRsForWavesPerEU: 52
; NumVGPRsForWavesPerEU: 126
; AccumOffset: 128
; Occupancy: 4
; WaveLimiterHint : 0
; COMPUTE_PGM_RSRC2:SCRATCH_EN: 0
; COMPUTE_PGM_RSRC2:USER_SGPR: 2
; COMPUTE_PGM_RSRC2:TRAP_HANDLER: 0
; COMPUTE_PGM_RSRC2:TGID_X_EN: 1
; COMPUTE_PGM_RSRC2:TGID_Y_EN: 0
; COMPUTE_PGM_RSRC2:TGID_Z_EN: 0
; COMPUTE_PGM_RSRC2:TIDIG_COMP_CNT: 1
; COMPUTE_PGM_RSRC3_GFX90A:ACCUM_OFFSET: 31
; COMPUTE_PGM_RSRC3_GFX90A:TG_SPLIT: 0
	.section	.text._Z16wvSplitK_hf_big_I6__halfLi64ELi4ELi16ELi8ELi2ELi5EEviiiiiiPKT_S3_S3_PS1_ii,"axG",@progbits,_Z16wvSplitK_hf_big_I6__halfLi64ELi4ELi16ELi8ELi2ELi5EEviiiiiiPKT_S3_S3_PS1_ii,comdat
	.protected	_Z16wvSplitK_hf_big_I6__halfLi64ELi4ELi16ELi8ELi2ELi5EEviiiiiiPKT_S3_S3_PS1_ii ; -- Begin function _Z16wvSplitK_hf_big_I6__halfLi64ELi4ELi16ELi8ELi2ELi5EEviiiiiiPKT_S3_S3_PS1_ii
	.globl	_Z16wvSplitK_hf_big_I6__halfLi64ELi4ELi16ELi8ELi2ELi5EEviiiiiiPKT_S3_S3_PS1_ii
	.p2align	8
	.type	_Z16wvSplitK_hf_big_I6__halfLi64ELi4ELi16ELi8ELi2ELi5EEviiiiiiPKT_S3_S3_PS1_ii,@function
_Z16wvSplitK_hf_big_I6__halfLi64ELi4ELi16ELi8ELi2ELi5EEviiiiiiPKT_S3_S3_PS1_ii: ; @_Z16wvSplitK_hf_big_I6__halfLi64ELi4ELi16ELi8ELi2ELi5EEviiiiiiPKT_S3_S3_PS1_ii
; %bb.0:
	s_load_dwordx2 s[8:9], s[0:1], 0x38
	v_bfe_u32 v7, v0, 10, 10
	s_waitcnt lgkmcnt(0)
	v_cmp_gt_u32_e32 vcc, s8, v7
	s_and_saveexec_b64 s[4:5], vcc
	s_cbranch_execz .LBB157_80
; %bb.1:
	s_load_dwordx4 s[20:23], s[0:1], 0x0
	s_mul_i32 s2, s2, s8
	v_add_lshl_u32 v78, s2, v7, 2
	s_mov_b32 s4, 1
	v_add_u32_e32 v1, 4, v78
	s_mov_b32 s5, s4
	s_waitcnt lgkmcnt(0)
	v_cmp_gt_u32_e32 vcc, s23, v78
	v_cmp_le_u32_e64 s[2:3], s23, v1
	s_mov_b32 s6, s4
	s_mov_b32 s7, s4
	v_mov_b64_e32 v[2:3], s[4:5]
	s_and_b64 s[10:11], vcc, s[2:3]
	v_mov_b64_e32 v[4:5], s[6:7]
	s_and_saveexec_b64 s[2:3], s[10:11]
	s_cbranch_execz .LBB157_7
; %bb.2:
	s_add_i32 s16, s23, -4
	v_mov_b64_e32 v[2:3], s[4:5]
	v_cmp_ne_u32_e32 vcc, s16, v78
	v_mov_b64_e32 v[4:5], s[6:7]
	s_and_saveexec_b64 s[10:11], vcc
	s_cbranch_execz .LBB157_6
; %bb.3:
	v_subrev_u32_e32 v1, s16, v78
	v_cmp_lt_u32_e32 vcc, 1, v1
	s_mov_b64 s[12:13], 0
	s_mov_b64 s[14:15], 0
	v_cndmask_b32_e32 v6, 1, v1, vcc
	s_mov_b32 s5, s4
	s_mov_b32 s6, s4
	;; [unrolled: 1-line block ×3, first 2 shown]
.LBB157_4:                              ; =>This Inner Loop Header: Depth=1
	s_cmp_lg_u32 s14, 3
	s_cselect_b32 s7, s7, 0
	s_cmp_lg_u32 s14, 2
	s_cselect_b32 s6, s6, 0
	;; [unrolled: 2-line block ×4, first 2 shown]
	s_add_u32 s14, s14, 1
	s_addc_u32 s15, s15, 0
	v_cmp_eq_u32_e32 vcc, s14, v6
	v_mov_b64_e32 v[2:3], s[4:5]
	s_or_b64 s[12:13], vcc, s[12:13]
	v_mov_b64_e32 v[4:5], s[6:7]
	s_andn2_b64 exec, exec, s[12:13]
	s_cbranch_execnz .LBB157_4
; %bb.5:
	s_or_b64 exec, exec, s[12:13]
	v_mov_b32_e32 v78, s16
.LBB157_6:
	s_or_b64 exec, exec, s[10:11]
.LBB157_7:
	s_or_b64 exec, exec, s[2:3]
	s_lshl_b32 s2, s8, 2
	s_abs_i32 s3, s2
	v_cvt_f32_u32_e32 v1, s3
	s_sub_i32 s6, 0, s3
	s_abs_i32 s5, s23
	s_ashr_i32 s4, s23, 31
	v_rcp_iflag_f32_e32 v1, v1
	s_nop 0
	v_mul_f32_e32 v1, 0x4f7ffffe, v1
	v_cvt_u32_f32_e32 v1, v1
	s_nop 0
	v_readfirstlane_b32 s7, v1
	s_mul_i32 s6, s6, s7
	s_mul_hi_u32 s6, s7, s6
	s_add_i32 s7, s7, s6
	s_mul_hi_u32 s6, s5, s7
	s_mul_i32 s6, s6, s3
	s_sub_i32 s5, s5, s6
	s_sub_i32 s6, s5, s3
	s_cmp_ge_u32 s5, s3
	s_cselect_b32 s5, s6, s5
	s_sub_i32 s6, s5, s3
	s_cmp_ge_u32 s5, s3
	s_cselect_b32 s3, s6, s5
	s_xor_b32 s3, s3, s4
	s_sub_i32 s3, s3, s4
	s_add_i32 s2, s2, s23
	s_sub_i32 s2, s2, s3
	s_cmp_eq_u32 s3, 0
	s_cselect_b32 s33, s23, s2
	v_cmp_gt_u32_e32 vcc, s33, v78
	s_and_b64 exec, exec, vcc
	s_cbranch_execz .LBB157_80
; %bb.8:
	s_load_dwordx8 s[12:19], s[0:1], 0x10
	s_min_u32 s40, s22, 0x1800
	s_cmp_lg_u32 s20, 0
	s_load_dwordx2 s[24:25], s[0:1], 0x30
	s_cselect_b64 s[2:3], -1, 0
	s_cmp_lg_u32 s22, 0
	s_mul_i32 s0, s9, s8
	s_cselect_b64 s[4:5], -1, 0
	s_lshl_b32 s41, s8, 9
	s_add_i32 s42, s20, -8
	s_add_i32 s43, s23, -1
	s_lshl_b32 s44, s0, 2
	s_waitcnt lgkmcnt(0)
	s_cmp_lg_u64 s[18:19], 0
	s_cselect_b64 s[28:29], -1, 0
	s_abs_i32 s6, s13
	v_cvt_f32_u32_e32 v1, s12
	v_cvt_f32_u32_e32 v6, s6
	s_sub_i32 s7, 0, s12
	s_add_i32 s13, s23, -4
	v_rcp_iflag_f32_e32 v1, v1
	v_rcp_iflag_f32_e32 v6, v6
	v_and_b32_e32 v0, 0x3ff, v0
	v_lshlrev_b32_e32 v81, 3, v0
	v_mul_f32_e32 v1, 0x4f7ffffe, v1
	v_mul_f32_e32 v6, 0x4f7ffffe, v6
	v_cvt_u32_f32_e32 v1, v1
	v_cvt_u32_f32_e32 v6, v6
	v_cmp_eq_u32_e64 s[0:1], 63, v0
	v_lshlrev_b32_e32 v0, 4, v0
	v_mul_lo_u32 v8, s7, v1
	s_sub_i32 s7, 0, s6
	v_readfirstlane_b32 s9, v6
	s_mul_i32 s7, s7, s9
	s_mul_hi_u32 s7, s9, s7
	s_add_i32 s9, s9, s7
	s_sub_i32 s7, 1, s6
	s_cmp_lt_u32 s6, 2
	s_cselect_b32 s7, s7, 1
	s_sub_i32 s10, s7, s6
	s_cmp_ge_u32 s7, s6
	s_cselect_b32 s45, s10, s7
	s_lshr_b32 s7, s9, 31
	s_mul_i32 s7, s7, s6
	s_sub_i32 s7, 2, s7
	s_sub_i32 s10, s7, s6
	s_cmp_ge_u32 s7, s6
	s_cselect_b32 s7, s10, s7
	s_sub_i32 s10, s7, s6
	s_cmp_ge_u32 s7, s6
	s_cselect_b32 s46, s10, s7
	s_mul_hi_u32 s7, s9, 3
	s_mul_i32 s7, s7, s6
	s_sub_i32 s7, 3, s7
	s_sub_i32 s10, s7, s6
	s_cmp_ge_u32 s7, s6
	s_cselect_b32 s7, s10, s7
	s_sub_i32 s10, s7, s6
	s_cmp_ge_u32 s7, s6
	s_cselect_b32 s47, s10, s7
	s_lshr_b32 s7, s9, 30
	s_mul_i32 s7, s7, s6
	s_sub_i32 s7, 4, s7
	s_sub_i32 s9, s7, s6
	s_cmp_ge_u32 s7, s6
	s_cselect_b32 s7, s9, s7
	s_sub_i32 s9, s7, s6
	s_cmp_ge_u32 s7, s6
	v_lshl_add_u32 v93, v7, 10, v0
	v_lshl_add_u32 v80, v7, 9, v81
	v_cndmask_b32_e64 v0, 0, 1, s[2:3]
	v_mul_hi_u32 v8, v1, v8
	s_cselect_b32 s48, s9, s7
	s_add_u32 s30, s24, 2
	v_mad_u64_u32 v[82:83], s[6:7], s22, 3, v[80:81]
	v_cmp_ne_u32_e64 s[2:3], 1, v0
	v_cndmask_b32_e64 v0, 0, 1, s[4:5]
	s_mov_b64 s[26:27], 0
	v_add_u32_e32 v92, v1, v8
	v_mov_b32_e32 v1, 0
	s_mul_i32 s45, s45, s12
	s_mul_i32 s46, s46, s12
	;; [unrolled: 1-line block ×4, first 2 shown]
	s_addc_u32 s31, s25, 0
	s_lshl_b32 s49, s40, 3
	s_lshl_b32 s50, s8, 10
	s_mul_i32 s51, s40, 6
	s_lshl_b32 s52, s40, 2
	s_lshl_b32 s53, s40, 1
	v_lshl_add_u32 v94, s22, 1, v80
	v_lshl_add_u32 v83, s22, 2, v80
	v_add_u32_e32 v95, s22, v80
	v_cmp_ne_u32_e64 s[4:5], 1, v0
	s_branch .LBB157_12
.LBB157_9:                              ;   in Loop: Header=BB157_12 Depth=1
	s_or_b64 exec, exec, s[10:11]
	v_mov_b32_e32 v78, s13
.LBB157_10:                             ;   in Loop: Header=BB157_12 Depth=1
	s_or_b64 exec, exec, s[8:9]
.LBB157_11:                             ;   in Loop: Header=BB157_12 Depth=1
	s_or_b64 exec, exec, s[34:35]
	v_cmp_le_u32_e32 vcc, s33, v78
	s_or_b64 s[26:27], vcc, s[26:27]
	s_andn2_b64 exec, exec, s[26:27]
	s_cbranch_execz .LBB157_80
.LBB157_12:                             ; =>This Loop Header: Depth=1
                                        ;     Child Loop BB157_17 Depth 2
                                        ;       Child Loop BB157_22 Depth 3
                                        ;     Child Loop BB157_59 Depth 2
	s_mov_b32 s36, 0
	s_and_b64 vcc, exec, s[2:3]
	v_mov_b32_e32 v114, v1
	v_mov_b32_e32 v113, v1
	;; [unrolled: 1-line block ×20, first 2 shown]
	s_cbranch_vccnz .LBB157_29
; %bb.13:                               ;   in Loop: Header=BB157_12 Depth=1
	v_add_u32_e32 v6, 1, v78
	v_add_u32_e32 v8, 2, v78
	;; [unrolled: 1-line block ×3, first 2 shown]
	v_min_u32_e32 v0, s43, v78
	v_min_u32_e32 v6, s43, v6
	;; [unrolled: 1-line block ×4, first 2 shown]
	v_mul_lo_u32 v0, v0, s21
	v_mul_lo_u32 v6, v6, s21
	v_mov_b32_e32 v7, v1
	v_mul_lo_u32 v8, v8, s21
	v_mov_b32_e32 v9, v1
	;; [unrolled: 2-line block ×3, first 2 shown]
	v_cmp_gt_u32_e64 s[6:7], s23, v78
	v_mov_b32_e32 v106, 0
	v_lshlrev_b64 v[84:85], 1, v[0:1]
	v_lshlrev_b64 v[86:87], 1, v[6:7]
	;; [unrolled: 1-line block ×4, first 2 shown]
	v_mov_b32_e32 v105, 0
	v_mov_b32_e32 v104, 0
	;; [unrolled: 1-line block ×19, first 2 shown]
	s_mov_b32 s37, 0
	s_branch .LBB157_17
.LBB157_14:                             ;   in Loop: Header=BB157_17 Depth=2
	s_or_b64 exec, exec, s[34:35]
.LBB157_15:                             ;   in Loop: Header=BB157_17 Depth=2
	s_or_b64 exec, exec, s[10:11]
	s_waitcnt vmcnt(7) lgkmcnt(4)
	;;#ASMSTART
	v_dot2c_f32_f16 v114, v74, v54
	;;#ASMEND
	s_waitcnt vmcnt(6)
	;;#ASMSTART
	v_dot2c_f32_f16 v113, v74, v50
	;;#ASMEND
	s_waitcnt vmcnt(5)
	;; [unrolled: 4-line block ×3, first 2 shown]
	;;#ASMSTART
	v_dot2c_f32_f16 v111, v74, v38
	;;#ASMEND
	s_waitcnt lgkmcnt(3)
	;;#ASMSTART
	v_dot2c_f32_f16 v110, v70, v54
	;;#ASMEND
	;;#ASMSTART
	v_dot2c_f32_f16 v109, v70, v50
	;;#ASMEND
	;;#ASMSTART
	v_dot2c_f32_f16 v108, v70, v46
	;;#ASMEND
	;;#ASMSTART
	v_dot2c_f32_f16 v107, v70, v38
	;;#ASMEND
	s_waitcnt lgkmcnt(2)
	;;#ASMSTART
	v_dot2c_f32_f16 v106, v66, v54
	;;#ASMEND
	;;#ASMSTART
	v_dot2c_f32_f16 v105, v66, v50
	;;#ASMEND
	;;#ASMSTART
	v_dot2c_f32_f16 v104, v66, v46
	;;#ASMEND
	;; [unrolled: 13-line block ×4, first 2 shown]
	;;#ASMSTART
	v_dot2c_f32_f16 v79, v58, v38
	;;#ASMEND
	;;#ASMSTART
	v_dot2c_f32_f16 v114, v75, v55
	;;#ASMEND
	;;#ASMSTART
	v_dot2c_f32_f16 v113, v75, v51
	;;#ASMEND
	;;#ASMSTART
	v_dot2c_f32_f16 v112, v75, v47
	;;#ASMEND
	;;#ASMSTART
	v_dot2c_f32_f16 v111, v75, v39
	;;#ASMEND
	;;#ASMSTART
	v_dot2c_f32_f16 v110, v71, v55
	;;#ASMEND
	;;#ASMSTART
	v_dot2c_f32_f16 v109, v71, v51
	;;#ASMEND
	;;#ASMSTART
	v_dot2c_f32_f16 v108, v71, v47
	;;#ASMEND
	;;#ASMSTART
	v_dot2c_f32_f16 v107, v71, v39
	;;#ASMEND
	;;#ASMSTART
	v_dot2c_f32_f16 v106, v67, v55
	;;#ASMEND
	;;#ASMSTART
	v_dot2c_f32_f16 v105, v67, v51
	;;#ASMEND
	;;#ASMSTART
	v_dot2c_f32_f16 v104, v67, v47
	;;#ASMEND
	;;#ASMSTART
	v_dot2c_f32_f16 v103, v67, v39
	;;#ASMEND
	;;#ASMSTART
	v_dot2c_f32_f16 v102, v63, v55
	;;#ASMEND
	;;#ASMSTART
	v_dot2c_f32_f16 v101, v63, v51
	;;#ASMEND
	;;#ASMSTART
	v_dot2c_f32_f16 v100, v63, v47
	;;#ASMEND
	;;#ASMSTART
	v_dot2c_f32_f16 v99, v63, v39
	;;#ASMEND
	s_nop 0
	;;#ASMSTART
	v_dot2c_f32_f16 v98, v59, v55
	;;#ASMEND
	;;#ASMSTART
	v_dot2c_f32_f16 v97, v59, v51
	;;#ASMEND
	;;#ASMSTART
	v_dot2c_f32_f16 v96, v59, v47
	;;#ASMEND
	;;#ASMSTART
	v_dot2c_f32_f16 v79, v59, v39
	;;#ASMEND
	;;#ASMSTART
	v_dot2c_f32_f16 v114, v76, v56
	;;#ASMEND
	;;#ASMSTART
	v_dot2c_f32_f16 v113, v76, v52
	;;#ASMEND
	;;#ASMSTART
	v_dot2c_f32_f16 v112, v76, v48
	;;#ASMEND
	;;#ASMSTART
	v_dot2c_f32_f16 v111, v76, v40
	;;#ASMEND
	;;#ASMSTART
	v_dot2c_f32_f16 v110, v72, v56
	;;#ASMEND
	;;#ASMSTART
	v_dot2c_f32_f16 v109, v72, v52
	;;#ASMEND
	;;#ASMSTART
	v_dot2c_f32_f16 v108, v72, v48
	;;#ASMEND
	;;#ASMSTART
	v_dot2c_f32_f16 v107, v72, v40
	;;#ASMEND
	;;#ASMSTART
	v_dot2c_f32_f16 v106, v68, v56
	;;#ASMEND
	;;#ASMSTART
	v_dot2c_f32_f16 v105, v68, v52
	;;#ASMEND
	;;#ASMSTART
	v_dot2c_f32_f16 v104, v68, v48
	;;#ASMEND
	;;#ASMSTART
	v_dot2c_f32_f16 v103, v68, v40
	;;#ASMEND
	;;#ASMSTART
	v_dot2c_f32_f16 v102, v64, v56
	;;#ASMEND
	;;#ASMSTART
	v_dot2c_f32_f16 v101, v64, v52
	;;#ASMEND
	;;#ASMSTART
	v_dot2c_f32_f16 v100, v64, v48
	;;#ASMEND
	;;#ASMSTART
	v_dot2c_f32_f16 v99, v64, v40
	;;#ASMEND
	s_nop 0
	;;#ASMSTART
	v_dot2c_f32_f16 v98, v60, v56
	;;#ASMEND
	;;#ASMSTART
	v_dot2c_f32_f16 v97, v60, v52
	;;#ASMEND
	;;#ASMSTART
	v_dot2c_f32_f16 v96, v60, v48
	;;#ASMEND
	;; [unrolled: 61-line block ×3, first 2 shown]
	;;#ASMSTART
	v_dot2c_f32_f16 v79, v61, v41
	;;#ASMEND
	s_waitcnt vmcnt(3)
	;;#ASMSTART
	v_dot2c_f32_f16 v114, v42, v18
	;;#ASMEND
	s_waitcnt vmcnt(2)
	;; [unrolled: 4-line block ×4, first 2 shown]
	;;#ASMSTART
	v_dot2c_f32_f16 v111, v42, v6
	;;#ASMEND
	;;#ASMSTART
	v_dot2c_f32_f16 v110, v34, v18
	;;#ASMEND
	;;#ASMSTART
	v_dot2c_f32_f16 v109, v34, v14
	;;#ASMEND
	;;#ASMSTART
	v_dot2c_f32_f16 v108, v34, v10
	;;#ASMEND
	;;#ASMSTART
	v_dot2c_f32_f16 v107, v34, v6
	;;#ASMEND
	;;#ASMSTART
	v_dot2c_f32_f16 v106, v30, v18
	;;#ASMEND
	;;#ASMSTART
	v_dot2c_f32_f16 v105, v30, v14
	;;#ASMEND
	;;#ASMSTART
	v_dot2c_f32_f16 v104, v30, v10
	;;#ASMEND
	;;#ASMSTART
	v_dot2c_f32_f16 v103, v30, v6
	;;#ASMEND
	;;#ASMSTART
	v_dot2c_f32_f16 v102, v26, v18
	;;#ASMEND
	;;#ASMSTART
	v_dot2c_f32_f16 v101, v26, v14
	;;#ASMEND
	;;#ASMSTART
	v_dot2c_f32_f16 v100, v26, v10
	;;#ASMEND
	;;#ASMSTART
	v_dot2c_f32_f16 v99, v26, v6
	;;#ASMEND
	;;#ASMSTART
	v_dot2c_f32_f16 v98, v22, v18
	;;#ASMEND
	;;#ASMSTART
	v_dot2c_f32_f16 v97, v22, v14
	;;#ASMEND
	;;#ASMSTART
	v_dot2c_f32_f16 v96, v22, v10
	;;#ASMEND
	;;#ASMSTART
	v_dot2c_f32_f16 v79, v22, v6
	;;#ASMEND
	;;#ASMSTART
	v_dot2c_f32_f16 v114, v43, v19
	;;#ASMEND
	;;#ASMSTART
	v_dot2c_f32_f16 v113, v43, v15
	;;#ASMEND
	;;#ASMSTART
	v_dot2c_f32_f16 v112, v43, v11
	;;#ASMEND
	s_nop 0
	;;#ASMSTART
	v_dot2c_f32_f16 v111, v43, v7
	;;#ASMEND
	;;#ASMSTART
	v_dot2c_f32_f16 v110, v35, v19
	;;#ASMEND
	;;#ASMSTART
	v_dot2c_f32_f16 v109, v35, v15
	;;#ASMEND
	;;#ASMSTART
	v_dot2c_f32_f16 v108, v35, v11
	;;#ASMEND
	;;#ASMSTART
	v_dot2c_f32_f16 v107, v35, v7
	;;#ASMEND
	;;#ASMSTART
	v_dot2c_f32_f16 v106, v31, v19
	;;#ASMEND
	;;#ASMSTART
	v_dot2c_f32_f16 v105, v31, v15
	;;#ASMEND
	;;#ASMSTART
	v_dot2c_f32_f16 v104, v31, v11
	;;#ASMEND
	;;#ASMSTART
	v_dot2c_f32_f16 v103, v31, v7
	;;#ASMEND
	;;#ASMSTART
	v_dot2c_f32_f16 v102, v27, v19
	;;#ASMEND
	;;#ASMSTART
	v_dot2c_f32_f16 v101, v27, v15
	;;#ASMEND
	;;#ASMSTART
	v_dot2c_f32_f16 v100, v27, v11
	;;#ASMEND
	;;#ASMSTART
	v_dot2c_f32_f16 v99, v27, v7
	;;#ASMEND
	;;#ASMSTART
	v_dot2c_f32_f16 v98, v23, v19
	;;#ASMEND
	;;#ASMSTART
	v_dot2c_f32_f16 v97, v23, v15
	;;#ASMEND
	;;#ASMSTART
	v_dot2c_f32_f16 v96, v23, v11
	;;#ASMEND
	;;#ASMSTART
	v_dot2c_f32_f16 v79, v23, v7
	;;#ASMEND
	;;#ASMSTART
	v_dot2c_f32_f16 v114, v44, v20
	;;#ASMEND
	;;#ASMSTART
	v_dot2c_f32_f16 v113, v44, v16
	;;#ASMEND
	;;#ASMSTART
	v_dot2c_f32_f16 v112, v44, v12
	;;#ASMEND
	s_nop 0
	;; [unrolled: 61-line block ×3, first 2 shown]
	;;#ASMSTART
	v_dot2c_f32_f16 v111, v45, v9
	;;#ASMEND
	;;#ASMSTART
	v_dot2c_f32_f16 v110, v37, v21
	;;#ASMEND
	;; [unrolled: 3-line block ×17, first 2 shown]
.LBB157_16:                             ;   in Loop: Header=BB157_17 Depth=2
	s_or_b64 exec, exec, s[8:9]
	s_addk_i32 s37, 0x400
	s_cmp_ge_u32 s37, s20
	s_cbranch_scc1 .LBB157_29
.LBB157_17:                             ;   Parent Loop BB157_12 Depth=1
                                        ; =>  This Loop Header: Depth=2
                                        ;       Child Loop BB157_22 Depth 3
	s_cmp_eq_u32 s37, 0
	s_cselect_b64 s[8:9], -1, 0
	s_add_i32 s10, s36, s40
	s_cmp_eq_u32 s37, s10
	s_cselect_b64 s[34:35], -1, 0
	s_or_b64 s[34:35], s[8:9], s[34:35]
	s_andn2_b64 vcc, exec, s[34:35]
	s_cbranch_vccz .LBB157_19
; %bb.18:                               ;   in Loop: Header=BB157_17 Depth=2
	s_and_saveexec_b64 s[8:9], s[6:7]
	s_cbranch_execz .LBB157_16
	s_branch .LBB157_26
.LBB157_19:                             ;   in Loop: Header=BB157_17 Depth=2
	s_and_b64 s[8:9], s[8:9], exec
	s_cselect_b32 s36, s36, s10
	s_and_b64 vcc, exec, s[4:5]
	s_barrier
	s_cbranch_vccnz .LBB157_25
; %bb.20:                               ;   in Loop: Header=BB157_17 Depth=2
	v_add_u32_e32 v6, s36, v94
	v_add_u32_e32 v7, s36, v82
	;; [unrolled: 1-line block ×5, first 2 shown]
	s_mov_b32 s38, 0
	s_mov_b64 s[10:11], 0
	v_mov_b32_e32 v11, v93
                                        ; implicit-def: $sgpr34_sgpr35
	s_branch .LBB157_22
.LBB157_21:                             ;   in Loop: Header=BB157_22 Depth=3
	s_or_b64 exec, exec, s[8:9]
	s_and_b64 s[8:9], exec, s[34:35]
	s_or_b64 s[10:11], s[8:9], s[10:11]
	s_andn2_b64 exec, exec, s[10:11]
	s_cbranch_execz .LBB157_24
.LBB157_22:                             ;   Parent Loop BB157_12 Depth=1
                                        ;     Parent Loop BB157_17 Depth=2
                                        ; =>    This Inner Loop Header: Depth=3
	v_add_u32_e32 v12, s38, v80
	v_add_u32_e32 v0, s38, v10
	v_cmp_gt_u32_e32 vcc, s22, v0
	v_cmp_gt_u32_e64 s[8:9], s40, v12
	s_and_b64 s[54:55], s[8:9], vcc
	s_or_b64 s[34:35], s[34:35], exec
	s_and_saveexec_b64 s[8:9], s[54:55]
	s_cbranch_execz .LBB157_21
; %bb.23:                               ;   in Loop: Header=BB157_22 Depth=3
	v_lshl_add_u64 v[12:13], v[0:1], 1, s[16:17]
	v_add_u32_e32 v0, s38, v9
	v_lshl_add_u64 v[16:17], v[0:1], 1, s[16:17]
	v_add_u32_e32 v0, s38, v6
	;; [unrolled: 2-line block ×3, first 2 shown]
	v_lshl_add_u64 v[24:25], v[0:1], 1, s[16:17]
	global_load_dwordx4 v[12:15], v[12:13], off
	s_nop 0
	global_load_dwordx4 v[16:19], v[16:17], off
	s_nop 0
	;; [unrolled: 2-line block ×3, first 2 shown]
	global_load_dwordx4 v[24:27], v[24:25], off
	v_add_u32_e32 v0, s38, v8
	v_lshl_add_u64 v[28:29], v[0:1], 1, s[16:17]
	global_load_dwordx4 v[28:31], v[28:29], off
	s_add_i32 s38, s38, s41
	s_cmp_ge_u32 s38, s40
	s_cselect_b64 s[54:55], -1, 0
	s_andn2_b64 s[34:35], s[34:35], exec
	s_and_b64 s[54:55], s[54:55], exec
	v_add_u32_e32 v0, s53, v11
	v_add_u32_e32 v32, s52, v11
	;; [unrolled: 1-line block ×4, first 2 shown]
	s_or_b64 s[34:35], s[34:35], s[54:55]
	s_waitcnt vmcnt(4)
	ds_write_b128 v11, v[12:15]
	v_add_u32_e32 v11, s50, v11
	s_waitcnt vmcnt(3)
	ds_write2_b64 v0, v[16:17], v[18:19] offset1:1
	s_waitcnt vmcnt(2)
	ds_write2_b32 v32, v20, v21 offset1:1
	ds_write2_b32 v32, v22, v23 offset0:2 offset1:3
	s_waitcnt vmcnt(1)
	ds_write2_b64 v33, v[24:25], v[26:27] offset1:1
	s_waitcnt vmcnt(0)
	ds_write2_b64 v34, v[28:29], v[30:31] offset1:1
	s_branch .LBB157_21
.LBB157_24:                             ;   in Loop: Header=BB157_17 Depth=2
	s_or_b64 exec, exec, s[10:11]
.LBB157_25:                             ;   in Loop: Header=BB157_17 Depth=2
	s_waitcnt lgkmcnt(0)
	s_barrier
	s_and_saveexec_b64 s[8:9], s[6:7]
	s_cbranch_execz .LBB157_16
.LBB157_26:                             ;   in Loop: Header=BB157_17 Depth=2
	v_add_u32_e32 v115, s37, v81
	v_min_u32_e32 v0, s42, v115
	v_lshl_add_u64 v[6:7], v[0:1], 1, s[14:15]
	v_lshl_add_u64 v[8:9], v[6:7], 0, v[84:85]
	v_add_u32_e32 v116, 0x200, v115
	v_lshl_add_u64 v[10:11], v[6:7], 0, v[86:87]
	global_load_dwordx4 v[54:57], v[8:9], off nt
	global_load_dwordx4 v[50:53], v[10:11], off nt
	v_lshl_add_u64 v[8:9], v[6:7], 0, v[88:89]
	v_lshl_add_u64 v[6:7], v[6:7], 0, v[90:91]
	v_min_u32_e32 v0, s42, v116
	global_load_dwordx4 v[46:49], v[8:9], off nt
	global_load_dwordx4 v[38:41], v[6:7], off nt
	v_lshl_add_u64 v[6:7], v[0:1], 1, s[14:15]
	v_lshl_add_u64 v[8:9], v[6:7], 0, v[84:85]
	;; [unrolled: 1-line block ×3, first 2 shown]
	global_load_dwordx4 v[18:21], v[8:9], off nt
	global_load_dwordx4 v[14:17], v[10:11], off nt
	v_lshl_add_u64 v[8:9], v[6:7], 0, v[88:89]
	v_lshl_add_u64 v[6:7], v[6:7], 0, v[90:91]
	global_load_dwordx4 v[10:13], v[8:9], off nt
	s_nop 0
	global_load_dwordx4 v[6:9], v[6:7], off nt
	v_cmp_gt_u32_e32 vcc, s20, v115
	v_mov_b32_e32 v74, 0
	v_mov_b32_e32 v75, 0
	;; [unrolled: 1-line block ×8, first 2 shown]
	s_waitcnt vmcnt(26)
	v_mov_b32_e32 v66, 0
	v_mov_b32_e32 v67, 0
	;; [unrolled: 1-line block ×4, first 2 shown]
	s_waitcnt vmcnt(22)
	v_mov_b32_e32 v62, 0
	v_mov_b32_e32 v63, 0
	;; [unrolled: 1-line block ×4, first 2 shown]
	s_waitcnt vmcnt(20)
	v_mov_b32_e32 v58, 0
	s_waitcnt vmcnt(18)
	v_mov_b32_e32 v59, 0
	v_mov_b32_e32 v60, 0
	v_mov_b32_e32 v61, 0
	v_mov_b32_e32 v42, 0
	v_mov_b32_e32 v43, 0
	v_mov_b32_e32 v44, 0
	v_mov_b32_e32 v45, 0
	v_mov_b32_e32 v34, 0
	v_mov_b32_e32 v35, 0
	v_mov_b32_e32 v36, 0
	v_mov_b32_e32 v37, 0
	v_mov_b32_e32 v30, 0
	v_mov_b32_e32 v31, 0
	v_mov_b32_e32 v32, 0
	v_mov_b32_e32 v33, 0
	v_mov_b32_e32 v26, 0
	v_mov_b32_e32 v27, 0
	v_mov_b32_e32 v28, 0
	v_mov_b32_e32 v29, 0
	v_mov_b32_e32 v22, 0
	v_mov_b32_e32 v23, 0
	v_mov_b32_e32 v24, 0
	v_mov_b32_e32 v25, 0
	s_and_saveexec_b64 s[10:11], vcc
	s_cbranch_execz .LBB157_15
; %bb.27:                               ;   in Loop: Header=BB157_17 Depth=2
	v_subrev_u32_e32 v0, s36, v115
	v_lshlrev_b32_e32 v119, 1, v0
	v_add_u32_e32 v118, s53, v119
	v_add_u32_e32 v117, s53, v118
	;; [unrolled: 1-line block ×4, first 2 shown]
	ds_read_b128 v[74:77], v119
	ds_read_b128 v[70:73], v118
	;; [unrolled: 1-line block ×5, first 2 shown]
	v_cmp_gt_u32_e32 vcc, s20, v116
	v_mov_b32_e32 v25, 0
	v_mov_b32_e32 v24, 0
	;; [unrolled: 1-line block ×20, first 2 shown]
	s_and_saveexec_b64 s[34:35], vcc
	s_cbranch_execz .LBB157_14
; %bb.28:                               ;   in Loop: Header=BB157_17 Depth=2
	ds_read_b128 v[42:45], v119 offset:1024
	ds_read_b128 v[34:37], v118 offset:1024
	;; [unrolled: 1-line block ×4, first 2 shown]
	ds_read2_b64 v[22:25], v0 offset0:128 offset1:129
	s_branch .LBB157_14
.LBB157_29:                             ;   in Loop: Header=BB157_12 Depth=1
	v_cmp_le_u32_e32 vcc, s23, v78
	s_and_saveexec_b64 s[6:7], vcc
	s_xor_b64 s[6:7], exec, s[6:7]
; %bb.30:                               ;   in Loop: Header=BB157_12 Depth=1
	v_add_u32_e32 v78, s44, v78
                                        ; implicit-def: $vgpr114
                                        ; implicit-def: $vgpr113
                                        ; implicit-def: $vgpr112
                                        ; implicit-def: $vgpr111
                                        ; implicit-def: $vgpr110
                                        ; implicit-def: $vgpr109
                                        ; implicit-def: $vgpr108
                                        ; implicit-def: $vgpr107
                                        ; implicit-def: $vgpr79
                                        ; implicit-def: $vgpr96
                                        ; implicit-def: $vgpr97
                                        ; implicit-def: $vgpr98
                                        ; implicit-def: $vgpr99
                                        ; implicit-def: $vgpr100
                                        ; implicit-def: $vgpr101
                                        ; implicit-def: $vgpr102
                                        ; implicit-def: $vgpr103
                                        ; implicit-def: $vgpr104
                                        ; implicit-def: $vgpr105
                                        ; implicit-def: $vgpr106
; %bb.31:                               ;   in Loop: Header=BB157_12 Depth=1
	s_andn2_saveexec_b64 s[34:35], s[6:7]
	s_cbranch_execz .LBB157_11
; %bb.32:                               ;   in Loop: Header=BB157_12 Depth=1
	v_cvt_i32_f32_e32 v0, v114
	v_cvt_i32_f32_e32 v6, v113
	;; [unrolled: 1-line block ×4, first 2 shown]
	v_cvt_f32_i32_dpp v0, v0 row_shr:8 row_mask:0xf bank_mask:0xf bound_ctrl:1
	v_cvt_f32_i32_dpp v6, v6 row_shr:8 row_mask:0xf bank_mask:0xf bound_ctrl:1
	;; [unrolled: 1-line block ×4, first 2 shown]
	v_add_f32_e32 v0, v114, v0
	v_cvt_i32_f32_e32 v9, v0
	v_add_f32_e32 v6, v113, v6
	v_cvt_i32_f32_e32 v10, v6
	v_add_f32_e32 v7, v112, v7
	v_cvt_f32_i32_dpp v9, v9 row_shr:4 row_mask:0xf bank_mask:0xf bound_ctrl:1
	v_cvt_i32_f32_e32 v11, v7
	v_cvt_f32_i32_dpp v10, v10 row_shr:4 row_mask:0xf bank_mask:0xf bound_ctrl:1
	v_add_f32_e32 v8, v111, v8
	v_add_f32_e32 v0, v0, v9
	v_cvt_i32_f32_e32 v9, v0
	v_add_f32_e32 v6, v6, v10
	v_cvt_i32_f32_e32 v10, v6
	v_cvt_f32_i32_dpp v11, v11 row_shr:4 row_mask:0xf bank_mask:0xf bound_ctrl:1
	v_cvt_f32_i32_dpp v9, v9 row_shr:2 row_mask:0xf bank_mask:0xf bound_ctrl:1
	v_cvt_i32_f32_e32 v12, v8
	v_cvt_f32_i32_dpp v10, v10 row_shr:2 row_mask:0xf bank_mask:0xf bound_ctrl:1
	v_add_f32_e32 v7, v7, v11
	v_add_f32_e32 v0, v0, v9
	v_cvt_i32_f32_e32 v9, v0
	v_add_f32_e32 v6, v6, v10
	v_cvt_i32_f32_e32 v10, v6
	v_cvt_i32_f32_e32 v11, v7
	v_cvt_f32_i32_dpp v9, v9 row_shr:1 row_mask:0xf bank_mask:0xf bound_ctrl:1
	v_cvt_f32_i32_dpp v12, v12 row_shr:4 row_mask:0xf bank_mask:0xf bound_ctrl:1
	;; [unrolled: 1-line block ×4, first 2 shown]
	v_add_f32_e32 v0, v0, v9
	v_cvt_i32_f32_e32 v9, v0
	v_add_f32_e32 v6, v6, v10
	v_cvt_i32_f32_e32 v10, v6
	v_add_f32_e32 v11, v7, v11
	v_cvt_f32_i32_dpp v9, v9 row_bcast:15 row_mask:0xf bank_mask:0xf bound_ctrl:1
	v_cvt_i32_f32_e32 v7, v11
	v_add_f32_e32 v8, v8, v12
	v_cvt_f32_i32_dpp v12, v10 row_bcast:15 row_mask:0xf bank_mask:0xf bound_ctrl:1
	v_add_f32_e32 v10, v0, v9
	v_cvt_i32_f32_e32 v0, v10
	v_cvt_f32_i32_dpp v9, v7 row_shr:1 row_mask:0xf bank_mask:0xf bound_ctrl:1
	v_add_f32_e32 v7, v6, v12
	v_cvt_i32_f32_e32 v6, v7
	v_mov_b32_dpp v13, v0 row_bcast:31 row_mask:0xf bank_mask:0xf bound_ctrl:1
	v_cvt_i32_f32_e32 v0, v8
	v_add_f32_e32 v9, v11, v9
	v_cvt_i32_f32_e32 v11, v110
	v_mov_b32_dpp v12, v6 row_bcast:31 row_mask:0xf bank_mask:0xf bound_ctrl:1
	v_cvt_f32_i32_dpp v0, v0 row_shr:2 row_mask:0xf bank_mask:0xf bound_ctrl:1
	v_cvt_i32_f32_e32 v14, v9
	v_cvt_f32_i32_dpp v6, v11 row_shr:8 row_mask:0xf bank_mask:0xf bound_ctrl:1
	v_add_f32_e32 v0, v8, v0
	v_cvt_f32_i32_dpp v11, v14 row_bcast:15 row_mask:0xf bank_mask:0xf bound_ctrl:1
	v_add_f32_e32 v6, v110, v6
	v_cvt_i32_f32_e32 v8, v0
	v_cvt_i32_f32_e32 v14, v6
	v_add_f32_e32 v9, v9, v11
	v_cvt_i32_f32_e32 v11, v109
	v_cvt_f32_i32_dpp v8, v8 row_shr:1 row_mask:0xf bank_mask:0xf bound_ctrl:1
	v_cvt_f32_i32_dpp v14, v14 row_shr:4 row_mask:0xf bank_mask:0xf bound_ctrl:1
	v_cvt_i32_f32_e32 v15, v9
	v_add_f32_e32 v0, v0, v8
	v_cvt_f32_i32_dpp v8, v11 row_shr:8 row_mask:0xf bank_mask:0xf bound_ctrl:1
	v_add_f32_e32 v6, v6, v14
	v_cvt_i32_f32_e32 v11, v6
	v_cvt_i32_f32_e32 v14, v0
	v_add_f32_e32 v8, v109, v8
	v_cvt_i32_f32_e32 v16, v8
	v_cvt_f32_i32_dpp v11, v11 row_shr:2 row_mask:0xf bank_mask:0xf bound_ctrl:1
	v_cvt_f32_i32_dpp v14, v14 row_bcast:15 row_mask:0xf bank_mask:0xf bound_ctrl:1
	v_mov_b32_dpp v15, v15 row_bcast:31 row_mask:0xf bank_mask:0xf bound_ctrl:1
	v_cvt_f32_i32_dpp v16, v16 row_shr:4 row_mask:0xf bank_mask:0xf bound_ctrl:1
	v_add_f32_e32 v6, v6, v11
	v_cvt_i32_f32_e32 v17, v6
	v_add_f32_e32 v11, v0, v14
	v_add_f32_e32 v0, v8, v16
	v_cvt_i32_f32_e32 v8, v0
	v_cvt_f32_i32_dpp v14, v17 row_shr:1 row_mask:0xf bank_mask:0xf bound_ctrl:1
	v_cvt_i32_f32_e32 v16, v108
	v_cvt_i32_f32_e32 v17, v11
	v_cvt_f32_i32_dpp v8, v8 row_shr:2 row_mask:0xf bank_mask:0xf bound_ctrl:1
	v_add_f32_e32 v6, v6, v14
	v_cvt_f32_i32_dpp v14, v16 row_shr:8 row_mask:0xf bank_mask:0xf bound_ctrl:1
	v_cvt_i32_f32_e32 v16, v6
	v_add_f32_e32 v0, v0, v8
	v_cvt_i32_f32_e32 v8, v0
	v_add_f32_e32 v19, v108, v14
	v_cvt_i32_f32_e32 v14, v19
	v_cvt_f32_i32_dpp v16, v16 row_bcast:15 row_mask:0xf bank_mask:0xf bound_ctrl:1
	v_cvt_f32_i32_dpp v8, v8 row_shr:1 row_mask:0xf bank_mask:0xf bound_ctrl:1
	v_mov_b32_dpp v18, v17 row_bcast:31 row_mask:0xf bank_mask:0xf bound_ctrl:1
	v_cvt_f32_i32_dpp v17, v14 row_shr:4 row_mask:0xf bank_mask:0xf bound_ctrl:1
	v_add_f32_e32 v14, v6, v16
	v_cvt_i32_f32_e32 v6, v107
	v_add_f32_e32 v0, v0, v8
	v_add_f32_e32 v8, v19, v17
	v_cvt_i32_f32_e32 v16, v8
	v_cvt_f32_i32_dpp v6, v6 row_shr:8 row_mask:0xf bank_mask:0xf bound_ctrl:1
	v_cvt_i32_f32_e32 v17, v0
	v_cvt_i32_f32_e32 v19, v14
	v_cvt_f32_i32_dpp v16, v16 row_shr:2 row_mask:0xf bank_mask:0xf bound_ctrl:1
	v_add_f32_e32 v6, v107, v6
	v_cvt_i32_f32_e32 v20, v6
	v_cvt_f32_i32_dpp v17, v17 row_bcast:15 row_mask:0xf bank_mask:0xf bound_ctrl:1
	v_add_f32_e32 v8, v8, v16
	v_cvt_i32_f32_e32 v21, v8
	v_cvt_f32_i32_dpp v20, v20 row_shr:4 row_mask:0xf bank_mask:0xf bound_ctrl:1
	v_add_f32_e32 v16, v0, v17
	v_cvt_i32_f32_e32 v17, v16
	v_cvt_f32_i32_dpp v0, v21 row_shr:1 row_mask:0xf bank_mask:0xf bound_ctrl:1
	v_add_f32_e32 v6, v6, v20
	v_cvt_i32_f32_e32 v20, v6
	v_mov_b32_dpp v21, v17 row_bcast:31 row_mask:0xf bank_mask:0xf bound_ctrl:1
	v_add_f32_e32 v0, v8, v0
	v_cvt_i32_f32_e32 v8, v106
	v_cvt_f32_i32_dpp v20, v20 row_shr:2 row_mask:0xf bank_mask:0xf bound_ctrl:1
	v_cvt_i32_f32_e32 v22, v0
	v_mov_b32_dpp v19, v19 row_bcast:31 row_mask:0xf bank_mask:0xf bound_ctrl:1
	v_cvt_f32_i32_dpp v8, v8 row_shr:8 row_mask:0xf bank_mask:0xf bound_ctrl:1
	v_add_f32_e32 v6, v6, v20
	v_cvt_f32_i32_dpp v17, v22 row_bcast:15 row_mask:0xf bank_mask:0xf bound_ctrl:1
	v_cvt_i32_f32_e32 v20, v6
	v_add_f32_e32 v8, v106, v8
	v_cvt_i32_f32_e32 v22, v8
	v_add_f32_e32 v17, v0, v17
	v_cvt_f32_i32_dpp v0, v20 row_shr:1 row_mask:0xf bank_mask:0xf bound_ctrl:1
	v_cvt_i32_f32_e32 v20, v105
	v_cvt_f32_i32_dpp v22, v22 row_shr:4 row_mask:0xf bank_mask:0xf bound_ctrl:1
	v_cvt_i32_f32_e32 v23, v17
	v_add_f32_e32 v0, v6, v0
	v_cvt_f32_i32_dpp v6, v20 row_shr:8 row_mask:0xf bank_mask:0xf bound_ctrl:1
	v_add_f32_e32 v8, v8, v22
	v_cvt_i32_f32_e32 v20, v8
	v_cvt_i32_f32_e32 v22, v0
	v_add_f32_e32 v6, v105, v6
	v_cvt_i32_f32_e32 v24, v6
	v_cvt_f32_i32_dpp v20, v20 row_shr:2 row_mask:0xf bank_mask:0xf bound_ctrl:1
	v_cvt_f32_i32_dpp v22, v22 row_bcast:15 row_mask:0xf bank_mask:0xf bound_ctrl:1
	v_mov_b32_dpp v23, v23 row_bcast:31 row_mask:0xf bank_mask:0xf bound_ctrl:1
	v_cvt_f32_i32_dpp v24, v24 row_shr:4 row_mask:0xf bank_mask:0xf bound_ctrl:1
	v_add_f32_e32 v8, v8, v20
	v_add_f32_e32 v20, v0, v22
	v_cvt_i32_f32_e32 v25, v8
	v_add_f32_e32 v0, v6, v24
	v_cvt_i32_f32_e32 v6, v0
	v_cvt_i32_f32_e32 v24, v104
	v_cvt_f32_i32_dpp v22, v25 row_shr:1 row_mask:0xf bank_mask:0xf bound_ctrl:1
	v_cvt_i32_f32_e32 v25, v20
	v_cvt_f32_i32_dpp v6, v6 row_shr:2 row_mask:0xf bank_mask:0xf bound_ctrl:1
	v_add_f32_e32 v8, v8, v22
	v_cvt_f32_i32_dpp v22, v24 row_shr:8 row_mask:0xf bank_mask:0xf bound_ctrl:1
	v_add_f32_e32 v0, v0, v6
	v_cvt_i32_f32_e32 v6, v0
	v_cvt_i32_f32_e32 v24, v8
	v_add_f32_e32 v26, v104, v22
	v_cvt_i32_f32_e32 v22, v26
	v_cvt_f32_i32_dpp v6, v6 row_shr:1 row_mask:0xf bank_mask:0xf bound_ctrl:1
	v_cvt_f32_i32_dpp v24, v24 row_bcast:15 row_mask:0xf bank_mask:0xf bound_ctrl:1
	v_mov_b32_dpp v25, v25 row_bcast:31 row_mask:0xf bank_mask:0xf bound_ctrl:1
	v_cvt_f32_i32_dpp v27, v22 row_shr:4 row_mask:0xf bank_mask:0xf bound_ctrl:1
	v_add_f32_e32 v0, v0, v6
	v_cvt_i32_f32_e32 v6, v103
	v_add_f32_e32 v22, v8, v24
	v_add_f32_e32 v8, v26, v27
	v_cvt_i32_f32_e32 v24, v8
	v_cvt_f32_i32_dpp v6, v6 row_shr:8 row_mask:0xf bank_mask:0xf bound_ctrl:1
	v_cvt_i32_f32_e32 v26, v0
	v_cvt_i32_f32_e32 v27, v22
	v_cvt_f32_i32_dpp v24, v24 row_shr:2 row_mask:0xf bank_mask:0xf bound_ctrl:1
	v_add_f32_e32 v6, v103, v6
	v_cvt_i32_f32_e32 v29, v6
	v_cvt_f32_i32_dpp v26, v26 row_bcast:15 row_mask:0xf bank_mask:0xf bound_ctrl:1
	v_add_f32_e32 v8, v8, v24
	v_mov_b32_dpp v28, v27 row_bcast:31 row_mask:0xf bank_mask:0xf bound_ctrl:1
	v_cvt_f32_i32_dpp v27, v29 row_shr:4 row_mask:0xf bank_mask:0xf bound_ctrl:1
	v_cvt_i32_f32_e32 v30, v8
	v_add_f32_e32 v24, v0, v26
	v_cvt_i32_f32_e32 v26, v102
	v_add_f32_e32 v6, v6, v27
	v_cvt_f32_i32_dpp v0, v30 row_shr:1 row_mask:0xf bank_mask:0xf bound_ctrl:1
	v_cvt_i32_f32_e32 v27, v6
	v_cvt_f32_i32_dpp v26, v26 row_shr:8 row_mask:0xf bank_mask:0xf bound_ctrl:1
	v_cvt_i32_f32_e32 v29, v24
	v_add_f32_e32 v0, v8, v0
	v_cvt_f32_i32_dpp v8, v27 row_shr:2 row_mask:0xf bank_mask:0xf bound_ctrl:1
	v_add_f32_e32 v30, v102, v26
	v_cvt_i32_f32_e32 v27, v0
	v_cvt_i32_f32_e32 v26, v30
	v_add_f32_e32 v6, v6, v8
	v_cvt_i32_f32_e32 v8, v6
	v_cvt_f32_i32_dpp v27, v27 row_bcast:15 row_mask:0xf bank_mask:0xf bound_ctrl:1
	v_cvt_f32_i32_dpp v31, v26 row_shr:4 row_mask:0xf bank_mask:0xf bound_ctrl:1
	v_mov_b32_dpp v29, v29 row_bcast:31 row_mask:0xf bank_mask:0xf bound_ctrl:1
	v_cvt_f32_i32_dpp v8, v8 row_shr:1 row_mask:0xf bank_mask:0xf bound_ctrl:1
	v_add_f32_e32 v26, v0, v27
	v_add_f32_e32 v0, v30, v31
	v_cvt_i32_f32_e32 v27, v0
	v_add_f32_e32 v6, v6, v8
	v_cvt_i32_f32_e32 v8, v101
	v_cvt_i32_f32_e32 v30, v6
	v_cvt_f32_i32_dpp v27, v27 row_shr:2 row_mask:0xf bank_mask:0xf bound_ctrl:1
	v_cvt_i32_f32_e32 v31, v26
	v_cvt_f32_i32_dpp v8, v8 row_shr:8 row_mask:0xf bank_mask:0xf bound_ctrl:1
	v_cvt_f32_i32_dpp v32, v30 row_bcast:15 row_mask:0xf bank_mask:0xf bound_ctrl:1
	v_add_f32_e32 v0, v0, v27
	v_cvt_i32_f32_e32 v27, v0
	v_add_f32_e32 v8, v101, v8
	v_cvt_i32_f32_e32 v33, v8
	v_mov_b32_dpp v30, v31 row_bcast:31 row_mask:0xf bank_mask:0xf bound_ctrl:1
	v_cvt_f32_i32_dpp v31, v27 row_shr:1 row_mask:0xf bank_mask:0xf bound_ctrl:1
	v_add_f32_e32 v27, v6, v32
	v_cvt_f32_i32_dpp v6, v33 row_shr:4 row_mask:0xf bank_mask:0xf bound_ctrl:1
	v_cvt_i32_f32_e32 v32, v27
	v_add_f32_e32 v0, v0, v31
	v_cvt_i32_f32_e32 v31, v100
	v_add_f32_e32 v6, v8, v6
	v_cvt_i32_f32_e32 v8, v6
	v_cvt_i32_f32_e32 v33, v0
	v_cvt_f32_i32_dpp v31, v31 row_shr:8 row_mask:0xf bank_mask:0xf bound_ctrl:1
	v_mov_b32_dpp v32, v32 row_bcast:31 row_mask:0xf bank_mask:0xf bound_ctrl:1
	v_cvt_f32_i32_dpp v8, v8 row_shr:2 row_mask:0xf bank_mask:0xf bound_ctrl:1
	v_cvt_f32_i32_dpp v33, v33 row_bcast:15 row_mask:0xf bank_mask:0xf bound_ctrl:1
	v_add_f32_e32 v34, v100, v31
	v_cvt_i32_f32_e32 v31, v34
	v_add_f32_e32 v6, v6, v8
	v_cvt_i32_f32_e32 v8, v99
	v_cvt_i32_f32_e32 v35, v6
	v_cvt_f32_i32_dpp v36, v31 row_shr:4 row_mask:0xf bank_mask:0xf bound_ctrl:1
	v_add_f32_e32 v31, v0, v33
	v_cvt_f32_i32_dpp v0, v8 row_shr:8 row_mask:0xf bank_mask:0xf bound_ctrl:1
	v_cvt_f32_i32_dpp v8, v35 row_shr:1 row_mask:0xf bank_mask:0xf bound_ctrl:1
	v_add_f32_e32 v33, v34, v36
	v_cvt_i32_f32_e32 v34, v33
	v_add_f32_e32 v0, v99, v0
	v_cvt_i32_f32_e32 v35, v0
	v_add_f32_e32 v6, v6, v8
	v_cvt_f32_i32_dpp v34, v34 row_shr:2 row_mask:0xf bank_mask:0xf bound_ctrl:1
	v_cvt_i32_f32_e32 v36, v31
	v_cvt_f32_i32_dpp v8, v35 row_shr:4 row_mask:0xf bank_mask:0xf bound_ctrl:1
	v_cvt_i32_f32_e32 v35, v6
	v_add_f32_e32 v34, v33, v34
	v_cvt_i32_f32_e32 v33, v34
	v_add_f32_e32 v0, v0, v8
	v_cvt_i32_f32_e32 v8, v0
	v_cvt_f32_i32_dpp v35, v35 row_bcast:15 row_mask:0xf bank_mask:0xf bound_ctrl:1
	v_cvt_f32_i32_dpp v37, v33 row_shr:1 row_mask:0xf bank_mask:0xf bound_ctrl:1
	v_mov_b32_dpp v38, v36 row_bcast:31 row_mask:0xf bank_mask:0xf bound_ctrl:1
	v_cvt_f32_i32_dpp v8, v8 row_shr:2 row_mask:0xf bank_mask:0xf bound_ctrl:1
	v_add_f32_e32 v33, v6, v35
	v_add_f32_e32 v6, v34, v37
	v_cvt_i32_f32_e32 v34, v98
	v_add_f32_e32 v0, v0, v8
	v_cvt_i32_f32_e32 v8, v0
	v_cvt_i32_f32_e32 v35, v6
	v_cvt_f32_i32_dpp v34, v34 row_shr:8 row_mask:0xf bank_mask:0xf bound_ctrl:1
	v_cvt_i32_f32_e32 v36, v33
	v_cvt_f32_i32_dpp v8, v8 row_shr:1 row_mask:0xf bank_mask:0xf bound_ctrl:1
	v_cvt_f32_i32_dpp v35, v35 row_bcast:15 row_mask:0xf bank_mask:0xf bound_ctrl:1
	v_add_f32_e32 v37, v98, v34
	v_cvt_i32_f32_e32 v34, v37
	v_add_f32_e32 v0, v0, v8
	v_cvt_i32_f32_e32 v8, v0
	v_mov_b32_dpp v40, v36 row_bcast:31 row_mask:0xf bank_mask:0xf bound_ctrl:1
	v_cvt_f32_i32_dpp v36, v34 row_shr:4 row_mask:0xf bank_mask:0xf bound_ctrl:1
	v_add_f32_e32 v34, v6, v35
	v_cvt_f32_i32_dpp v6, v8 row_bcast:15 row_mask:0xf bank_mask:0xf bound_ctrl:1
	v_cvt_i32_f32_e32 v8, v97
	v_add_f32_e32 v36, v37, v36
	v_cvt_i32_f32_e32 v37, v36
	v_add_f32_e32 v35, v0, v6
	v_cvt_f32_i32_dpp v8, v8 row_shr:8 row_mask:0xf bank_mask:0xf bound_ctrl:1
	v_cvt_i32_f32_e32 v39, v34
	v_cvt_f32_i32_dpp v0, v37 row_shr:2 row_mask:0xf bank_mask:0xf bound_ctrl:1
	v_cvt_i32_f32_e32 v6, v35
	v_add_f32_e32 v8, v97, v8
	v_cvt_i32_f32_e32 v37, v8
	v_add_f32_e32 v0, v36, v0
	v_cvt_i32_f32_e32 v36, v0
	v_mov_b32_dpp v42, v39 row_bcast:31 row_mask:0xf bank_mask:0xf bound_ctrl:1
	v_cvt_f32_i32_dpp v39, v37 row_shr:4 row_mask:0xf bank_mask:0xf bound_ctrl:1
	v_mov_b32_dpp v37, v6 row_bcast:31 row_mask:0xf bank_mask:0xf bound_ctrl:1
	v_cvt_f32_i32_dpp v6, v36 row_shr:1 row_mask:0xf bank_mask:0xf bound_ctrl:1
	v_cvt_i32_f32_e32 v36, v96
	v_add_f32_e32 v8, v8, v39
	v_cvt_i32_f32_e32 v39, v79
	v_add_f32_e32 v0, v0, v6
	v_cvt_f32_i32_dpp v36, v36 row_shr:8 row_mask:0xf bank_mask:0xf bound_ctrl:1
	v_cvt_i32_f32_e32 v41, v8
	v_cvt_f32_i32_dpp v6, v39 row_shr:8 row_mask:0xf bank_mask:0xf bound_ctrl:1
	v_cvt_i32_f32_e32 v44, v0
	v_add_f32_e32 v36, v96, v36
	v_cvt_f32_i32_dpp v39, v41 row_shr:2 row_mask:0xf bank_mask:0xf bound_ctrl:1
	v_add_f32_e32 v6, v79, v6
	v_cvt_i32_f32_e32 v41, v36
	v_cvt_i32_f32_e32 v43, v6
	v_add_f32_e32 v8, v8, v39
	v_cvt_f32_i32_dpp v44, v44 row_bcast:15 row_mask:0xf bank_mask:0xf bound_ctrl:1
	v_cvt_f32_i32_dpp v41, v41 row_shr:4 row_mask:0xf bank_mask:0xf bound_ctrl:1
	v_cvt_f32_i32_dpp v39, v43 row_shr:4 row_mask:0xf bank_mask:0xf bound_ctrl:1
	v_cvt_i32_f32_e32 v43, v8
	v_add_f32_e32 v45, v0, v44
	v_add_f32_e32 v36, v36, v41
	;; [unrolled: 1-line block ×3, first 2 shown]
	v_cvt_i32_f32_e32 v41, v36
	v_cvt_i32_f32_e32 v39, v6
	v_cvt_f32_i32_dpp v43, v43 row_shr:1 row_mask:0xf bank_mask:0xf bound_ctrl:1
	v_cvt_f32_i32_dpp v41, v41 row_shr:2 row_mask:0xf bank_mask:0xf bound_ctrl:1
	;; [unrolled: 1-line block ×3, first 2 shown]
	v_add_f32_e32 v8, v8, v43
	v_cvt_i32_f32_e32 v43, v8
	v_add_f32_e32 v36, v36, v41
	v_add_f32_e32 v6, v6, v39
	v_cvt_i32_f32_e32 v41, v36
	v_cvt_i32_f32_e32 v39, v6
	s_nop 0
	v_cvt_f32_i32_dpp v41, v41 row_shr:1 row_mask:0xf bank_mask:0xf bound_ctrl:1
	v_cvt_f32_i32_dpp v0, v39 row_shr:1 row_mask:0xf bank_mask:0xf bound_ctrl:1
	v_cvt_f32_i32_dpp v39, v43 row_bcast:15 row_mask:0xf bank_mask:0xf bound_ctrl:1
	v_cvt_i32_f32_e32 v43, v45
	v_add_f32_e32 v36, v36, v41
	v_add_f32_e32 v0, v6, v0
	v_cvt_i32_f32_e32 v41, v36
	v_cvt_i32_f32_e32 v6, v0
	v_add_f32_e32 v44, v8, v39
	v_cvt_i32_f32_e32 v8, v44
	v_cvt_f32_i32_dpp v41, v41 row_bcast:15 row_mask:0xf bank_mask:0xf bound_ctrl:1
	v_cvt_f32_i32_dpp v6, v6 row_bcast:15 row_mask:0xf bank_mask:0xf bound_ctrl:1
	v_mov_b32_dpp v47, v43 row_bcast:31 row_mask:0xf bank_mask:0xf bound_ctrl:1
	v_mov_b32_dpp v46, v8 row_bcast:31 row_mask:0xf bank_mask:0xf bound_ctrl:1
	v_add_f32_e32 v41, v36, v41
	v_add_f32_e32 v36, v0, v6
	v_cvt_i32_f32_e32 v39, v41
	v_cvt_i32_f32_e32 v0, v36
	s_nop 0
	v_mov_b32_dpp v43, v39 row_bcast:31 row_mask:0xf bank_mask:0xf bound_ctrl:1
	v_mov_b32_dpp v39, v0 row_bcast:31 row_mask:0xf bank_mask:0xf bound_ctrl:1
	s_and_saveexec_b64 s[36:37], s[0:1]
	s_cbranch_execz .LBB157_56
; %bb.33:                               ;   in Loop: Header=BB157_12 Depth=1
	s_andn2_b64 vcc, exec, s[28:29]
	s_waitcnt vmcnt(19)
	v_mov_b32_e32 v67, 0
	v_add_u32_e32 v8, 2, v78
	v_add_u32_e32 v6, 3, v78
	s_waitcnt vmcnt(18)
	v_mov_b32_e32 v66, 0
	s_waitcnt vmcnt(17)
	v_mov_b32_e32 v65, 0
	;; [unrolled: 2-line block ×19, first 2 shown]
	s_cbranch_vccnz .LBB157_35
; %bb.34:                               ;   in Loop: Header=BB157_12 Depth=1
	v_mul_hi_u32 v0, v78, v92
	v_mul_lo_u32 v0, v0, s12
	v_sub_u32_e32 v0, v78, v0
	v_add_u32_e32 v50, 1, v78
	v_subrev_u32_e32 v48, s12, v0
	v_cmp_le_u32_e32 vcc, s12, v0
	v_mul_hi_u32 v51, v50, v92
	v_mul_lo_u32 v51, v51, s12
	v_cndmask_b32_e32 v0, v0, v48, vcc
	v_subrev_u32_e32 v48, s12, v0
	v_cmp_le_u32_e32 vcc, s12, v0
	v_sub_u32_e32 v50, v50, v51
	v_subrev_u32_e32 v51, s12, v50
	v_cndmask_b32_e32 v0, v0, v48, vcc
	v_cmp_le_u32_e32 vcc, s12, v50
	v_mov_b32_e32 v71, v1
	v_add_u32_e32 v58, s45, v0
	v_cndmask_b32_e32 v50, v50, v51, vcc
	v_subrev_u32_e32 v51, s12, v50
	v_cmp_le_u32_e32 vcc, s12, v50
	v_mov_b32_e32 v59, v1
	v_mov_b32_e32 v61, v1
	v_cndmask_b32_e32 v50, v50, v51, vcc
	v_mov_b32_e32 v51, v1
	v_lshl_add_u64 v[52:53], v[50:51], 1, s[18:19]
	v_mul_hi_u32 v51, v8, v92
	v_mul_lo_u32 v51, v51, s12
	v_sub_u32_e32 v51, v8, v51
	v_subrev_u32_e32 v54, s12, v51
	v_cmp_le_u32_e32 vcc, s12, v51
	v_add_u32_e32 v60, s45, v50
	v_mov_b32_e32 v63, v1
	v_cndmask_b32_e32 v51, v51, v54, vcc
	v_subrev_u32_e32 v54, s12, v51
	v_cmp_le_u32_e32 vcc, s12, v51
	v_lshl_add_u64 v[48:49], v[0:1], 1, s[18:19]
	v_mov_b32_e32 v69, v1
	v_cndmask_b32_e32 v68, v51, v54, vcc
	v_mul_hi_u32 v51, v6, v92
	v_mul_lo_u32 v51, v51, s12
	v_sub_u32_e32 v51, v6, v51
	v_subrev_u32_e32 v56, s12, v51
	v_cmp_le_u32_e32 vcc, s12, v51
	v_add_u32_e32 v62, s45, v68
	v_lshl_add_u64 v[58:59], v[58:59], 1, s[18:19]
	v_cndmask_b32_e32 v51, v51, v56, vcc
	v_subrev_u32_e32 v56, s12, v51
	v_cmp_le_u32_e32 vcc, s12, v51
	v_lshl_add_u64 v[60:61], v[60:61], 1, s[18:19]
	v_lshl_add_u64 v[72:73], v[62:63], 1, s[18:19]
	v_cndmask_b32_e32 v70, v51, v56, vcc
	v_lshl_add_u64 v[56:57], v[70:71], 1, s[18:19]
	v_add_u32_e32 v62, s45, v70
	v_lshl_add_u64 v[54:55], v[68:69], 1, s[18:19]
	v_lshl_add_u64 v[74:75], v[62:63], 1, s[18:19]
	global_load_ushort v67, v[48:49], off
	global_load_ushort v66, v[52:53], off
	;; [unrolled: 1-line block ×6, first 2 shown]
	s_nop 0
	global_load_ushort v60, v[72:73], off
	global_load_ushort v58, v[74:75], off
	v_add_u32_e32 v56, s46, v70
	v_mov_b32_e32 v57, v1
	v_lshl_add_u64 v[72:73], v[56:57], 1, s[18:19]
	v_add_u32_e32 v56, s47, v0
	v_lshl_add_u64 v[74:75], v[56:57], 1, s[18:19]
	v_add_u32_e32 v56, s47, v50
	v_add_u32_e32 v48, s46, v0
	v_mov_b32_e32 v49, v1
	v_add_u32_e32 v52, s46, v50
	v_mov_b32_e32 v53, v1
	;; [unrolled: 2-line block ×3, first 2 shown]
	v_lshl_add_u64 v[76:77], v[56:57], 1, s[18:19]
	v_add_u32_e32 v56, s47, v68
	v_lshl_add_u64 v[48:49], v[48:49], 1, s[18:19]
	v_lshl_add_u64 v[52:53], v[52:53], 1, s[18:19]
	;; [unrolled: 1-line block ×4, first 2 shown]
	v_add_u32_e32 v56, s47, v70
	v_lshl_add_u64 v[86:87], v[56:57], 1, s[18:19]
	global_load_ushort v61, v[48:49], off
	global_load_ushort v59, v[52:53], off
	;; [unrolled: 1-line block ×4, first 2 shown]
	s_nop 0
	global_load_ushort v55, v[74:75], off
	global_load_ushort v54, v[76:77], off
	;; [unrolled: 1-line block ×4, first 2 shown]
	v_add_u32_e32 v0, s48, v0
	v_lshl_add_u64 v[48:49], v[0:1], 1, s[18:19]
	v_add_u32_e32 v0, s48, v50
	v_lshl_add_u64 v[72:73], v[0:1], 1, s[18:19]
	;; [unrolled: 2-line block ×4, first 2 shown]
	global_load_ushort v52, v[48:49], off
	global_load_ushort v50, v[72:73], off
	s_nop 0
	global_load_ushort v49, v[68:69], off
	global_load_ushort v48, v[70:71], off
.LBB157_35:                             ;   in Loop: Header=BB157_12 Depth=1
	v_cmp_ne_u32_e32 vcc, 0, v2
	s_and_saveexec_b64 s[6:7], vcc
	s_cbranch_execnz .LBB157_61
; %bb.36:                               ;   in Loop: Header=BB157_12 Depth=1
	s_or_b64 exec, exec, s[6:7]
	v_cmp_ne_u32_e64 s[6:7], 0, v3
	s_and_saveexec_b64 s[8:9], s[6:7]
	s_cbranch_execnz .LBB157_62
.LBB157_37:                             ;   in Loop: Header=BB157_12 Depth=1
	s_or_b64 exec, exec, s[8:9]
	v_cmp_ne_u32_e64 s[8:9], 0, v4
	s_and_saveexec_b64 s[10:11], s[8:9]
	s_cbranch_execnz .LBB157_63
.LBB157_38:                             ;   in Loop: Header=BB157_12 Depth=1
	s_or_b64 exec, exec, s[10:11]
	v_cmp_ne_u32_e64 s[10:11], 0, v5
	s_and_saveexec_b64 s[38:39], s[10:11]
	s_cbranch_execnz .LBB157_64
.LBB157_39:                             ;   in Loop: Header=BB157_12 Depth=1
	s_or_b64 exec, exec, s[38:39]
	v_add_u32_e32 v0, s23, v78
	s_and_saveexec_b64 s[38:39], vcc
	s_cbranch_execnz .LBB157_65
.LBB157_40:                             ;   in Loop: Header=BB157_12 Depth=1
	s_or_b64 exec, exec, s[38:39]
	s_and_saveexec_b64 s[38:39], s[6:7]
	s_cbranch_execnz .LBB157_66
.LBB157_41:                             ;   in Loop: Header=BB157_12 Depth=1
	s_or_b64 exec, exec, s[38:39]
	s_and_saveexec_b64 s[38:39], s[8:9]
	s_cbranch_execnz .LBB157_67
.LBB157_42:                             ;   in Loop: Header=BB157_12 Depth=1
	s_or_b64 exec, exec, s[38:39]
	s_and_saveexec_b64 s[38:39], s[10:11]
	s_cbranch_execnz .LBB157_68
.LBB157_43:                             ;   in Loop: Header=BB157_12 Depth=1
	s_or_b64 exec, exec, s[38:39]
	v_add_u32_e32 v0, s23, v0
	s_and_saveexec_b64 s[38:39], vcc
	s_cbranch_execnz .LBB157_69
.LBB157_44:                             ;   in Loop: Header=BB157_12 Depth=1
	s_or_b64 exec, exec, s[38:39]
	s_and_saveexec_b64 s[38:39], s[6:7]
	s_cbranch_execnz .LBB157_70
.LBB157_45:                             ;   in Loop: Header=BB157_12 Depth=1
	s_or_b64 exec, exec, s[38:39]
	s_and_saveexec_b64 s[38:39], s[8:9]
	s_cbranch_execnz .LBB157_71
.LBB157_46:                             ;   in Loop: Header=BB157_12 Depth=1
	s_or_b64 exec, exec, s[38:39]
	s_and_saveexec_b64 s[38:39], s[10:11]
	s_cbranch_execnz .LBB157_72
.LBB157_47:                             ;   in Loop: Header=BB157_12 Depth=1
	s_or_b64 exec, exec, s[38:39]
	v_add_u32_e32 v0, s23, v0
	s_and_saveexec_b64 s[38:39], vcc
	s_cbranch_execnz .LBB157_73
.LBB157_48:                             ;   in Loop: Header=BB157_12 Depth=1
	s_or_b64 exec, exec, s[38:39]
	s_and_saveexec_b64 s[38:39], s[6:7]
	s_cbranch_execnz .LBB157_74
.LBB157_49:                             ;   in Loop: Header=BB157_12 Depth=1
	s_or_b64 exec, exec, s[38:39]
	s_and_saveexec_b64 s[38:39], s[8:9]
	s_cbranch_execnz .LBB157_75
.LBB157_50:                             ;   in Loop: Header=BB157_12 Depth=1
	s_or_b64 exec, exec, s[38:39]
	s_and_saveexec_b64 s[38:39], s[10:11]
	s_cbranch_execnz .LBB157_76
.LBB157_51:                             ;   in Loop: Header=BB157_12 Depth=1
	s_or_b64 exec, exec, s[38:39]
	v_add_u32_e32 v0, s23, v0
	s_and_saveexec_b64 s[38:39], vcc
	s_cbranch_execnz .LBB157_77
.LBB157_52:                             ;   in Loop: Header=BB157_12 Depth=1
	s_or_b64 exec, exec, s[38:39]
	s_and_saveexec_b64 s[38:39], s[6:7]
	s_cbranch_execnz .LBB157_78
.LBB157_53:                             ;   in Loop: Header=BB157_12 Depth=1
	s_or_b64 exec, exec, s[38:39]
	s_and_saveexec_b64 s[6:7], s[8:9]
	s_cbranch_execnz .LBB157_79
.LBB157_54:                             ;   in Loop: Header=BB157_12 Depth=1
	s_or_b64 exec, exec, s[6:7]
	s_and_b64 exec, exec, s[10:11]
	s_cbranch_execz .LBB157_56
.LBB157_55:                             ;   in Loop: Header=BB157_12 Depth=1
	v_cvt_f32_i32_e32 v6, v39
	s_waitcnt vmcnt(0)
	v_cvt_f32_f16_e32 v7, v48
	v_add_u32_e32 v0, 3, v0
	v_add_f32_e32 v6, v36, v6
	v_add_f32_e32 v6, v6, v7
	v_cvt_f16_f32_e32 v8, v6
	v_lshl_add_u64 v[6:7], v[0:1], 1, s[24:25]
	global_store_short v[6:7], v8, off
.LBB157_56:                             ;   in Loop: Header=BB157_12 Depth=1
	s_or_b64 exec, exec, s[36:37]
	v_add_u32_e32 v78, s44, v78
	v_add_u32_e32 v0, 4, v78
	v_cmp_gt_u32_e32 vcc, s23, v78
	v_cmp_le_u32_e64 s[6:7], s23, v0
	s_and_b64 s[6:7], vcc, s[6:7]
	s_and_saveexec_b64 s[8:9], s[6:7]
	s_cbranch_execz .LBB157_10
; %bb.57:                               ;   in Loop: Header=BB157_12 Depth=1
	v_cmp_ne_u32_e32 vcc, s13, v78
	s_and_saveexec_b64 s[10:11], vcc
	s_cbranch_execz .LBB157_9
; %bb.58:                               ;   in Loop: Header=BB157_12 Depth=1
	v_subrev_u32_e32 v0, s13, v78
	v_cmp_lt_u32_e32 vcc, 1, v0
	s_mov_b64 s[36:37], 0
	s_mov_b64 s[38:39], 0
	v_cndmask_b32_e32 v0, 1, v0, vcc
.LBB157_59:                             ;   Parent Loop BB157_12 Depth=1
                                        ; =>  This Inner Loop Header: Depth=2
	s_cmp_lg_u32 s38, 3
	s_cselect_b64 vcc, -1, 0
	s_cmp_lg_u32 s38, 2
	v_cndmask_b32_e32 v5, 0, v5, vcc
	s_cselect_b64 vcc, -1, 0
	s_cmp_lg_u32 s38, 1
	v_cndmask_b32_e32 v4, 0, v4, vcc
	;; [unrolled: 3-line block ×3, first 2 shown]
	s_cselect_b64 vcc, -1, 0
	s_add_u32 s38, s38, 1
	s_addc_u32 s39, s39, 0
	v_cmp_eq_u32_e64 s[6:7], s38, v0
	s_or_b64 s[36:37], s[6:7], s[36:37]
	v_cndmask_b32_e32 v2, 0, v2, vcc
	s_andn2_b64 exec, exec, s[36:37]
	s_cbranch_execnz .LBB157_59
; %bb.60:                               ;   in Loop: Header=BB157_12 Depth=1
	s_or_b64 exec, exec, s[36:37]
	s_branch .LBB157_9
.LBB157_61:                             ;   in Loop: Header=BB157_12 Depth=1
	v_cvt_f32_i32_e32 v0, v13
	s_waitcnt vmcnt(19)
	v_cvt_f32_f16_e32 v13, v67
	v_mov_b32_e32 v79, v1
	v_lshl_add_u64 v[68:69], v[78:79], 1, s[24:25]
	v_add_f32_e32 v0, v10, v0
	v_add_f32_e32 v0, v0, v13
	v_cvt_f16_f32_e32 v0, v0
	global_store_short v[68:69], v0, off
	s_or_b64 exec, exec, s[6:7]
	v_cmp_ne_u32_e64 s[6:7], 0, v3
	s_and_saveexec_b64 s[8:9], s[6:7]
	s_cbranch_execz .LBB157_37
.LBB157_62:                             ;   in Loop: Header=BB157_12 Depth=1
	v_cvt_f32_i32_e32 v0, v12
	s_waitcnt vmcnt(18)
	v_cvt_f32_f16_e32 v10, v66
	v_mov_b32_e32 v79, v1
	v_lshl_add_u64 v[12:13], v[78:79], 1, s[30:31]
	v_add_f32_e32 v0, v7, v0
	v_add_f32_e32 v0, v0, v10
	v_cvt_f16_f32_e32 v0, v0
	global_store_short v[12:13], v0, off
	s_or_b64 exec, exec, s[8:9]
	v_cmp_ne_u32_e64 s[8:9], 0, v4
	s_and_saveexec_b64 s[10:11], s[8:9]
	s_cbranch_execz .LBB157_38
.LBB157_63:                             ;   in Loop: Header=BB157_12 Depth=1
	v_cvt_f32_i32_e32 v0, v15
	s_waitcnt vmcnt(17)
	v_cvt_f32_f16_e32 v7, v65
	v_add_f32_e32 v0, v9, v0
	v_add_f32_e32 v0, v0, v7
	v_cvt_f16_f32_e32 v0, v0
	v_mov_b32_e32 v9, v1
	v_lshl_add_u64 v[8:9], v[8:9], 1, s[24:25]
	global_store_short v[8:9], v0, off
	s_or_b64 exec, exec, s[10:11]
	v_cmp_ne_u32_e64 s[10:11], 0, v5
	s_and_saveexec_b64 s[38:39], s[10:11]
	s_cbranch_execz .LBB157_39
.LBB157_64:                             ;   in Loop: Header=BB157_12 Depth=1
	v_cvt_f32_i32_e32 v0, v18
	s_waitcnt vmcnt(16)
	v_cvt_f32_f16_e32 v7, v64
	v_add_f32_e32 v0, v11, v0
	v_add_f32_e32 v0, v0, v7
	v_cvt_f16_f32_e32 v0, v0
	v_mov_b32_e32 v7, v1
	v_lshl_add_u64 v[6:7], v[6:7], 1, s[24:25]
	global_store_short v[6:7], v0, off
	s_or_b64 exec, exec, s[38:39]
	v_add_u32_e32 v0, s23, v78
	s_and_saveexec_b64 s[38:39], vcc
	s_cbranch_execz .LBB157_40
.LBB157_65:                             ;   in Loop: Header=BB157_12 Depth=1
	v_cvt_f32_i32_e32 v6, v19
	s_waitcnt vmcnt(15)
	v_cvt_f32_f16_e32 v7, v63
	v_add_f32_e32 v6, v14, v6
	v_add_f32_e32 v6, v6, v7
	v_cvt_f16_f32_e32 v8, v6
	v_lshl_add_u64 v[6:7], v[0:1], 1, s[24:25]
	global_store_short v[6:7], v8, off
	s_or_b64 exec, exec, s[38:39]
	s_and_saveexec_b64 s[38:39], s[6:7]
	s_cbranch_execz .LBB157_41
.LBB157_66:                             ;   in Loop: Header=BB157_12 Depth=1
	v_cvt_f32_i32_e32 v6, v21
	s_waitcnt vmcnt(14)
	v_cvt_f32_f16_e32 v7, v62
	v_add_f32_e32 v6, v16, v6
	v_add_f32_e32 v6, v6, v7
	v_cvt_f16_f32_e32 v8, v6
	v_add_u32_e32 v6, 1, v0
	v_mov_b32_e32 v7, v1
	v_lshl_add_u64 v[6:7], v[6:7], 1, s[24:25]
	global_store_short v[6:7], v8, off
	s_or_b64 exec, exec, s[38:39]
	s_and_saveexec_b64 s[38:39], s[8:9]
	s_cbranch_execz .LBB157_42
.LBB157_67:                             ;   in Loop: Header=BB157_12 Depth=1
	v_cvt_f32_i32_e32 v6, v23
	s_waitcnt vmcnt(13)
	v_cvt_f32_f16_e32 v7, v60
	v_add_f32_e32 v6, v17, v6
	v_add_f32_e32 v6, v6, v7
	v_cvt_f16_f32_e32 v8, v6
	v_add_u32_e32 v6, 2, v0
	v_mov_b32_e32 v7, v1
	v_lshl_add_u64 v[6:7], v[6:7], 1, s[24:25]
	global_store_short v[6:7], v8, off
	s_or_b64 exec, exec, s[38:39]
	s_and_saveexec_b64 s[38:39], s[10:11]
	s_cbranch_execz .LBB157_43
.LBB157_68:                             ;   in Loop: Header=BB157_12 Depth=1
	v_cvt_f32_i32_e32 v6, v25
	s_waitcnt vmcnt(12)
	v_cvt_f32_f16_e32 v7, v58
	v_add_f32_e32 v6, v20, v6
	v_add_f32_e32 v6, v6, v7
	v_cvt_f16_f32_e32 v8, v6
	v_add_u32_e32 v6, 3, v0
	v_mov_b32_e32 v7, v1
	v_lshl_add_u64 v[6:7], v[6:7], 1, s[24:25]
	global_store_short v[6:7], v8, off
	s_or_b64 exec, exec, s[38:39]
	v_add_u32_e32 v0, s23, v0
	s_and_saveexec_b64 s[38:39], vcc
	s_cbranch_execz .LBB157_44
.LBB157_69:                             ;   in Loop: Header=BB157_12 Depth=1
	v_cvt_f32_i32_e32 v6, v28
	s_waitcnt vmcnt(11)
	v_cvt_f32_f16_e32 v7, v61
	v_add_f32_e32 v6, v22, v6
	v_add_f32_e32 v6, v6, v7
	v_cvt_f16_f32_e32 v8, v6
	v_lshl_add_u64 v[6:7], v[0:1], 1, s[24:25]
	global_store_short v[6:7], v8, off
	s_or_b64 exec, exec, s[38:39]
	s_and_saveexec_b64 s[38:39], s[6:7]
	s_cbranch_execz .LBB157_45
.LBB157_70:                             ;   in Loop: Header=BB157_12 Depth=1
	v_cvt_f32_i32_e32 v6, v29
	s_waitcnt vmcnt(10)
	v_cvt_f32_f16_e32 v7, v59
	v_add_f32_e32 v6, v24, v6
	v_add_f32_e32 v6, v6, v7
	v_cvt_f16_f32_e32 v8, v6
	v_add_u32_e32 v6, 1, v0
	v_mov_b32_e32 v7, v1
	v_lshl_add_u64 v[6:7], v[6:7], 1, s[24:25]
	global_store_short v[6:7], v8, off
	s_or_b64 exec, exec, s[38:39]
	s_and_saveexec_b64 s[38:39], s[8:9]
	s_cbranch_execz .LBB157_46
.LBB157_71:                             ;   in Loop: Header=BB157_12 Depth=1
	v_cvt_f32_i32_e32 v6, v30
	s_waitcnt vmcnt(9)
	v_cvt_f32_f16_e32 v7, v57
	v_add_f32_e32 v6, v26, v6
	v_add_f32_e32 v6, v6, v7
	v_cvt_f16_f32_e32 v8, v6
	v_add_u32_e32 v6, 2, v0
	v_mov_b32_e32 v7, v1
	v_lshl_add_u64 v[6:7], v[6:7], 1, s[24:25]
	global_store_short v[6:7], v8, off
	s_or_b64 exec, exec, s[38:39]
	s_and_saveexec_b64 s[38:39], s[10:11]
	s_cbranch_execz .LBB157_47
.LBB157_72:                             ;   in Loop: Header=BB157_12 Depth=1
	v_cvt_f32_i32_e32 v6, v32
	s_waitcnt vmcnt(8)
	v_cvt_f32_f16_e32 v7, v56
	v_add_f32_e32 v6, v27, v6
	v_add_f32_e32 v6, v6, v7
	v_cvt_f16_f32_e32 v8, v6
	v_add_u32_e32 v6, 3, v0
	v_mov_b32_e32 v7, v1
	v_lshl_add_u64 v[6:7], v[6:7], 1, s[24:25]
	global_store_short v[6:7], v8, off
	s_or_b64 exec, exec, s[38:39]
	v_add_u32_e32 v0, s23, v0
	s_and_saveexec_b64 s[38:39], vcc
	s_cbranch_execz .LBB157_48
.LBB157_73:                             ;   in Loop: Header=BB157_12 Depth=1
	v_cvt_f32_i32_e32 v6, v38
	s_waitcnt vmcnt(7)
	v_cvt_f32_f16_e32 v7, v55
	v_add_f32_e32 v6, v31, v6
	v_add_f32_e32 v6, v6, v7
	v_cvt_f16_f32_e32 v8, v6
	v_lshl_add_u64 v[6:7], v[0:1], 1, s[24:25]
	global_store_short v[6:7], v8, off
	s_or_b64 exec, exec, s[38:39]
	s_and_saveexec_b64 s[38:39], s[6:7]
	s_cbranch_execz .LBB157_49
.LBB157_74:                             ;   in Loop: Header=BB157_12 Depth=1
	v_cvt_f32_i32_e32 v6, v40
	s_waitcnt vmcnt(6)
	v_cvt_f32_f16_e32 v7, v54
	v_add_f32_e32 v6, v33, v6
	v_add_f32_e32 v6, v6, v7
	v_cvt_f16_f32_e32 v8, v6
	v_add_u32_e32 v6, 1, v0
	v_mov_b32_e32 v7, v1
	v_lshl_add_u64 v[6:7], v[6:7], 1, s[24:25]
	global_store_short v[6:7], v8, off
	s_or_b64 exec, exec, s[38:39]
	s_and_saveexec_b64 s[38:39], s[8:9]
	s_cbranch_execz .LBB157_50
.LBB157_75:                             ;   in Loop: Header=BB157_12 Depth=1
	v_cvt_f32_i32_e32 v6, v42
	s_waitcnt vmcnt(5)
	v_cvt_f32_f16_e32 v7, v53
	v_add_f32_e32 v6, v34, v6
	v_add_f32_e32 v6, v6, v7
	v_cvt_f16_f32_e32 v8, v6
	v_add_u32_e32 v6, 2, v0
	v_mov_b32_e32 v7, v1
	v_lshl_add_u64 v[6:7], v[6:7], 1, s[24:25]
	global_store_short v[6:7], v8, off
	s_or_b64 exec, exec, s[38:39]
	s_and_saveexec_b64 s[38:39], s[10:11]
	s_cbranch_execz .LBB157_51
.LBB157_76:                             ;   in Loop: Header=BB157_12 Depth=1
	v_cvt_f32_i32_e32 v6, v37
	s_waitcnt vmcnt(4)
	v_cvt_f32_f16_e32 v7, v51
	v_add_f32_e32 v6, v35, v6
	v_add_f32_e32 v6, v6, v7
	v_cvt_f16_f32_e32 v8, v6
	v_add_u32_e32 v6, 3, v0
	v_mov_b32_e32 v7, v1
	v_lshl_add_u64 v[6:7], v[6:7], 1, s[24:25]
	global_store_short v[6:7], v8, off
	s_or_b64 exec, exec, s[38:39]
	v_add_u32_e32 v0, s23, v0
	s_and_saveexec_b64 s[38:39], vcc
	s_cbranch_execz .LBB157_52
.LBB157_77:                             ;   in Loop: Header=BB157_12 Depth=1
	v_cvt_f32_i32_e32 v6, v47
	s_waitcnt vmcnt(3)
	v_cvt_f32_f16_e32 v7, v52
	v_add_f32_e32 v6, v45, v6
	v_add_f32_e32 v6, v6, v7
	v_cvt_f16_f32_e32 v8, v6
	v_lshl_add_u64 v[6:7], v[0:1], 1, s[24:25]
	global_store_short v[6:7], v8, off
	s_or_b64 exec, exec, s[38:39]
	s_and_saveexec_b64 s[38:39], s[6:7]
	s_cbranch_execz .LBB157_53
.LBB157_78:                             ;   in Loop: Header=BB157_12 Depth=1
	v_cvt_f32_i32_e32 v6, v46
	s_waitcnt vmcnt(2)
	v_cvt_f32_f16_e32 v7, v50
	v_add_f32_e32 v6, v44, v6
	v_add_f32_e32 v6, v6, v7
	v_cvt_f16_f32_e32 v8, v6
	v_add_u32_e32 v6, 1, v0
	v_mov_b32_e32 v7, v1
	v_lshl_add_u64 v[6:7], v[6:7], 1, s[24:25]
	global_store_short v[6:7], v8, off
	s_or_b64 exec, exec, s[38:39]
	s_and_saveexec_b64 s[6:7], s[8:9]
	s_cbranch_execz .LBB157_54
.LBB157_79:                             ;   in Loop: Header=BB157_12 Depth=1
	v_cvt_f32_i32_e32 v6, v43
	s_waitcnt vmcnt(1)
	v_cvt_f32_f16_e32 v7, v49
	v_add_f32_e32 v6, v41, v6
	v_add_f32_e32 v6, v6, v7
	v_cvt_f16_f32_e32 v8, v6
	v_add_u32_e32 v6, 2, v0
	v_mov_b32_e32 v7, v1
	v_lshl_add_u64 v[6:7], v[6:7], 1, s[24:25]
	global_store_short v[6:7], v8, off
	s_or_b64 exec, exec, s[6:7]
	s_and_b64 exec, exec, s[10:11]
	s_cbranch_execnz .LBB157_55
	s_branch .LBB157_56
.LBB157_80:
	s_endpgm
	.section	.rodata,"a",@progbits
	.p2align	6, 0x0
	.amdhsa_kernel _Z16wvSplitK_hf_big_I6__halfLi64ELi4ELi16ELi8ELi2ELi5EEviiiiiiPKT_S3_S3_PS1_ii
		.amdhsa_group_segment_fixed_size 65536
		.amdhsa_private_segment_fixed_size 0
		.amdhsa_kernarg_size 64
		.amdhsa_user_sgpr_count 2
		.amdhsa_user_sgpr_dispatch_ptr 0
		.amdhsa_user_sgpr_queue_ptr 0
		.amdhsa_user_sgpr_kernarg_segment_ptr 1
		.amdhsa_user_sgpr_dispatch_id 0
		.amdhsa_user_sgpr_kernarg_preload_length 0
		.amdhsa_user_sgpr_kernarg_preload_offset 0
		.amdhsa_user_sgpr_private_segment_size 0
		.amdhsa_uses_dynamic_stack 0
		.amdhsa_enable_private_segment 0
		.amdhsa_system_sgpr_workgroup_id_x 1
		.amdhsa_system_sgpr_workgroup_id_y 0
		.amdhsa_system_sgpr_workgroup_id_z 0
		.amdhsa_system_sgpr_workgroup_info 0
		.amdhsa_system_vgpr_workitem_id 1
		.amdhsa_next_free_vgpr 120
		.amdhsa_next_free_sgpr 56
		.amdhsa_accum_offset 120
		.amdhsa_reserve_vcc 1
		.amdhsa_float_round_mode_32 0
		.amdhsa_float_round_mode_16_64 0
		.amdhsa_float_denorm_mode_32 3
		.amdhsa_float_denorm_mode_16_64 3
		.amdhsa_dx10_clamp 1
		.amdhsa_ieee_mode 1
		.amdhsa_fp16_overflow 0
		.amdhsa_tg_split 0
		.amdhsa_exception_fp_ieee_invalid_op 0
		.amdhsa_exception_fp_denorm_src 0
		.amdhsa_exception_fp_ieee_div_zero 0
		.amdhsa_exception_fp_ieee_overflow 0
		.amdhsa_exception_fp_ieee_underflow 0
		.amdhsa_exception_fp_ieee_inexact 0
		.amdhsa_exception_int_div_zero 0
	.end_amdhsa_kernel
	.section	.text._Z16wvSplitK_hf_big_I6__halfLi64ELi4ELi16ELi8ELi2ELi5EEviiiiiiPKT_S3_S3_PS1_ii,"axG",@progbits,_Z16wvSplitK_hf_big_I6__halfLi64ELi4ELi16ELi8ELi2ELi5EEviiiiiiPKT_S3_S3_PS1_ii,comdat
.Lfunc_end157:
	.size	_Z16wvSplitK_hf_big_I6__halfLi64ELi4ELi16ELi8ELi2ELi5EEviiiiiiPKT_S3_S3_PS1_ii, .Lfunc_end157-_Z16wvSplitK_hf_big_I6__halfLi64ELi4ELi16ELi8ELi2ELi5EEviiiiiiPKT_S3_S3_PS1_ii
                                        ; -- End function
	.section	.AMDGPU.csdata,"",@progbits
; Kernel info:
; codeLenInByte = 7776
; NumSgprs: 62
; NumVgprs: 120
; NumAgprs: 0
; TotalNumVgprs: 120
; ScratchSize: 0
; MemoryBound: 0
; FloatMode: 240
; IeeeMode: 1
; LDSByteSize: 65536 bytes/workgroup (compile time only)
; SGPRBlocks: 7
; VGPRBlocks: 14
; NumSGPRsForWavesPerEU: 62
; NumVGPRsForWavesPerEU: 120
; AccumOffset: 120
; Occupancy: 4
; WaveLimiterHint : 0
; COMPUTE_PGM_RSRC2:SCRATCH_EN: 0
; COMPUTE_PGM_RSRC2:USER_SGPR: 2
; COMPUTE_PGM_RSRC2:TRAP_HANDLER: 0
; COMPUTE_PGM_RSRC2:TGID_X_EN: 1
; COMPUTE_PGM_RSRC2:TGID_Y_EN: 0
; COMPUTE_PGM_RSRC2:TGID_Z_EN: 0
; COMPUTE_PGM_RSRC2:TIDIG_COMP_CNT: 1
; COMPUTE_PGM_RSRC3_GFX90A:ACCUM_OFFSET: 29
; COMPUTE_PGM_RSRC3_GFX90A:TG_SPLIT: 0
	.section	.text._Z16wvSplitK_hf_sml_I14__hip_bfloat16Li32ELi1ELi16ELi8ELi4ELi1EEviiiiiiPKT_S3_S3_PS1_ii,"axG",@progbits,_Z16wvSplitK_hf_sml_I14__hip_bfloat16Li32ELi1ELi16ELi8ELi4ELi1EEviiiiiiPKT_S3_S3_PS1_ii,comdat
	.protected	_Z16wvSplitK_hf_sml_I14__hip_bfloat16Li32ELi1ELi16ELi8ELi4ELi1EEviiiiiiPKT_S3_S3_PS1_ii ; -- Begin function _Z16wvSplitK_hf_sml_I14__hip_bfloat16Li32ELi1ELi16ELi8ELi4ELi1EEviiiiiiPKT_S3_S3_PS1_ii
	.globl	_Z16wvSplitK_hf_sml_I14__hip_bfloat16Li32ELi1ELi16ELi8ELi4ELi1EEviiiiiiPKT_S3_S3_PS1_ii
	.p2align	8
	.type	_Z16wvSplitK_hf_sml_I14__hip_bfloat16Li32ELi1ELi16ELi8ELi4ELi1EEviiiiiiPKT_S3_S3_PS1_ii,@function
_Z16wvSplitK_hf_sml_I14__hip_bfloat16Li32ELi1ELi16ELi8ELi4ELi1EEviiiiiiPKT_S3_S3_PS1_ii: ; @_Z16wvSplitK_hf_sml_I14__hip_bfloat16Li32ELi1ELi16ELi8ELi4ELi1EEviiiiiiPKT_S3_S3_PS1_ii
; %bb.0:
	s_load_dwordx4 s[8:11], s[0:1], 0x0
	v_and_b32_e32 v4, 0x3ff, v0
	v_bfe_u32 v5, v0, 10, 10
	v_lshlrev_b32_e32 v42, 3, v4
	v_lshl_add_u32 v6, v5, 8, v42
	s_waitcnt lgkmcnt(0)
	s_min_u32 s3, s10, 0x8000
	v_cmp_gt_u32_e32 vcc, s3, v6
	s_and_saveexec_b64 s[4:5], vcc
	s_cbranch_execz .LBB158_9
; %bb.1:
	s_load_dwordx2 s[6:7], s[0:1], 0x20
	v_lshlrev_b32_e32 v0, 1, v6
	v_add_u32_e32 v1, 0x1000, v6
	v_cmp_gt_u32_e32 vcc, s3, v1
	s_waitcnt lgkmcnt(0)
	global_load_dwordx4 v[8:11], v0, s[6:7]
	s_waitcnt vmcnt(0)
	ds_write_b128 v0, v[8:11]
	s_and_saveexec_b64 s[12:13], vcc
	s_xor_b64 s[12:13], exec, s[12:13]
	s_cbranch_execz .LBB158_9
; %bb.2:
	v_mov_b32_e32 v1, 0
	v_lshl_add_u64 v[2:3], s[6:7], 0, v[0:1]
	v_add_co_u32_e32 v8, vcc, 0x2000, v2
	v_add_u32_e32 v1, 0x2000, v6
	s_nop 0
	v_addc_co_u32_e32 v9, vcc, 0, v3, vcc
	global_load_dwordx4 v[8:11], v[8:9], off
	v_cmp_gt_u32_e32 vcc, s3, v1
	s_waitcnt vmcnt(0)
	ds_write_b128 v0, v[8:11] offset:8192
	s_and_saveexec_b64 s[6:7], vcc
	s_xor_b64 s[6:7], exec, s[6:7]
	s_cbranch_execz .LBB158_9
; %bb.3:
	v_add_co_u32_e32 v8, vcc, 0x4000, v2
	v_add_u32_e32 v1, 0x3000, v6
	s_nop 0
	v_addc_co_u32_e32 v9, vcc, 0, v3, vcc
	global_load_dwordx4 v[8:11], v[8:9], off
	v_cmp_gt_u32_e32 vcc, s3, v1
	s_waitcnt vmcnt(0)
	ds_write_b128 v0, v[8:11] offset:16384
	s_and_saveexec_b64 s[6:7], vcc
	s_xor_b64 s[6:7], exec, s[6:7]
	s_cbranch_execz .LBB158_9
; %bb.4:
	;; [unrolled: 12-line block ×6, first 2 shown]
	v_add_co_u32_e32 v2, vcc, 0xe000, v2
	s_nop 1
	v_addc_co_u32_e32 v3, vcc, 0, v3, vcc
	global_load_dwordx4 v[6:9], v[2:3], off
	s_waitcnt vmcnt(0)
	ds_write_b128 v0, v[6:9] offset:57344
.LBB158_9:
	s_or_b64 exec, exec, s[4:5]
	s_load_dwordx2 s[4:5], s[0:1], 0x38
	s_waitcnt lgkmcnt(0)
	s_barrier
	v_cmp_gt_u32_e32 vcc, s4, v5
	s_and_saveexec_b64 s[6:7], vcc
	s_cbranch_execz .LBB158_33
; %bb.10:
	s_load_dword s10, s[0:1], 0x10
	s_mul_i32 s2, s2, s4
	v_add_u32_e32 v36, s2, v5
	v_cmp_gt_u32_e32 vcc, s11, v36
	s_and_b64 exec, exec, vcc
	s_cbranch_execz .LBB158_33
; %bb.11:
	s_waitcnt lgkmcnt(0)
	v_cvt_f32_u32_e32 v0, s10
	s_load_dwordx4 s[12:15], s[0:1], 0x28
	s_load_dwordx2 s[6:7], s[0:1], 0x18
	s_cmp_lg_u32 s8, 0
	s_cselect_b64 s[2:3], -1, 0
	v_rcp_iflag_f32_e32 v0, v0
	s_add_i32 s26, s8, -8
	s_add_i32 s27, s11, -1
	s_waitcnt lgkmcnt(0)
	s_cmp_lg_u64 s[12:13], 0
	v_mul_f32_e32 v0, 0x4f7ffffe, v0
	v_cvt_u32_f32_e32 v0, v0
	s_cselect_b64 s[18:19], -1, 0
	s_mul_i32 s28, s5, s4
	s_sub_i32 s4, 0, s10
	v_mul_lo_u32 v1, s4, v0
	v_mul_hi_u32 v1, v0, v1
	v_add_u32_e32 v43, v0, v1
	v_cndmask_b32_e64 v0, 0, 1, s[2:3]
	v_cmp_ne_u32_e64 s[2:3], 1, v0
	v_cndmask_b32_e64 v0, 0, 1, s[18:19]
	v_cmp_eq_u32_e64 s[0:1], 31, v4
	s_mov_b64 s[16:17], 0
	v_mov_b32_e32 v39, 0
	v_lshlrev_b32_e32 v44, 4, v4
	v_cmp_ne_u32_e64 s[4:5], 1, v0
	s_mov_b32 s29, 0x7f800000
	s_movk_i32 s30, 0x7fff
	s_branch .LBB158_14
.LBB158_12:                             ;   in Loop: Header=BB158_14 Depth=1
	s_or_b64 exec, exec, s[20:21]
	v_mov_b32_e32 v37, v39
	v_lshl_add_u64 v[2:3], v[36:37], 1, s[14:15]
	global_store_short_d16_hi v[2:3], v0, off
.LBB158_13:                             ;   in Loop: Header=BB158_14 Depth=1
	s_or_b64 exec, exec, s[18:19]
	v_add_u32_e32 v36, s28, v36
	v_cmp_le_u32_e32 vcc, s11, v36
	s_or_b64 s[16:17], vcc, s[16:17]
	s_andn2_b64 exec, exec, s[16:17]
	s_cbranch_execz .LBB158_33
.LBB158_14:                             ; =>This Loop Header: Depth=1
                                        ;     Child Loop BB158_20 Depth 2
	s_and_b64 vcc, exec, s[2:3]
	v_mov_b32_e32 v3, v39
	v_mov_b32_e32 v2, v39
	;; [unrolled: 1-line block ×4, first 2 shown]
	s_cbranch_vccnz .LBB158_25
; %bb.15:                               ;   in Loop: Header=BB158_14 Depth=1
	v_min_u32_e32 v0, s27, v36
	v_mul_lo_u32 v38, v0, s9
	v_mov_b32_e32 v0, 0
	v_lshl_add_u64 v[40:41], v[38:39], 1, s[6:7]
	s_mov_b32 s31, 0
	v_mov_b32_e32 v37, v44
	v_mov_b32_e32 v1, v0
	;; [unrolled: 1-line block ×4, first 2 shown]
	s_branch .LBB158_20
.LBB158_16:                             ;   in Loop: Header=BB158_20 Depth=2
	s_or_b64 exec, exec, s[24:25]
.LBB158_17:                             ;   in Loop: Header=BB158_20 Depth=2
	s_or_b64 exec, exec, s[22:23]
.LBB158_18:                             ;   in Loop: Header=BB158_20 Depth=2
	s_or_b64 exec, exec, s[20:21]
.LBB158_19:                             ;   in Loop: Header=BB158_20 Depth=2
	s_or_b64 exec, exec, s[18:19]
	s_waitcnt vmcnt(3) lgkmcnt(0)
	v_mfma_f32_4x4x4_16b_bf16 v[0:3], v[28:29], v[16:17], v[0:3]
	s_addk_i32 s31, 0x400
	v_add_u32_e32 v37, 0x800, v37
	v_mfma_f32_4x4x4_16b_bf16 v[0:3], v[30:31], v[18:19], v[0:3]
	s_cmp_ge_u32 s31, s8
	s_waitcnt vmcnt(2)
	v_mfma_f32_4x4x4_16b_bf16 v[0:3], v[24:25], v[8:9], v[0:3]
	s_nop 1
	v_mfma_f32_4x4x4_16b_bf16 v[0:3], v[26:27], v[10:11], v[0:3]
	s_waitcnt vmcnt(1)
	s_nop 0
	v_mfma_f32_4x4x4_16b_bf16 v[0:3], v[32:33], v[12:13], v[0:3]
	s_nop 1
	v_mfma_f32_4x4x4_16b_bf16 v[0:3], v[34:35], v[14:15], v[0:3]
	s_waitcnt vmcnt(0)
	s_nop 0
	v_mfma_f32_4x4x4_16b_bf16 v[0:3], v[20:21], v[4:5], v[0:3]
	s_nop 1
	v_mfma_f32_4x4x4_16b_bf16 v[0:3], v[22:23], v[6:7], v[0:3]
	s_cbranch_scc1 .LBB158_25
.LBB158_20:                             ;   Parent Loop BB158_14 Depth=1
                                        ; =>  This Inner Loop Header: Depth=2
	v_add_u32_e32 v24, s31, v42
	v_min_u32_e32 v38, s26, v24
	v_add_u32_e32 v47, 0x100, v24
	v_lshl_add_u64 v[4:5], v[38:39], 1, v[40:41]
	v_min_u32_e32 v38, s26, v47
	v_add_u32_e32 v46, 0x200, v24
	v_lshl_add_u64 v[6:7], v[38:39], 1, v[40:41]
	;; [unrolled: 3-line block ×3, first 2 shown]
	v_min_u32_e32 v38, s26, v45
	global_load_dwordx4 v[16:19], v[4:5], off nt
	global_load_dwordx4 v[8:11], v[6:7], off nt
	v_lshl_add_u64 v[22:23], v[38:39], 1, v[40:41]
	global_load_dwordx4 v[12:15], v[20:21], off nt
	global_load_dwordx4 v[4:7], v[22:23], off nt
	v_cmp_gt_u32_e32 vcc, s8, v24
	v_mov_b32_e32 v26, 0
	v_mov_b32_e32 v27, 0
	v_mov_b32_e32 v24, 0
	v_mov_b32_e32 v25, 0
	v_mov_b32_e32 v30, 0
	v_mov_b32_e32 v31, 0
	v_mov_b32_e32 v28, 0
	v_mov_b32_e32 v29, 0
	v_mov_b32_e32 v32, 0
	v_mov_b32_e32 v33, 0
	v_mov_b32_e32 v34, 0
	v_mov_b32_e32 v35, 0
	v_mov_b32_e32 v20, 0
	v_mov_b32_e32 v21, 0
	v_mov_b32_e32 v22, 0
	v_mov_b32_e32 v23, 0
	s_and_saveexec_b64 s[18:19], vcc
	s_cbranch_execz .LBB158_19
; %bb.21:                               ;   in Loop: Header=BB158_20 Depth=2
	ds_read_b128 v[28:31], v37
	v_cmp_gt_u32_e32 vcc, s8, v47
	v_mov_b32_e32 v23, 0
	v_mov_b32_e32 v22, 0
	;; [unrolled: 1-line block ×12, first 2 shown]
	s_and_saveexec_b64 s[20:21], vcc
	s_cbranch_execz .LBB158_18
; %bb.22:                               ;   in Loop: Header=BB158_20 Depth=2
	ds_read_b128 v[24:27], v37 offset:512
	v_cmp_gt_u32_e32 vcc, s8, v46
	v_mov_b32_e32 v23, 0
	v_mov_b32_e32 v22, 0
	;; [unrolled: 1-line block ×8, first 2 shown]
	s_and_saveexec_b64 s[22:23], vcc
	s_cbranch_execz .LBB158_17
; %bb.23:                               ;   in Loop: Header=BB158_20 Depth=2
	ds_read_b128 v[32:35], v37 offset:1024
	v_cmp_gt_u32_e32 vcc, s8, v45
	v_mov_b32_e32 v23, 0
	v_mov_b32_e32 v22, 0
	;; [unrolled: 1-line block ×4, first 2 shown]
	s_and_saveexec_b64 s[24:25], vcc
	s_cbranch_execz .LBB158_16
; %bb.24:                               ;   in Loop: Header=BB158_20 Depth=2
	ds_read_b128 v[20:23], v37 offset:1536
	s_branch .LBB158_16
.LBB158_25:                             ;   in Loop: Header=BB158_14 Depth=1
	; sched_barrier mask(0x00000000)
	s_nop 3
	v_cvt_i32_f32_e32 v1, v1
	v_cvt_i32_f32_e32 v2, v2
	;; [unrolled: 1-line block ×3, first 2 shown]
	v_cvt_f32_i32_dpp v1, v1 row_shl:1 row_mask:0xf bank_mask:0xf bound_ctrl:1
	v_cvt_f32_i32_dpp v2, v2 row_shl:2 row_mask:0xf bank_mask:0xf bound_ctrl:1
	;; [unrolled: 1-line block ×3, first 2 shown]
	v_add_f32_e32 v0, v0, v1
	v_add_f32_e32 v0, v0, v2
	;; [unrolled: 1-line block ×3, first 2 shown]
	v_cvt_i32_f32_e32 v1, v0
	s_nop 1
	v_cvt_f32_i32_dpp v1, v1 row_shl:4 row_mask:0xf bank_mask:0xf bound_ctrl:1
	v_add_f32_e32 v0, v0, v1
	v_cvt_i32_f32_e32 v1, v0
	s_nop 1
	v_cvt_f32_i32_dpp v1, v1 row_shl:8 row_mask:0xf bank_mask:0xf bound_ctrl:1
	v_add_f32_e32 v0, v0, v1
	v_cvt_i32_f32_e32 v0, v0
	s_nop 1
	v_cvt_f32_i32_dpp v0, v0 row_shr:15 row_mask:0xf bank_mask:0xf bound_ctrl:1
	v_cvt_i32_f32_e32 v1, v0
	s_nop 1
	v_cvt_f32_i32_dpp v1, v1 row_bcast:15 row_mask:0xf bank_mask:0xf bound_ctrl:1
	v_add_f32_e32 v0, v0, v1
	v_cvt_i32_f32_e32 v1, v0
	s_nop 1
	v_mov_b32_dpp v1, v1 row_bcast:31 row_mask:0xf bank_mask:0xf bound_ctrl:1
	s_and_saveexec_b64 s[18:19], s[0:1]
	s_cbranch_execz .LBB158_13
; %bb.26:                               ;   in Loop: Header=BB158_14 Depth=1
	s_and_b64 vcc, exec, s[4:5]
	s_cbranch_vccnz .LBB158_28
; %bb.27:                               ;   in Loop: Header=BB158_14 Depth=1
	v_mul_hi_u32 v2, v36, v43
	v_mul_lo_u32 v2, v2, s10
	v_sub_u32_e32 v2, v36, v2
	v_subrev_u32_e32 v3, s10, v2
	v_cmp_le_u32_e32 vcc, s10, v2
	s_nop 1
	v_cndmask_b32_e32 v2, v2, v3, vcc
	v_subrev_u32_e32 v3, s10, v2
	v_cmp_le_u32_e32 vcc, s10, v2
	s_nop 1
	v_cndmask_b32_e32 v38, v2, v3, vcc
	v_lshl_add_u64 v[2:3], v[38:39], 1, s[12:13]
	global_load_ushort v2, v[2:3], off
	s_branch .LBB158_29
.LBB158_28:                             ;   in Loop: Header=BB158_14 Depth=1
	v_mov_b32_e32 v2, 0
.LBB158_29:                             ;   in Loop: Header=BB158_14 Depth=1
	v_cvt_f32_i32_e32 v1, v1
	v_add_f32_e32 v0, v0, v1
	s_waitcnt vmcnt(0)
	v_lshlrev_b32_e32 v1, 16, v2
	v_add_f32_e32 v1, v0, v1
	v_and_b32_e32 v0, 0x7f800000, v1
	v_cmp_ne_u32_e32 vcc, s29, v0
                                        ; implicit-def: $vgpr0
	s_and_saveexec_b64 s[20:21], vcc
	s_xor_b64 s[20:21], exec, s[20:21]
; %bb.30:                               ;   in Loop: Header=BB158_14 Depth=1
	v_bfe_u32 v0, v1, 16, 1
	v_add3_u32 v0, v1, v0, s30
                                        ; implicit-def: $vgpr1
; %bb.31:                               ;   in Loop: Header=BB158_14 Depth=1
	s_andn2_saveexec_b64 s[20:21], s[20:21]
	s_cbranch_execz .LBB158_12
; %bb.32:                               ;   in Loop: Header=BB158_14 Depth=1
	v_or_b32_e32 v0, 0x10000, v1
	v_cmp_eq_u32_sdwa vcc, v1, v39 src0_sel:WORD_0 src1_sel:DWORD
	s_nop 1
	v_cndmask_b32_e32 v0, v0, v1, vcc
	s_branch .LBB158_12
.LBB158_33:
	s_endpgm
	.section	.rodata,"a",@progbits
	.p2align	6, 0x0
	.amdhsa_kernel _Z16wvSplitK_hf_sml_I14__hip_bfloat16Li32ELi1ELi16ELi8ELi4ELi1EEviiiiiiPKT_S3_S3_PS1_ii
		.amdhsa_group_segment_fixed_size 65536
		.amdhsa_private_segment_fixed_size 0
		.amdhsa_kernarg_size 64
		.amdhsa_user_sgpr_count 2
		.amdhsa_user_sgpr_dispatch_ptr 0
		.amdhsa_user_sgpr_queue_ptr 0
		.amdhsa_user_sgpr_kernarg_segment_ptr 1
		.amdhsa_user_sgpr_dispatch_id 0
		.amdhsa_user_sgpr_kernarg_preload_length 0
		.amdhsa_user_sgpr_kernarg_preload_offset 0
		.amdhsa_user_sgpr_private_segment_size 0
		.amdhsa_uses_dynamic_stack 0
		.amdhsa_enable_private_segment 0
		.amdhsa_system_sgpr_workgroup_id_x 1
		.amdhsa_system_sgpr_workgroup_id_y 0
		.amdhsa_system_sgpr_workgroup_id_z 0
		.amdhsa_system_sgpr_workgroup_info 0
		.amdhsa_system_vgpr_workitem_id 1
		.amdhsa_next_free_vgpr 48
		.amdhsa_next_free_sgpr 32
		.amdhsa_accum_offset 48
		.amdhsa_reserve_vcc 1
		.amdhsa_float_round_mode_32 0
		.amdhsa_float_round_mode_16_64 0
		.amdhsa_float_denorm_mode_32 3
		.amdhsa_float_denorm_mode_16_64 3
		.amdhsa_dx10_clamp 1
		.amdhsa_ieee_mode 1
		.amdhsa_fp16_overflow 0
		.amdhsa_tg_split 0
		.amdhsa_exception_fp_ieee_invalid_op 0
		.amdhsa_exception_fp_denorm_src 0
		.amdhsa_exception_fp_ieee_div_zero 0
		.amdhsa_exception_fp_ieee_overflow 0
		.amdhsa_exception_fp_ieee_underflow 0
		.amdhsa_exception_fp_ieee_inexact 0
		.amdhsa_exception_int_div_zero 0
	.end_amdhsa_kernel
	.section	.text._Z16wvSplitK_hf_sml_I14__hip_bfloat16Li32ELi1ELi16ELi8ELi4ELi1EEviiiiiiPKT_S3_S3_PS1_ii,"axG",@progbits,_Z16wvSplitK_hf_sml_I14__hip_bfloat16Li32ELi1ELi16ELi8ELi4ELi1EEviiiiiiPKT_S3_S3_PS1_ii,comdat
.Lfunc_end158:
	.size	_Z16wvSplitK_hf_sml_I14__hip_bfloat16Li32ELi1ELi16ELi8ELi4ELi1EEviiiiiiPKT_S3_S3_PS1_ii, .Lfunc_end158-_Z16wvSplitK_hf_sml_I14__hip_bfloat16Li32ELi1ELi16ELi8ELi4ELi1EEviiiiiiPKT_S3_S3_PS1_ii
                                        ; -- End function
	.section	.AMDGPU.csdata,"",@progbits
; Kernel info:
; codeLenInByte = 1692
; NumSgprs: 38
; NumVgprs: 48
; NumAgprs: 0
; TotalNumVgprs: 48
; ScratchSize: 0
; MemoryBound: 0
; FloatMode: 240
; IeeeMode: 1
; LDSByteSize: 65536 bytes/workgroup (compile time only)
; SGPRBlocks: 4
; VGPRBlocks: 5
; NumSGPRsForWavesPerEU: 38
; NumVGPRsForWavesPerEU: 48
; AccumOffset: 48
; Occupancy: 2
; WaveLimiterHint : 0
; COMPUTE_PGM_RSRC2:SCRATCH_EN: 0
; COMPUTE_PGM_RSRC2:USER_SGPR: 2
; COMPUTE_PGM_RSRC2:TRAP_HANDLER: 0
; COMPUTE_PGM_RSRC2:TGID_X_EN: 1
; COMPUTE_PGM_RSRC2:TGID_Y_EN: 0
; COMPUTE_PGM_RSRC2:TGID_Z_EN: 0
; COMPUTE_PGM_RSRC2:TIDIG_COMP_CNT: 1
; COMPUTE_PGM_RSRC3_GFX90A:ACCUM_OFFSET: 11
; COMPUTE_PGM_RSRC3_GFX90A:TG_SPLIT: 0
	.section	.text._Z12wvSplitK_hf_I14__hip_bfloat16Li32ELi1ELi16ELi8ELi4ELi1EEviiiiiiPKT_S3_S3_PS1_ii,"axG",@progbits,_Z12wvSplitK_hf_I14__hip_bfloat16Li32ELi1ELi16ELi8ELi4ELi1EEviiiiiiPKT_S3_S3_PS1_ii,comdat
	.protected	_Z12wvSplitK_hf_I14__hip_bfloat16Li32ELi1ELi16ELi8ELi4ELi1EEviiiiiiPKT_S3_S3_PS1_ii ; -- Begin function _Z12wvSplitK_hf_I14__hip_bfloat16Li32ELi1ELi16ELi8ELi4ELi1EEviiiiiiPKT_S3_S3_PS1_ii
	.globl	_Z12wvSplitK_hf_I14__hip_bfloat16Li32ELi1ELi16ELi8ELi4ELi1EEviiiiiiPKT_S3_S3_PS1_ii
	.p2align	8
	.type	_Z12wvSplitK_hf_I14__hip_bfloat16Li32ELi1ELi16ELi8ELi4ELi1EEviiiiiiPKT_S3_S3_PS1_ii,@function
_Z12wvSplitK_hf_I14__hip_bfloat16Li32ELi1ELi16ELi8ELi4ELi1EEviiiiiiPKT_S3_S3_PS1_ii: ; @_Z12wvSplitK_hf_I14__hip_bfloat16Li32ELi1ELi16ELi8ELi4ELi1EEviiiiiiPKT_S3_S3_PS1_ii
; %bb.0:
	s_load_dwordx2 s[4:5], s[0:1], 0x38
	s_load_dwordx2 s[16:17], s[0:1], 0x20
	s_load_dwordx4 s[8:11], s[0:1], 0x0
	s_load_dword s33, s[0:1], 0x10
	v_bfe_u32 v5, v0, 10, 10
	s_waitcnt lgkmcnt(0)
	s_mul_i32 s2, s2, s4
	v_add_u32_e32 v36, s2, v5
	v_add_u32_e32 v1, 1, v36
	v_cmp_gt_u32_e32 vcc, s11, v36
	v_cmp_le_u32_e64 s[2:3], s11, v1
	s_and_b64 s[6:7], vcc, s[2:3]
	v_mov_b32_e32 v50, 1
	s_and_saveexec_b64 s[2:3], s[6:7]
; %bb.1:
	v_subrev_u32_e32 v1, s11, v36
	v_cmp_eq_u32_e32 vcc, -1, v1
	s_add_i32 s6, s11, -1
	v_mov_b32_e32 v36, s6
	v_cndmask_b32_e64 v50, 0, 1, vcc
; %bb.2:
	s_or_b64 exec, exec, s[2:3]
	v_and_b32_e32 v4, 0x3ff, v0
	v_lshlrev_b32_e32 v51, 3, v4
	v_lshl_add_u32 v6, v5, 8, v51
	s_min_u32 s6, s10, 0x8000
	v_cmp_gt_u32_e32 vcc, s6, v6
	s_and_saveexec_b64 s[2:3], vcc
	s_cbranch_execz .LBB159_11
; %bb.3:
	v_lshlrev_b32_e32 v0, 1, v6
	global_load_dwordx4 v[8:11], v0, s[16:17]
	v_add_u32_e32 v1, 0x1000, v6
	v_cmp_gt_u32_e32 vcc, s6, v1
	s_waitcnt vmcnt(0)
	ds_write_b128 v0, v[8:11]
	s_and_saveexec_b64 s[12:13], vcc
	s_xor_b64 s[12:13], exec, s[12:13]
	s_cbranch_execz .LBB159_11
; %bb.4:
	v_mov_b32_e32 v1, 0
	v_lshl_add_u64 v[2:3], s[16:17], 0, v[0:1]
	v_add_co_u32_e32 v8, vcc, 0x2000, v2
	v_add_u32_e32 v1, 0x2000, v6
	s_nop 0
	v_addc_co_u32_e32 v9, vcc, 0, v3, vcc
	global_load_dwordx4 v[8:11], v[8:9], off
	v_cmp_gt_u32_e32 vcc, s6, v1
	s_waitcnt vmcnt(0)
	ds_write_b128 v0, v[8:11] offset:8192
	s_and_saveexec_b64 s[12:13], vcc
	s_xor_b64 s[12:13], exec, s[12:13]
	s_cbranch_execz .LBB159_11
; %bb.5:
	v_add_co_u32_e32 v8, vcc, 0x4000, v2
	v_add_u32_e32 v1, 0x3000, v6
	s_nop 0
	v_addc_co_u32_e32 v9, vcc, 0, v3, vcc
	global_load_dwordx4 v[8:11], v[8:9], off
	v_cmp_gt_u32_e32 vcc, s6, v1
	s_waitcnt vmcnt(0)
	ds_write_b128 v0, v[8:11] offset:16384
	s_and_saveexec_b64 s[12:13], vcc
	s_xor_b64 s[12:13], exec, s[12:13]
	s_cbranch_execz .LBB159_11
; %bb.6:
	;; [unrolled: 12-line block ×6, first 2 shown]
	v_add_co_u32_e32 v2, vcc, 0xe000, v2
	s_nop 1
	v_addc_co_u32_e32 v3, vcc, 0, v3, vcc
	global_load_dwordx4 v[6:9], v[2:3], off
	s_waitcnt vmcnt(0)
	ds_write_b128 v0, v[6:9] offset:57344
.LBB159_11:
	s_or_b64 exec, exec, s[2:3]
	v_cmp_gt_u32_e32 vcc, s4, v5
	v_cmp_gt_u32_e64 s[2:3], s11, v36
	s_and_b64 s[2:3], vcc, s[2:3]
	s_waitcnt lgkmcnt(0)
	s_barrier
	s_and_saveexec_b64 s[6:7], s[2:3]
	s_cbranch_execz .LBB159_50
; %bb.12:
	v_cvt_f32_u32_e32 v0, s33
	s_load_dwordx4 s[12:15], s[0:1], 0x28
	s_load_dwordx2 s[18:19], s[0:1], 0x18
	s_cmp_lg_u32 s8, 0
	s_cselect_b64 s[2:3], -1, 0
	v_rcp_iflag_f32_e32 v0, v0
	s_add_i32 s10, s8, -8
	s_add_i32 s36, s11, -1
	s_waitcnt lgkmcnt(0)
	s_cmp_lg_u64 s[12:13], 0
	v_mul_f32_e32 v0, 0x4f7ffffe, v0
	v_cvt_u32_f32_e32 v0, v0
	s_cselect_b64 s[22:23], -1, 0
	s_mul_i32 s37, s5, s4
	s_sub_i32 s4, 0, s33
	v_mul_lo_u32 v1, s4, v0
	v_mul_hi_u32 v1, v0, v1
	s_sub_i32 s38, s37, s11
	v_add_u32_e32 v52, v0, v1
	v_cndmask_b32_e64 v0, 0, 1, s[2:3]
	v_cmp_eq_u32_e64 s[0:1], 31, v4
	s_mov_b64 s[20:21], 0
	s_add_i32 s38, s38, 2
	v_mov_b32_e32 v39, 0
	v_lshlrev_b32_e32 v53, 4, v4
	v_cmp_ne_u32_e64 s[2:3], 1, v0
	s_movk_i32 s39, 0x7fff
	s_mov_b32 s40, 0x7f800000
	s_mov_b32 s24, 0
	s_branch .LBB159_15
.LBB159_13:                             ;   in Loop: Header=BB159_15 Depth=1
	s_or_b64 exec, exec, s[6:7]
	v_mov_b32_e32 v37, v39
	v_lshl_add_u64 v[2:3], v[36:37], 1, s[14:15]
	global_store_short_d16_hi v[2:3], v0, off
.LBB159_14:                             ;   in Loop: Header=BB159_15 Depth=1
	s_or_b64 exec, exec, s[4:5]
	v_add_u32_e32 v0, s37, v36
	v_add_u32_e32 v1, 1, v0
	v_cmp_le_u32_e32 vcc, s11, v0
	v_cmp_gt_u32_e64 s[4:5], s11, v1
	v_add_u32_e32 v1, s38, v36
	v_cmp_eq_u32_e64 s[6:7], 1, v1
	v_mov_b32_e32 v1, s36
	s_or_b64 vcc, vcc, s[4:5]
	v_cndmask_b32_e32 v36, v1, v0, vcc
	v_cmp_le_u32_e64 s[4:5], s11, v36
	s_or_b64 vcc, vcc, s[6:7]
	s_or_b64 s[20:21], s[4:5], s[20:21]
	v_cndmask_b32_e32 v50, 0, v50, vcc
	s_andn2_b64 exec, exec, s[20:21]
	s_cbranch_execz .LBB159_50
.LBB159_15:                             ; =>This Loop Header: Depth=1
                                        ;     Child Loop BB159_22 Depth 2
	s_and_b64 vcc, exec, s[2:3]
	v_mov_b32_e32 v3, v39
	s_waitcnt vmcnt(0)
	v_mov_b32_e32 v2, v39
	v_mov_b32_e32 v1, v39
	;; [unrolled: 1-line block ×3, first 2 shown]
	s_cbranch_vccnz .LBB159_42
; %bb.16:                               ;   in Loop: Header=BB159_15 Depth=1
	v_min_u32_e32 v0, s36, v36
	v_mul_lo_u32 v38, v0, s9
	v_mov_b32_e32 v0, 0
	v_lshl_add_u64 v[40:41], v[38:39], 1, s[18:19]
	s_mov_b32 s4, 0
	v_mov_b32_e32 v37, v53
	s_mov_b32 s41, 0
	v_mov_b32_e32 v1, v0
	v_mov_b32_e32 v2, v0
	;; [unrolled: 1-line block ×3, first 2 shown]
	s_branch .LBB159_22
.LBB159_17:                             ;   in Loop: Header=BB159_22 Depth=2
	s_or_b64 exec, exec, s[34:35]
.LBB159_18:                             ;   in Loop: Header=BB159_22 Depth=2
	s_or_b64 exec, exec, s[30:31]
.LBB159_19:                             ;   in Loop: Header=BB159_22 Depth=2
	s_or_b64 exec, exec, s[28:29]
.LBB159_20:                             ;   in Loop: Header=BB159_22 Depth=2
	s_or_b64 exec, exec, s[26:27]
.LBB159_21:                             ;   in Loop: Header=BB159_22 Depth=2
	s_or_b64 exec, exec, s[6:7]
	s_waitcnt vmcnt(0) lgkmcnt(0)
	v_mfma_f32_4x4x4_16b_bf16 v[0:3], v[20:21], v[16:17], v[0:3]
	s_addk_i32 s41, 0x400
	v_add_u32_e32 v37, 0x800, v37
	v_mfma_f32_4x4x4_16b_bf16 v[0:3], v[22:23], v[18:19], v[0:3]
	s_cmp_lt_u32 s41, s8
	s_nop 0
	v_mfma_f32_4x4x4_16b_bf16 v[0:3], v[24:25], v[8:9], v[0:3]
	s_nop 1
	v_mfma_f32_4x4x4_16b_bf16 v[0:3], v[26:27], v[10:11], v[0:3]
	;; [unrolled: 2-line block ×6, first 2 shown]
	s_cbranch_scc0 .LBB159_42
.LBB159_22:                             ;   Parent Loop BB159_15 Depth=1
                                        ; =>  This Inner Loop Header: Depth=2
	v_add_u32_e32 v48, s41, v51
	v_min_u32_e32 v38, s10, v48
	v_add_u32_e32 v46, 0x100, v48
	v_lshl_add_u64 v[4:5], v[38:39], 1, v[40:41]
	v_min_u32_e32 v38, s10, v46
	v_add_u32_e32 v44, 0x200, v48
	v_lshl_add_u64 v[6:7], v[38:39], 1, v[40:41]
	;; [unrolled: 3-line block ×3, first 2 shown]
	v_min_u32_e32 v38, s10, v42
	global_load_dwordx4 v[16:19], v[4:5], off nt
	global_load_dwordx4 v[8:11], v[6:7], off nt
	v_lshl_add_u64 v[22:23], v[38:39], 1, v[40:41]
	global_load_dwordx4 v[12:15], v[20:21], off nt
	global_load_dwordx4 v[4:7], v[22:23], off nt
	s_mov_b32 s5, s4
	v_cmp_gt_u32_e32 vcc, s8, v48
	v_mov_b64_e32 v[30:31], s[4:5]
	v_mov_b32_e32 v35, 0
	v_mov_b32_e32 v34, 0
	;; [unrolled: 1-line block ×4, first 2 shown]
	v_mov_b64_e32 v[28:29], s[4:5]
	v_mov_b64_e32 v[20:21], s[4:5]
	;; [unrolled: 1-line block ×5, first 2 shown]
	s_and_saveexec_b64 s[6:7], vcc
	s_cbranch_execz .LBB159_21
; %bb.23:                               ;   in Loop: Header=BB159_22 Depth=2
	v_cmp_lt_u32_e32 vcc, s39, v48
                                        ; implicit-def: $vgpr20_vgpr21
	s_and_saveexec_b64 s[26:27], vcc
	s_xor_b64 s[26:27], exec, s[26:27]
	s_cbranch_execz .LBB159_25
; %bb.24:                               ;   in Loop: Header=BB159_22 Depth=2
	v_mov_b32_e32 v49, v39
	v_lshl_add_u64 v[20:21], v[48:49], 1, s[16:17]
	global_load_dwordx4 v[20:23], v[20:21], off
.LBB159_25:                             ;   in Loop: Header=BB159_22 Depth=2
	s_andn2_saveexec_b64 s[26:27], s[26:27]
	s_cbranch_execz .LBB159_27
; %bb.26:                               ;   in Loop: Header=BB159_22 Depth=2
	s_waitcnt vmcnt(0)
	ds_read_b128 v[20:23], v37
.LBB159_27:                             ;   in Loop: Header=BB159_22 Depth=2
	s_or_b64 exec, exec, s[26:27]
	s_mov_b32 s25, s24
	v_cmp_gt_u32_e32 vcc, s8, v46
	v_mov_b32_e32 v35, 0
	v_mov_b64_e32 v[30:31], s[24:25]
	v_mov_b32_e32 v34, 0
	v_mov_b32_e32 v33, 0
	;; [unrolled: 1-line block ×3, first 2 shown]
	v_mov_b64_e32 v[28:29], s[24:25]
	v_mov_b64_e32 v[24:25], s[24:25]
	;; [unrolled: 1-line block ×3, first 2 shown]
	s_and_saveexec_b64 s[26:27], vcc
	s_cbranch_execz .LBB159_20
; %bb.28:                               ;   in Loop: Header=BB159_22 Depth=2
	v_cmp_lt_u32_e32 vcc, s39, v46
                                        ; implicit-def: $vgpr24_vgpr25
	s_and_saveexec_b64 s[28:29], vcc
	s_xor_b64 s[28:29], exec, s[28:29]
	s_cbranch_execz .LBB159_30
; %bb.29:                               ;   in Loop: Header=BB159_22 Depth=2
	v_mov_b32_e32 v47, v39
	v_lshl_add_u64 v[24:25], v[46:47], 1, s[16:17]
	global_load_dwordx4 v[24:27], v[24:25], off
.LBB159_30:                             ;   in Loop: Header=BB159_22 Depth=2
	s_andn2_saveexec_b64 s[28:29], s[28:29]
	s_cbranch_execz .LBB159_32
; %bb.31:                               ;   in Loop: Header=BB159_22 Depth=2
	s_waitcnt vmcnt(0)
	ds_read_b128 v[24:27], v37 offset:512
.LBB159_32:                             ;   in Loop: Header=BB159_22 Depth=2
	s_or_b64 exec, exec, s[28:29]
	s_mov_b32 s25, s24
	v_cmp_gt_u32_e32 vcc, s8, v44
	v_mov_b32_e32 v35, 0
	v_mov_b64_e32 v[30:31], s[24:25]
	v_mov_b32_e32 v34, 0
	v_mov_b32_e32 v33, 0
	;; [unrolled: 1-line block ×3, first 2 shown]
	v_mov_b64_e32 v[28:29], s[24:25]
	s_and_saveexec_b64 s[28:29], vcc
	s_cbranch_execz .LBB159_19
; %bb.33:                               ;   in Loop: Header=BB159_22 Depth=2
	v_cmp_lt_u32_e32 vcc, s39, v44
                                        ; implicit-def: $vgpr30_vgpr31
	s_and_saveexec_b64 s[30:31], vcc
	s_xor_b64 s[30:31], exec, s[30:31]
	s_cbranch_execz .LBB159_35
; %bb.34:                               ;   in Loop: Header=BB159_22 Depth=2
	v_mov_b32_e32 v45, v39
	v_lshl_add_u64 v[28:29], v[44:45], 1, s[16:17]
	global_load_dwordx4 v[28:31], v[28:29], off
.LBB159_35:                             ;   in Loop: Header=BB159_22 Depth=2
	s_andn2_saveexec_b64 s[30:31], s[30:31]
	s_cbranch_execz .LBB159_37
; %bb.36:                               ;   in Loop: Header=BB159_22 Depth=2
	s_waitcnt vmcnt(0)
	ds_read_b128 v[28:31], v37 offset:1024
.LBB159_37:                             ;   in Loop: Header=BB159_22 Depth=2
	s_or_b64 exec, exec, s[30:31]
	v_cmp_gt_u32_e32 vcc, s8, v42
	v_mov_b32_e32 v35, 0
	v_mov_b32_e32 v34, 0
	;; [unrolled: 1-line block ×4, first 2 shown]
	s_and_saveexec_b64 s[30:31], vcc
	s_cbranch_execz .LBB159_18
; %bb.38:                               ;   in Loop: Header=BB159_22 Depth=2
	v_cmp_lt_u32_e32 vcc, s39, v42
                                        ; implicit-def: $vgpr35
	s_and_saveexec_b64 s[34:35], vcc
	s_xor_b64 s[34:35], exec, s[34:35]
	s_cbranch_execz .LBB159_40
; %bb.39:                               ;   in Loop: Header=BB159_22 Depth=2
	v_mov_b32_e32 v43, v39
	v_lshl_add_u64 v[32:33], v[42:43], 1, s[16:17]
	global_load_dwordx4 v[32:35], v[32:33], off
.LBB159_40:                             ;   in Loop: Header=BB159_22 Depth=2
	s_andn2_saveexec_b64 s[34:35], s[34:35]
	s_cbranch_execz .LBB159_17
; %bb.41:                               ;   in Loop: Header=BB159_22 Depth=2
	s_waitcnt vmcnt(0)
	ds_read_b128 v[32:35], v37 offset:1536
	s_branch .LBB159_17
.LBB159_42:                             ;   in Loop: Header=BB159_15 Depth=1
	s_nop 3
	v_cvt_i32_f32_e32 v1, v1
	v_cvt_i32_f32_e32 v2, v2
	;; [unrolled: 1-line block ×3, first 2 shown]
	v_cvt_f32_i32_dpp v1, v1 row_shl:1 row_mask:0xf bank_mask:0xf bound_ctrl:1
	v_cvt_f32_i32_dpp v2, v2 row_shl:2 row_mask:0xf bank_mask:0xf bound_ctrl:1
	;; [unrolled: 1-line block ×3, first 2 shown]
	v_add_f32_e32 v0, v0, v1
	v_add_f32_e32 v0, v0, v2
	;; [unrolled: 1-line block ×3, first 2 shown]
	v_cvt_i32_f32_e32 v1, v0
	s_nop 1
	v_cvt_f32_i32_dpp v1, v1 row_shl:4 row_mask:0xf bank_mask:0xf bound_ctrl:1
	v_add_f32_e32 v0, v0, v1
	v_cvt_i32_f32_e32 v1, v0
	s_nop 1
	v_cvt_f32_i32_dpp v1, v1 row_shl:8 row_mask:0xf bank_mask:0xf bound_ctrl:1
	v_add_f32_e32 v0, v0, v1
	v_cvt_i32_f32_e32 v0, v0
	s_nop 1
	v_cvt_f32_i32_dpp v0, v0 row_shr:15 row_mask:0xf bank_mask:0xf bound_ctrl:1
	v_cvt_i32_f32_e32 v1, v0
	s_nop 1
	v_cvt_f32_i32_dpp v1, v1 row_bcast:15 row_mask:0xf bank_mask:0xf bound_ctrl:1
	v_add_f32_e32 v0, v0, v1
	v_cvt_i32_f32_e32 v1, v0
	s_nop 1
	v_mov_b32_dpp v1, v1 row_bcast:31 row_mask:0xf bank_mask:0xf bound_ctrl:1
	s_and_saveexec_b64 s[4:5], s[0:1]
	s_cbranch_execz .LBB159_14
; %bb.43:                               ;   in Loop: Header=BB159_15 Depth=1
	s_andn2_b64 vcc, exec, s[22:23]
	s_cbranch_vccnz .LBB159_45
; %bb.44:                               ;   in Loop: Header=BB159_15 Depth=1
	v_mul_hi_u32 v2, v36, v52
	v_mul_lo_u32 v2, v2, s33
	v_sub_u32_e32 v2, v36, v2
	v_subrev_u32_e32 v3, s33, v2
	v_cmp_le_u32_e32 vcc, s33, v2
	s_nop 1
	v_cndmask_b32_e32 v2, v2, v3, vcc
	v_subrev_u32_e32 v3, s33, v2
	v_cmp_le_u32_e32 vcc, s33, v2
	s_nop 1
	v_cndmask_b32_e32 v38, v2, v3, vcc
	v_lshl_add_u64 v[2:3], v[38:39], 1, s[12:13]
	global_load_ushort v2, v[2:3], off
	v_cmp_ne_u32_e32 vcc, 0, v50
	s_and_b64 exec, exec, vcc
	s_cbranch_execz .LBB159_14
	s_branch .LBB159_46
.LBB159_45:                             ;   in Loop: Header=BB159_15 Depth=1
	v_mov_b32_e32 v2, 0
	v_cmp_ne_u32_e32 vcc, 0, v50
	s_and_b64 exec, exec, vcc
	s_cbranch_execz .LBB159_14
.LBB159_46:                             ;   in Loop: Header=BB159_15 Depth=1
	v_cvt_f32_i32_e32 v1, v1
	v_add_f32_e32 v0, v0, v1
	s_waitcnt vmcnt(0)
	v_lshlrev_b32_e32 v1, 16, v2
	v_add_f32_e32 v1, v0, v1
	v_and_b32_e32 v0, 0x7f800000, v1
	v_cmp_ne_u32_e32 vcc, s40, v0
                                        ; implicit-def: $vgpr0
	s_and_saveexec_b64 s[6:7], vcc
	s_xor_b64 s[6:7], exec, s[6:7]
; %bb.47:                               ;   in Loop: Header=BB159_15 Depth=1
	v_bfe_u32 v0, v1, 16, 1
	v_add3_u32 v0, v1, v0, s39
                                        ; implicit-def: $vgpr1
; %bb.48:                               ;   in Loop: Header=BB159_15 Depth=1
	s_andn2_saveexec_b64 s[6:7], s[6:7]
	s_cbranch_execz .LBB159_13
; %bb.49:                               ;   in Loop: Header=BB159_15 Depth=1
	v_or_b32_e32 v0, 0x10000, v1
	v_cmp_eq_u32_sdwa vcc, v1, v39 src0_sel:WORD_0 src1_sel:DWORD
	s_nop 1
	v_cndmask_b32_e32 v0, v0, v1, vcc
	s_branch .LBB159_13
.LBB159_50:
	s_endpgm
	.section	.rodata,"a",@progbits
	.p2align	6, 0x0
	.amdhsa_kernel _Z12wvSplitK_hf_I14__hip_bfloat16Li32ELi1ELi16ELi8ELi4ELi1EEviiiiiiPKT_S3_S3_PS1_ii
		.amdhsa_group_segment_fixed_size 65536
		.amdhsa_private_segment_fixed_size 0
		.amdhsa_kernarg_size 64
		.amdhsa_user_sgpr_count 2
		.amdhsa_user_sgpr_dispatch_ptr 0
		.amdhsa_user_sgpr_queue_ptr 0
		.amdhsa_user_sgpr_kernarg_segment_ptr 1
		.amdhsa_user_sgpr_dispatch_id 0
		.amdhsa_user_sgpr_kernarg_preload_length 0
		.amdhsa_user_sgpr_kernarg_preload_offset 0
		.amdhsa_user_sgpr_private_segment_size 0
		.amdhsa_uses_dynamic_stack 0
		.amdhsa_enable_private_segment 0
		.amdhsa_system_sgpr_workgroup_id_x 1
		.amdhsa_system_sgpr_workgroup_id_y 0
		.amdhsa_system_sgpr_workgroup_id_z 0
		.amdhsa_system_sgpr_workgroup_info 0
		.amdhsa_system_vgpr_workitem_id 1
		.amdhsa_next_free_vgpr 54
		.amdhsa_next_free_sgpr 42
		.amdhsa_accum_offset 56
		.amdhsa_reserve_vcc 1
		.amdhsa_float_round_mode_32 0
		.amdhsa_float_round_mode_16_64 0
		.amdhsa_float_denorm_mode_32 3
		.amdhsa_float_denorm_mode_16_64 3
		.amdhsa_dx10_clamp 1
		.amdhsa_ieee_mode 1
		.amdhsa_fp16_overflow 0
		.amdhsa_tg_split 0
		.amdhsa_exception_fp_ieee_invalid_op 0
		.amdhsa_exception_fp_denorm_src 0
		.amdhsa_exception_fp_ieee_div_zero 0
		.amdhsa_exception_fp_ieee_overflow 0
		.amdhsa_exception_fp_ieee_underflow 0
		.amdhsa_exception_fp_ieee_inexact 0
		.amdhsa_exception_int_div_zero 0
	.end_amdhsa_kernel
	.section	.text._Z12wvSplitK_hf_I14__hip_bfloat16Li32ELi1ELi16ELi8ELi4ELi1EEviiiiiiPKT_S3_S3_PS1_ii,"axG",@progbits,_Z12wvSplitK_hf_I14__hip_bfloat16Li32ELi1ELi16ELi8ELi4ELi1EEviiiiiiPKT_S3_S3_PS1_ii,comdat
.Lfunc_end159:
	.size	_Z12wvSplitK_hf_I14__hip_bfloat16Li32ELi1ELi16ELi8ELi4ELi1EEviiiiiiPKT_S3_S3_PS1_ii, .Lfunc_end159-_Z12wvSplitK_hf_I14__hip_bfloat16Li32ELi1ELi16ELi8ELi4ELi1EEviiiiiiPKT_S3_S3_PS1_ii
                                        ; -- End function
	.section	.AMDGPU.csdata,"",@progbits
; Kernel info:
; codeLenInByte = 1984
; NumSgprs: 48
; NumVgprs: 54
; NumAgprs: 0
; TotalNumVgprs: 54
; ScratchSize: 0
; MemoryBound: 1
; FloatMode: 240
; IeeeMode: 1
; LDSByteSize: 65536 bytes/workgroup (compile time only)
; SGPRBlocks: 5
; VGPRBlocks: 6
; NumSGPRsForWavesPerEU: 48
; NumVGPRsForWavesPerEU: 54
; AccumOffset: 56
; Occupancy: 2
; WaveLimiterHint : 0
; COMPUTE_PGM_RSRC2:SCRATCH_EN: 0
; COMPUTE_PGM_RSRC2:USER_SGPR: 2
; COMPUTE_PGM_RSRC2:TRAP_HANDLER: 0
; COMPUTE_PGM_RSRC2:TGID_X_EN: 1
; COMPUTE_PGM_RSRC2:TGID_Y_EN: 0
; COMPUTE_PGM_RSRC2:TGID_Z_EN: 0
; COMPUTE_PGM_RSRC2:TIDIG_COMP_CNT: 1
; COMPUTE_PGM_RSRC3_GFX90A:ACCUM_OFFSET: 13
; COMPUTE_PGM_RSRC3_GFX90A:TG_SPLIT: 0
	.section	.text._Z16wvSplitK_hf_big_I14__hip_bfloat16Li32ELi1ELi16ELi8ELi4ELi1EEviiiiiiPKT_S3_S3_PS1_ii,"axG",@progbits,_Z16wvSplitK_hf_big_I14__hip_bfloat16Li32ELi1ELi16ELi8ELi4ELi1EEviiiiiiPKT_S3_S3_PS1_ii,comdat
	.protected	_Z16wvSplitK_hf_big_I14__hip_bfloat16Li32ELi1ELi16ELi8ELi4ELi1EEviiiiiiPKT_S3_S3_PS1_ii ; -- Begin function _Z16wvSplitK_hf_big_I14__hip_bfloat16Li32ELi1ELi16ELi8ELi4ELi1EEviiiiiiPKT_S3_S3_PS1_ii
	.globl	_Z16wvSplitK_hf_big_I14__hip_bfloat16Li32ELi1ELi16ELi8ELi4ELi1EEviiiiiiPKT_S3_S3_PS1_ii
	.p2align	8
	.type	_Z16wvSplitK_hf_big_I14__hip_bfloat16Li32ELi1ELi16ELi8ELi4ELi1EEviiiiiiPKT_S3_S3_PS1_ii,@function
_Z16wvSplitK_hf_big_I14__hip_bfloat16Li32ELi1ELi16ELi8ELi4ELi1EEviiiiiiPKT_S3_S3_PS1_ii: ; @_Z16wvSplitK_hf_big_I14__hip_bfloat16Li32ELi1ELi16ELi8ELi4ELi1EEviiiiiiPKT_S3_S3_PS1_ii
; %bb.0:
	s_load_dwordx2 s[4:5], s[0:1], 0x38
	v_bfe_u32 v1, v0, 10, 10
	s_waitcnt lgkmcnt(0)
	v_cmp_gt_u32_e32 vcc, s4, v1
	s_and_saveexec_b64 s[6:7], vcc
	s_cbranch_execz .LBB160_42
; %bb.1:
	s_load_dwordx4 s[20:23], s[0:1], 0x0
	s_mul_i32 s2, s2, s4
	v_add_u32_e32 v36, s2, v1
	v_add_u32_e32 v2, 1, v36
	v_mov_b32_e32 v42, 1
	s_waitcnt lgkmcnt(0)
	v_cmp_gt_u32_e32 vcc, s23, v36
	v_cmp_le_u32_e64 s[2:3], s23, v2
	s_and_b64 s[6:7], vcc, s[2:3]
	s_and_saveexec_b64 s[2:3], s[6:7]
; %bb.2:
	v_subrev_u32_e32 v2, s23, v36
	v_cmp_eq_u32_e32 vcc, -1, v2
	s_add_i32 s6, s23, -1
	v_mov_b32_e32 v36, s6
	v_cndmask_b32_e64 v42, 0, 1, vcc
; %bb.3:
	s_or_b64 exec, exec, s[2:3]
	s_abs_i32 s2, s4
	v_cvt_f32_u32_e32 v2, s2
	s_sub_i32 s7, 0, s2
	s_abs_i32 s6, s23
	s_ashr_i32 s3, s23, 31
	v_rcp_iflag_f32_e32 v2, v2
	s_nop 0
	v_mul_f32_e32 v2, 0x4f7ffffe, v2
	v_cvt_u32_f32_e32 v2, v2
	s_nop 0
	v_readfirstlane_b32 s8, v2
	s_mul_i32 s7, s7, s8
	s_mul_hi_u32 s7, s8, s7
	s_add_i32 s8, s8, s7
	s_mul_hi_u32 s7, s6, s8
	s_mul_i32 s7, s7, s2
	s_sub_i32 s6, s6, s7
	s_sub_i32 s7, s6, s2
	s_cmp_ge_u32 s6, s2
	s_cselect_b32 s6, s7, s6
	s_sub_i32 s7, s6, s2
	s_cmp_ge_u32 s6, s2
	s_cselect_b32 s2, s7, s6
	s_xor_b32 s2, s2, s3
	s_sub_i32 s2, s2, s3
	s_add_i32 s3, s4, s23
	s_sub_i32 s3, s3, s2
	s_cmp_eq_u32 s2, 0
	s_cselect_b32 s33, s23, s3
	v_cmp_gt_u32_e32 vcc, s33, v36
	s_and_b64 exec, exec, vcc
	s_cbranch_execz .LBB160_42
; %bb.4:
	s_load_dwordx8 s[12:19], s[0:1], 0x18
	s_load_dword s36, s[0:1], 0x10
	s_min_u32 s37, s22, 0x8000
	s_cmp_lg_u32 s20, 0
	s_cselect_b64 s[2:3], -1, 0
	s_cmp_lg_u32 s22, 0
	s_waitcnt lgkmcnt(0)
	v_cvt_f32_u32_e32 v2, s36
	s_cselect_b64 s[6:7], -1, 0
	v_and_b32_e32 v0, 0x3ff, v0
	s_lshl_b32 s38, s4, 8
	v_rcp_iflag_f32_e32 v2, v2
	s_add_i32 s39, s20, -8
	s_add_i32 s40, s23, -1
	v_lshlrev_b32_e32 v43, 3, v0
	v_mul_f32_e32 v2, 0x4f7ffffe, v2
	v_cvt_u32_f32_e32 v2, v2
	v_cmp_eq_u32_e64 s[0:1], 31, v0
	s_cmp_lg_u64 s[16:17], 0
	v_lshlrev_b32_e32 v0, 4, v0
	s_mul_i32 s41, s5, s4
	s_cselect_b64 s[8:9], -1, 0
	s_sub_i32 s5, 0, s36
	v_lshl_add_u32 v45, v1, 9, v0
	v_cndmask_b32_e64 v0, 0, 1, s[2:3]
	v_mul_lo_u32 v3, s5, v2
	v_cmp_ne_u32_e64 s[2:3], 1, v0
	v_cndmask_b32_e64 v0, 0, 1, s[6:7]
	s_sub_i32 s42, s41, s23
	v_mul_hi_u32 v3, v2, v3
	s_lshl_b32 s43, s4, 9
	v_cmp_ne_u32_e64 s[4:5], 1, v0
	v_cndmask_b32_e64 v0, 0, 1, s[8:9]
	s_mov_b64 s[24:25], 0
	s_add_i32 s42, s42, 2
	v_add_u32_e32 v44, v2, v3
	v_mov_b32_e32 v39, 0
	v_lshl_add_u32 v46, v1, 8, v43
	v_cmp_ne_u32_e64 s[6:7], 1, v0
	s_mov_b32 s44, 0x7f800000
	s_movk_i32 s45, 0x7fff
	s_branch .LBB160_7
.LBB160_5:                              ;   in Loop: Header=BB160_7 Depth=1
	s_or_b64 exec, exec, s[8:9]
.LBB160_6:                              ;   in Loop: Header=BB160_7 Depth=1
	s_or_b64 exec, exec, s[10:11]
	v_cmp_le_u32_e32 vcc, s33, v4
	s_or_b64 s[24:25], vcc, s[24:25]
	v_mov_b32_e32 v36, v4
	s_andn2_b64 exec, exec, s[24:25]
	s_cbranch_execz .LBB160_42
.LBB160_7:                              ; =>This Loop Header: Depth=1
                                        ;     Child Loop BB160_14 Depth 2
                                        ;       Child Loop BB160_19 Depth 3
	s_and_b64 vcc, exec, s[2:3]
	v_mov_b32_e32 v3, v39
	s_waitcnt vmcnt(0)
	v_mov_b32_e32 v2, v39
	v_mov_b32_e32 v1, v39
	;; [unrolled: 1-line block ×3, first 2 shown]
	s_cbranch_vccnz .LBB160_28
; %bb.8:                                ;   in Loop: Header=BB160_7 Depth=1
	v_min_u32_e32 v0, s40, v36
	v_mul_lo_u32 v38, v0, s21
	v_mov_b32_e32 v0, 0
	v_cmp_gt_u32_e64 s[8:9], s23, v36
	v_lshl_add_u64 v[40:41], v[38:39], 1, s[12:13]
	s_mov_b32 s46, 0
	s_mov_b32 s47, 0
	v_mov_b32_e32 v1, v0
	v_mov_b32_e32 v2, v0
	;; [unrolled: 1-line block ×3, first 2 shown]
	s_branch .LBB160_14
.LBB160_9:                              ;   in Loop: Header=BB160_14 Depth=2
	s_or_b64 exec, exec, s[34:35]
.LBB160_10:                             ;   in Loop: Header=BB160_14 Depth=2
	s_or_b64 exec, exec, s[30:31]
.LBB160_11:                             ;   in Loop: Header=BB160_14 Depth=2
	s_or_b64 exec, exec, s[28:29]
.LBB160_12:                             ;   in Loop: Header=BB160_14 Depth=2
	s_or_b64 exec, exec, s[26:27]
	s_waitcnt vmcnt(3) lgkmcnt(0)
	v_mfma_f32_4x4x4_16b_bf16 v[0:3], v[28:29], v[16:17], v[0:3]
	s_nop 1
	v_mfma_f32_4x4x4_16b_bf16 v[0:3], v[30:31], v[18:19], v[0:3]
	s_waitcnt vmcnt(2)
	s_nop 0
	v_mfma_f32_4x4x4_16b_bf16 v[0:3], v[24:25], v[8:9], v[0:3]
	s_nop 1
	v_mfma_f32_4x4x4_16b_bf16 v[0:3], v[26:27], v[10:11], v[0:3]
	s_waitcnt vmcnt(1)
	s_nop 0
	;; [unrolled: 5-line block ×3, first 2 shown]
	v_mfma_f32_4x4x4_16b_bf16 v[0:3], v[20:21], v[4:5], v[0:3]
	s_nop 1
	v_mfma_f32_4x4x4_16b_bf16 v[0:3], v[22:23], v[6:7], v[0:3]
.LBB160_13:                             ;   in Loop: Header=BB160_14 Depth=2
	s_or_b64 exec, exec, s[10:11]
	s_addk_i32 s47, 0x400
	s_cmp_ge_u32 s47, s20
	s_cbranch_scc1 .LBB160_28
.LBB160_14:                             ;   Parent Loop BB160_7 Depth=1
                                        ; =>  This Loop Header: Depth=2
                                        ;       Child Loop BB160_19 Depth 3
	s_cmp_eq_u32 s47, 0
	s_cselect_b64 s[10:11], -1, 0
	s_add_i32 s26, s46, s37
	s_cmp_eq_u32 s47, s26
	s_cselect_b64 s[28:29], -1, 0
	s_or_b64 s[28:29], s[10:11], s[28:29]
	s_andn2_b64 vcc, exec, s[28:29]
	s_cbranch_vccz .LBB160_16
; %bb.15:                               ;   in Loop: Header=BB160_14 Depth=2
	s_and_saveexec_b64 s[10:11], s[8:9]
	s_cbranch_execz .LBB160_13
	s_branch .LBB160_23
.LBB160_16:                             ;   in Loop: Header=BB160_14 Depth=2
	s_and_b64 s[10:11], s[10:11], exec
	s_cselect_b32 s46, s46, s26
	s_and_b64 vcc, exec, s[4:5]
	s_barrier
	s_cbranch_vccnz .LBB160_22
; %bb.17:                               ;   in Loop: Header=BB160_14 Depth=2
	v_add_u32_e32 v4, s46, v46
	s_mov_b32 s30, 0
	s_mov_b64 s[26:27], 0
	v_mov_b32_e32 v5, v45
                                        ; implicit-def: $sgpr28_sgpr29
	s_branch .LBB160_19
.LBB160_18:                             ;   in Loop: Header=BB160_19 Depth=3
	s_or_b64 exec, exec, s[10:11]
	s_and_b64 s[10:11], exec, s[28:29]
	s_or_b64 s[26:27], s[10:11], s[26:27]
	s_andn2_b64 exec, exec, s[26:27]
	s_cbranch_execz .LBB160_21
.LBB160_19:                             ;   Parent Loop BB160_7 Depth=1
                                        ;     Parent Loop BB160_14 Depth=2
                                        ; =>    This Inner Loop Header: Depth=3
	v_add_u32_e32 v6, s30, v46
	v_add_u32_e32 v38, s30, v4
	v_cmp_gt_u32_e32 vcc, s22, v38
	v_cmp_gt_u32_e64 s[10:11], s37, v6
	s_and_b64 s[34:35], s[10:11], vcc
	s_or_b64 s[28:29], s[28:29], exec
	s_and_saveexec_b64 s[10:11], s[34:35]
	s_cbranch_execz .LBB160_18
; %bb.20:                               ;   in Loop: Header=BB160_19 Depth=3
	v_lshl_add_u64 v[6:7], v[38:39], 1, s[14:15]
	global_load_dwordx4 v[6:9], v[6:7], off
	s_add_i32 s30, s30, s38
	s_cmp_ge_u32 s30, s37
	s_cselect_b64 s[34:35], -1, 0
	s_andn2_b64 s[28:29], s[28:29], exec
	s_and_b64 s[34:35], s[34:35], exec
	s_or_b64 s[28:29], s[28:29], s[34:35]
	s_waitcnt vmcnt(0)
	ds_write_b128 v5, v[6:9]
	v_add_u32_e32 v5, s43, v5
	s_branch .LBB160_18
.LBB160_21:                             ;   in Loop: Header=BB160_14 Depth=2
	s_or_b64 exec, exec, s[26:27]
.LBB160_22:                             ;   in Loop: Header=BB160_14 Depth=2
	s_waitcnt lgkmcnt(0)
	s_barrier
	s_and_saveexec_b64 s[10:11], s[8:9]
	s_cbranch_execz .LBB160_13
.LBB160_23:                             ;   in Loop: Header=BB160_14 Depth=2
	v_add_u32_e32 v48, s47, v43
	v_min_u32_e32 v38, s39, v48
	v_add_u32_e32 v49, 0x100, v48
	v_lshl_add_u64 v[4:5], v[38:39], 1, v[40:41]
	v_min_u32_e32 v38, s39, v49
	v_add_u32_e32 v47, 0x200, v48
	v_lshl_add_u64 v[6:7], v[38:39], 1, v[40:41]
	;; [unrolled: 3-line block ×3, first 2 shown]
	v_min_u32_e32 v38, s39, v37
	global_load_dwordx4 v[16:19], v[4:5], off nt
	global_load_dwordx4 v[8:11], v[6:7], off nt
	v_lshl_add_u64 v[22:23], v[38:39], 1, v[40:41]
	global_load_dwordx4 v[12:15], v[20:21], off nt
	global_load_dwordx4 v[4:7], v[22:23], off nt
	v_cmp_gt_u32_e32 vcc, s20, v48
	v_mov_b32_e32 v26, 0
	v_mov_b32_e32 v27, 0
	;; [unrolled: 1-line block ×16, first 2 shown]
	s_and_saveexec_b64 s[26:27], vcc
	s_cbranch_execz .LBB160_12
; %bb.24:                               ;   in Loop: Header=BB160_14 Depth=2
	v_subrev_u32_e32 v20, s46, v48
	v_lshlrev_b32_e32 v38, 1, v20
	ds_read_b128 v[28:31], v38
	v_cmp_gt_u32_e32 vcc, s20, v49
	v_mov_b32_e32 v23, 0
	v_mov_b32_e32 v22, 0
	;; [unrolled: 1-line block ×12, first 2 shown]
	s_and_saveexec_b64 s[28:29], vcc
	s_cbranch_execz .LBB160_11
; %bb.25:                               ;   in Loop: Header=BB160_14 Depth=2
	ds_read_b128 v[24:27], v38 offset:512
	v_cmp_gt_u32_e32 vcc, s20, v47
	v_mov_b32_e32 v23, 0
	v_mov_b32_e32 v22, 0
	;; [unrolled: 1-line block ×8, first 2 shown]
	s_and_saveexec_b64 s[30:31], vcc
	s_cbranch_execz .LBB160_10
; %bb.26:                               ;   in Loop: Header=BB160_14 Depth=2
	ds_read_b128 v[32:35], v38 offset:1024
	v_cmp_gt_u32_e32 vcc, s20, v37
	v_mov_b32_e32 v23, 0
	v_mov_b32_e32 v22, 0
	;; [unrolled: 1-line block ×4, first 2 shown]
	s_and_saveexec_b64 s[34:35], vcc
	s_cbranch_execz .LBB160_9
; %bb.27:                               ;   in Loop: Header=BB160_14 Depth=2
	ds_read_b128 v[20:23], v38 offset:1536
	s_branch .LBB160_9
.LBB160_28:                             ;   in Loop: Header=BB160_7 Depth=1
	v_cmp_le_u32_e32 vcc, s23, v36
                                        ; implicit-def: $vgpr4
	s_and_saveexec_b64 s[8:9], vcc
	s_xor_b64 s[8:9], exec, s[8:9]
; %bb.29:                               ;   in Loop: Header=BB160_7 Depth=1
	v_add_u32_e32 v4, s41, v36
                                        ; implicit-def: $vgpr36
                                        ; implicit-def: $vgpr1
; %bb.30:                               ;   in Loop: Header=BB160_7 Depth=1
	s_andn2_saveexec_b64 s[10:11], s[8:9]
	s_cbranch_execz .LBB160_6
; %bb.31:                               ;   in Loop: Header=BB160_7 Depth=1
	v_cvt_i32_f32_e32 v1, v1
	v_cvt_i32_f32_e32 v2, v2
	;; [unrolled: 1-line block ×3, first 2 shown]
	v_cvt_f32_i32_dpp v1, v1 row_shl:1 row_mask:0xf bank_mask:0xf bound_ctrl:1
	v_cvt_f32_i32_dpp v2, v2 row_shl:2 row_mask:0xf bank_mask:0xf bound_ctrl:1
	;; [unrolled: 1-line block ×3, first 2 shown]
	v_add_f32_e32 v0, v0, v1
	v_add_f32_e32 v0, v0, v2
	;; [unrolled: 1-line block ×3, first 2 shown]
	v_cvt_i32_f32_e32 v1, v0
	s_nop 1
	v_cvt_f32_i32_dpp v1, v1 row_shl:4 row_mask:0xf bank_mask:0xf bound_ctrl:1
	v_add_f32_e32 v0, v0, v1
	v_cvt_i32_f32_e32 v1, v0
	s_nop 1
	v_cvt_f32_i32_dpp v1, v1 row_shl:8 row_mask:0xf bank_mask:0xf bound_ctrl:1
	v_add_f32_e32 v0, v0, v1
	v_cvt_i32_f32_e32 v0, v0
	s_nop 1
	v_cvt_f32_i32_dpp v0, v0 row_shr:15 row_mask:0xf bank_mask:0xf bound_ctrl:1
	v_cvt_i32_f32_e32 v1, v0
	s_nop 1
	v_cvt_f32_i32_dpp v1, v1 row_bcast:15 row_mask:0xf bank_mask:0xf bound_ctrl:1
	v_add_f32_e32 v0, v0, v1
	v_cvt_i32_f32_e32 v1, v0
	s_nop 1
	v_mov_b32_dpp v1, v1 row_bcast:31 row_mask:0xf bank_mask:0xf bound_ctrl:1
	s_and_saveexec_b64 s[8:9], s[0:1]
	s_cbranch_execz .LBB160_40
; %bb.32:                               ;   in Loop: Header=BB160_7 Depth=1
	s_and_b64 vcc, exec, s[6:7]
	s_cbranch_vccnz .LBB160_34
; %bb.33:                               ;   in Loop: Header=BB160_7 Depth=1
	v_mul_hi_u32 v2, v36, v44
	v_mul_lo_u32 v2, v2, s36
	v_sub_u32_e32 v2, v36, v2
	v_subrev_u32_e32 v3, s36, v2
	v_cmp_le_u32_e32 vcc, s36, v2
	s_nop 1
	v_cndmask_b32_e32 v2, v2, v3, vcc
	v_subrev_u32_e32 v3, s36, v2
	v_cmp_le_u32_e32 vcc, s36, v2
	s_nop 1
	v_cndmask_b32_e32 v38, v2, v3, vcc
	v_lshl_add_u64 v[2:3], v[38:39], 1, s[16:17]
	global_load_ushort v2, v[2:3], off
	v_cmp_ne_u32_e32 vcc, 0, v42
	s_and_b64 exec, exec, vcc
	s_cbranch_execnz .LBB160_35
	s_branch .LBB160_40
.LBB160_34:                             ;   in Loop: Header=BB160_7 Depth=1
	v_mov_b32_e32 v2, 0
	v_cmp_ne_u32_e32 vcc, 0, v42
	s_and_b64 exec, exec, vcc
	s_cbranch_execz .LBB160_40
.LBB160_35:                             ;   in Loop: Header=BB160_7 Depth=1
	v_cvt_f32_i32_e32 v1, v1
	v_add_f32_e32 v0, v0, v1
	s_waitcnt vmcnt(0)
	v_lshlrev_b32_e32 v1, 16, v2
	v_add_f32_e32 v1, v0, v1
	v_and_b32_e32 v0, 0x7f800000, v1
	v_cmp_ne_u32_e32 vcc, s44, v0
                                        ; implicit-def: $vgpr0
	s_and_saveexec_b64 s[26:27], vcc
	s_xor_b64 s[26:27], exec, s[26:27]
; %bb.36:                               ;   in Loop: Header=BB160_7 Depth=1
	v_bfe_u32 v0, v1, 16, 1
	v_add3_u32 v0, v1, v0, s45
                                        ; implicit-def: $vgpr1
; %bb.37:                               ;   in Loop: Header=BB160_7 Depth=1
	s_andn2_saveexec_b64 s[26:27], s[26:27]
; %bb.38:                               ;   in Loop: Header=BB160_7 Depth=1
	v_or_b32_e32 v0, 0x10000, v1
	v_cmp_eq_u32_sdwa vcc, v1, v39 src0_sel:WORD_0 src1_sel:DWORD
	s_nop 1
	v_cndmask_b32_e32 v0, v0, v1, vcc
; %bb.39:                               ;   in Loop: Header=BB160_7 Depth=1
	s_or_b64 exec, exec, s[26:27]
	v_mov_b32_e32 v37, v39
	v_lshl_add_u64 v[2:3], v[36:37], 1, s[18:19]
	global_store_short_d16_hi v[2:3], v0, off
.LBB160_40:                             ;   in Loop: Header=BB160_7 Depth=1
	s_or_b64 exec, exec, s[8:9]
	v_add_u32_e32 v4, s41, v36
	v_add_u32_e32 v0, 1, v4
	v_cmp_gt_u32_e32 vcc, s23, v4
	v_cmp_le_u32_e64 s[8:9], s23, v0
	s_and_b64 s[26:27], vcc, s[8:9]
	s_and_saveexec_b64 s[8:9], s[26:27]
	s_cbranch_execz .LBB160_5
; %bb.41:                               ;   in Loop: Header=BB160_7 Depth=1
	v_add_u32_e32 v0, s42, v36
	v_cmp_eq_u32_e32 vcc, 1, v0
	v_mov_b32_e32 v4, s40
	s_nop 0
	v_cndmask_b32_e32 v42, 0, v42, vcc
	s_branch .LBB160_5
.LBB160_42:
	s_endpgm
	.section	.rodata,"a",@progbits
	.p2align	6, 0x0
	.amdhsa_kernel _Z16wvSplitK_hf_big_I14__hip_bfloat16Li32ELi1ELi16ELi8ELi4ELi1EEviiiiiiPKT_S3_S3_PS1_ii
		.amdhsa_group_segment_fixed_size 65536
		.amdhsa_private_segment_fixed_size 0
		.amdhsa_kernarg_size 64
		.amdhsa_user_sgpr_count 2
		.amdhsa_user_sgpr_dispatch_ptr 0
		.amdhsa_user_sgpr_queue_ptr 0
		.amdhsa_user_sgpr_kernarg_segment_ptr 1
		.amdhsa_user_sgpr_dispatch_id 0
		.amdhsa_user_sgpr_kernarg_preload_length 0
		.amdhsa_user_sgpr_kernarg_preload_offset 0
		.amdhsa_user_sgpr_private_segment_size 0
		.amdhsa_uses_dynamic_stack 0
		.amdhsa_enable_private_segment 0
		.amdhsa_system_sgpr_workgroup_id_x 1
		.amdhsa_system_sgpr_workgroup_id_y 0
		.amdhsa_system_sgpr_workgroup_id_z 0
		.amdhsa_system_sgpr_workgroup_info 0
		.amdhsa_system_vgpr_workitem_id 1
		.amdhsa_next_free_vgpr 50
		.amdhsa_next_free_sgpr 48
		.amdhsa_accum_offset 52
		.amdhsa_reserve_vcc 1
		.amdhsa_float_round_mode_32 0
		.amdhsa_float_round_mode_16_64 0
		.amdhsa_float_denorm_mode_32 3
		.amdhsa_float_denorm_mode_16_64 3
		.amdhsa_dx10_clamp 1
		.amdhsa_ieee_mode 1
		.amdhsa_fp16_overflow 0
		.amdhsa_tg_split 0
		.amdhsa_exception_fp_ieee_invalid_op 0
		.amdhsa_exception_fp_denorm_src 0
		.amdhsa_exception_fp_ieee_div_zero 0
		.amdhsa_exception_fp_ieee_overflow 0
		.amdhsa_exception_fp_ieee_underflow 0
		.amdhsa_exception_fp_ieee_inexact 0
		.amdhsa_exception_int_div_zero 0
	.end_amdhsa_kernel
	.section	.text._Z16wvSplitK_hf_big_I14__hip_bfloat16Li32ELi1ELi16ELi8ELi4ELi1EEviiiiiiPKT_S3_S3_PS1_ii,"axG",@progbits,_Z16wvSplitK_hf_big_I14__hip_bfloat16Li32ELi1ELi16ELi8ELi4ELi1EEviiiiiiPKT_S3_S3_PS1_ii,comdat
.Lfunc_end160:
	.size	_Z16wvSplitK_hf_big_I14__hip_bfloat16Li32ELi1ELi16ELi8ELi4ELi1EEviiiiiiPKT_S3_S3_PS1_ii, .Lfunc_end160-_Z16wvSplitK_hf_big_I14__hip_bfloat16Li32ELi1ELi16ELi8ELi4ELi1EEviiiiiiPKT_S3_S3_PS1_ii
                                        ; -- End function
	.section	.AMDGPU.csdata,"",@progbits
; Kernel info:
; codeLenInByte = 1760
; NumSgprs: 54
; NumVgprs: 50
; NumAgprs: 0
; TotalNumVgprs: 50
; ScratchSize: 0
; MemoryBound: 0
; FloatMode: 240
; IeeeMode: 1
; LDSByteSize: 65536 bytes/workgroup (compile time only)
; SGPRBlocks: 6
; VGPRBlocks: 6
; NumSGPRsForWavesPerEU: 54
; NumVGPRsForWavesPerEU: 50
; AccumOffset: 52
; Occupancy: 2
; WaveLimiterHint : 0
; COMPUTE_PGM_RSRC2:SCRATCH_EN: 0
; COMPUTE_PGM_RSRC2:USER_SGPR: 2
; COMPUTE_PGM_RSRC2:TRAP_HANDLER: 0
; COMPUTE_PGM_RSRC2:TGID_X_EN: 1
; COMPUTE_PGM_RSRC2:TGID_Y_EN: 0
; COMPUTE_PGM_RSRC2:TGID_Z_EN: 0
; COMPUTE_PGM_RSRC2:TIDIG_COMP_CNT: 1
; COMPUTE_PGM_RSRC3_GFX90A:ACCUM_OFFSET: 12
; COMPUTE_PGM_RSRC3_GFX90A:TG_SPLIT: 0
	.section	.text._Z16wvSplitK_hf_sml_I14__hip_bfloat16Li32ELi2ELi16ELi8ELi2ELi1EEviiiiiiPKT_S3_S3_PS1_ii,"axG",@progbits,_Z16wvSplitK_hf_sml_I14__hip_bfloat16Li32ELi2ELi16ELi8ELi2ELi1EEviiiiiiPKT_S3_S3_PS1_ii,comdat
	.protected	_Z16wvSplitK_hf_sml_I14__hip_bfloat16Li32ELi2ELi16ELi8ELi2ELi1EEviiiiiiPKT_S3_S3_PS1_ii ; -- Begin function _Z16wvSplitK_hf_sml_I14__hip_bfloat16Li32ELi2ELi16ELi8ELi2ELi1EEviiiiiiPKT_S3_S3_PS1_ii
	.globl	_Z16wvSplitK_hf_sml_I14__hip_bfloat16Li32ELi2ELi16ELi8ELi2ELi1EEviiiiiiPKT_S3_S3_PS1_ii
	.p2align	8
	.type	_Z16wvSplitK_hf_sml_I14__hip_bfloat16Li32ELi2ELi16ELi8ELi2ELi1EEviiiiiiPKT_S3_S3_PS1_ii,@function
_Z16wvSplitK_hf_sml_I14__hip_bfloat16Li32ELi2ELi16ELi8ELi2ELi1EEviiiiiiPKT_S3_S3_PS1_ii: ; @_Z16wvSplitK_hf_sml_I14__hip_bfloat16Li32ELi2ELi16ELi8ELi2ELi1EEviiiiiiPKT_S3_S3_PS1_ii
; %bb.0:
	s_load_dwordx4 s[8:11], s[0:1], 0x0
	v_and_b32_e32 v4, 0x3ff, v0
	v_bfe_u32 v5, v0, 10, 10
	v_lshlrev_b32_e32 v40, 3, v4
	v_lshl_add_u32 v6, v5, 8, v40
	s_waitcnt lgkmcnt(0)
	s_min_u32 s3, s10, 0x8000
	v_cmp_gt_u32_e32 vcc, s3, v6
	s_and_saveexec_b64 s[4:5], vcc
	s_cbranch_execz .LBB161_9
; %bb.1:
	s_load_dwordx2 s[6:7], s[0:1], 0x20
	v_lshlrev_b32_e32 v0, 1, v6
	v_add_u32_e32 v1, 0x1000, v6
	v_cmp_gt_u32_e32 vcc, s3, v1
	s_waitcnt lgkmcnt(0)
	global_load_dwordx4 v[8:11], v0, s[6:7]
	s_waitcnt vmcnt(0)
	ds_write_b128 v0, v[8:11]
	s_and_saveexec_b64 s[12:13], vcc
	s_xor_b64 s[12:13], exec, s[12:13]
	s_cbranch_execz .LBB161_9
; %bb.2:
	v_mov_b32_e32 v1, 0
	v_lshl_add_u64 v[2:3], s[6:7], 0, v[0:1]
	v_add_co_u32_e32 v8, vcc, 0x2000, v2
	v_add_u32_e32 v1, 0x2000, v6
	s_nop 0
	v_addc_co_u32_e32 v9, vcc, 0, v3, vcc
	global_load_dwordx4 v[8:11], v[8:9], off
	v_cmp_gt_u32_e32 vcc, s3, v1
	s_waitcnt vmcnt(0)
	ds_write_b128 v0, v[8:11] offset:8192
	s_and_saveexec_b64 s[6:7], vcc
	s_xor_b64 s[6:7], exec, s[6:7]
	s_cbranch_execz .LBB161_9
; %bb.3:
	v_add_co_u32_e32 v8, vcc, 0x4000, v2
	v_add_u32_e32 v1, 0x3000, v6
	s_nop 0
	v_addc_co_u32_e32 v9, vcc, 0, v3, vcc
	global_load_dwordx4 v[8:11], v[8:9], off
	v_cmp_gt_u32_e32 vcc, s3, v1
	s_waitcnt vmcnt(0)
	ds_write_b128 v0, v[8:11] offset:16384
	s_and_saveexec_b64 s[6:7], vcc
	s_xor_b64 s[6:7], exec, s[6:7]
	s_cbranch_execz .LBB161_9
; %bb.4:
	;; [unrolled: 12-line block ×6, first 2 shown]
	v_add_co_u32_e32 v2, vcc, 0xe000, v2
	s_nop 1
	v_addc_co_u32_e32 v3, vcc, 0, v3, vcc
	global_load_dwordx4 v[6:9], v[2:3], off
	s_waitcnt vmcnt(0)
	ds_write_b128 v0, v[6:9] offset:57344
.LBB161_9:
	s_or_b64 exec, exec, s[4:5]
	s_load_dwordx2 s[4:5], s[0:1], 0x38
	s_waitcnt lgkmcnt(0)
	s_barrier
	v_cmp_gt_u32_e32 vcc, s4, v5
	s_and_saveexec_b64 s[6:7], vcc
	s_cbranch_execz .LBB161_32
; %bb.10:
	s_load_dword s10, s[0:1], 0x10
	s_mul_i32 s2, s2, s4
	v_add_lshl_u32 v32, s2, v5, 1
	v_cmp_gt_u32_e32 vcc, s11, v32
	s_and_b64 exec, exec, vcc
	s_cbranch_execz .LBB161_32
; %bb.11:
	s_waitcnt lgkmcnt(0)
	v_cvt_f32_u32_e32 v0, s10
	s_load_dwordx4 s[12:15], s[0:1], 0x28
	s_load_dwordx2 s[6:7], s[0:1], 0x18
	s_cmp_lg_u32 s8, 0
	s_cselect_b64 s[2:3], -1, 0
	v_rcp_iflag_f32_e32 v0, v0
	s_add_i32 s22, s8, -8
	s_add_i32 s23, s11, -1
	s_mul_i32 s18, s4, s5
	v_mul_f32_e32 v0, 0x4f7ffffe, v0
	v_cvt_u32_f32_e32 v0, v0
	s_waitcnt lgkmcnt(0)
	s_cmp_lg_u64 s[12:13], 0
	s_cselect_b64 s[4:5], -1, 0
	s_lshl_b32 s24, s18, 1
	s_sub_i32 s18, 0, s10
	v_mul_lo_u32 v1, s18, v0
	v_mul_hi_u32 v1, v0, v1
	v_add_u32_e32 v41, v0, v1
	v_cndmask_b32_e64 v0, 0, 1, s[2:3]
	v_cmp_ne_u32_e64 s[2:3], 1, v0
	v_cndmask_b32_e64 v0, 0, 1, s[4:5]
	v_cmp_eq_u32_e64 s[0:1], 31, v4
	s_mov_b64 s[16:17], 0
	v_mov_b32_e32 v35, 0
	v_lshlrev_b32_e32 v42, 4, v4
	v_cmp_ne_u32_e64 s[4:5], 1, v0
	s_mov_b32 s25, 0x7f800000
	s_movk_i32 s26, 0x7fff
	s_branch .LBB161_14
.LBB161_12:                             ;   in Loop: Header=BB161_14 Depth=1
	s_or_b64 exec, exec, s[20:21]
	global_store_short_d16_hi v[0:1], v3, off offset:2
.LBB161_13:                             ;   in Loop: Header=BB161_14 Depth=1
	s_or_b64 exec, exec, s[18:19]
	v_add_u32_e32 v32, s24, v32
	v_cmp_le_u32_e32 vcc, s11, v32
	s_or_b64 s[16:17], vcc, s[16:17]
	s_andn2_b64 exec, exec, s[16:17]
	s_cbranch_execz .LBB161_32
.LBB161_14:                             ; =>This Loop Header: Depth=1
                                        ;     Child Loop BB161_18 Depth 2
	s_and_b64 vcc, exec, s[2:3]
	v_mov_b32_e32 v7, v35
	v_mov_b32_e32 v6, v35
	;; [unrolled: 1-line block ×8, first 2 shown]
	s_cbranch_vccnz .LBB161_21
; %bb.15:                               ;   in Loop: Header=BB161_14 Depth=1
	v_min_u32_e32 v0, s23, v32
	v_mul_lo_u32 v34, v0, s9
	v_or_b32_e32 v0, 1, v32
	v_min_u32_e32 v0, s23, v0
	v_mul_lo_u32 v2, v0, s9
	v_mov_b32_e32 v3, v35
	v_mov_b32_e32 v0, 0
	s_mov_b32 s27, 0
	v_lshlrev_b64 v[36:37], 1, v[34:35]
	v_lshlrev_b64 v[38:39], 1, v[2:3]
	v_mov_b32_e32 v33, v42
	v_mov_b32_e32 v1, v0
	;; [unrolled: 1-line block ×8, first 2 shown]
	s_branch .LBB161_18
.LBB161_16:                             ;   in Loop: Header=BB161_18 Depth=2
	s_or_b64 exec, exec, s[20:21]
.LBB161_17:                             ;   in Loop: Header=BB161_18 Depth=2
	s_or_b64 exec, exec, s[18:19]
	s_waitcnt vmcnt(3) lgkmcnt(0)
	v_mfma_f32_4x4x4_16b_bf16 v[0:3], v[28:29], v[24:25], v[0:3]
	s_addk_i32 s27, 0x200
	s_waitcnt vmcnt(2)
	v_mfma_f32_4x4x4_16b_bf16 v[4:7], v[28:29], v[16:17], v[4:7]
	v_add_u32_e32 v33, 0x400, v33
	v_mfma_f32_4x4x4_16b_bf16 v[0:3], v[30:31], v[26:27], v[0:3]
	s_cmp_ge_u32 s27, s8
	v_mfma_f32_4x4x4_16b_bf16 v[4:7], v[30:31], v[18:19], v[4:7]
	s_waitcnt vmcnt(1)
	v_mfma_f32_4x4x4_16b_bf16 v[0:3], v[12:13], v[20:21], v[0:3]
	s_waitcnt vmcnt(0)
	v_mfma_f32_4x4x4_16b_bf16 v[4:7], v[12:13], v[8:9], v[4:7]
	v_mfma_f32_4x4x4_16b_bf16 v[0:3], v[14:15], v[22:23], v[0:3]
	s_nop 0
	v_mfma_f32_4x4x4_16b_bf16 v[4:7], v[14:15], v[10:11], v[4:7]
	s_cbranch_scc1 .LBB161_21
.LBB161_18:                             ;   Parent Loop BB161_14 Depth=1
                                        ; =>  This Inner Loop Header: Depth=2
	v_add_u32_e32 v28, s27, v40
	v_min_u32_e32 v34, s22, v28
	v_lshl_add_u64 v[8:9], v[34:35], 1, s[6:7]
	v_add_u32_e32 v43, 0x100, v28
	v_lshl_add_u64 v[10:11], v[8:9], 0, v[36:37]
	v_lshl_add_u64 v[8:9], v[8:9], 0, v[38:39]
	v_min_u32_e32 v34, s22, v43
	global_load_dwordx4 v[24:27], v[10:11], off nt
	global_load_dwordx4 v[16:19], v[8:9], off nt
	v_lshl_add_u64 v[8:9], v[34:35], 1, s[6:7]
	v_lshl_add_u64 v[12:13], v[8:9], 0, v[36:37]
	;; [unrolled: 1-line block ×3, first 2 shown]
	global_load_dwordx4 v[20:23], v[12:13], off nt
	global_load_dwordx4 v[8:11], v[14:15], off nt
	v_cmp_gt_u32_e32 vcc, s8, v28
	v_mov_b32_e32 v30, 0
	v_mov_b32_e32 v31, 0
	;; [unrolled: 1-line block ×8, first 2 shown]
	s_and_saveexec_b64 s[18:19], vcc
	s_cbranch_execz .LBB161_17
; %bb.19:                               ;   in Loop: Header=BB161_18 Depth=2
	ds_read_b128 v[28:31], v33
	v_cmp_gt_u32_e32 vcc, s8, v43
	v_mov_b32_e32 v15, 0
	v_mov_b32_e32 v14, 0
	;; [unrolled: 1-line block ×4, first 2 shown]
	s_and_saveexec_b64 s[20:21], vcc
	s_cbranch_execz .LBB161_16
; %bb.20:                               ;   in Loop: Header=BB161_18 Depth=2
	ds_read_b128 v[12:15], v33 offset:512
	s_branch .LBB161_16
.LBB161_21:                             ;   in Loop: Header=BB161_14 Depth=1
	; sched_barrier mask(0x00000000)
	s_nop 1
	v_cvt_i32_f32_e32 v1, v1
	v_cvt_i32_f32_e32 v2, v2
	v_cvt_i32_f32_e32 v3, v3
	v_cvt_i32_f32_e32 v5, v5
	v_cvt_f32_i32_dpp v1, v1 row_shl:1 row_mask:0xf bank_mask:0xf bound_ctrl:1
	v_cvt_f32_i32_dpp v2, v2 row_shl:2 row_mask:0xf bank_mask:0xf bound_ctrl:1
	v_cvt_i32_f32_e32 v6, v6
	v_cvt_f32_i32_dpp v3, v3 row_shl:3 row_mask:0xf bank_mask:0xf bound_ctrl:1
	v_add_f32_e32 v0, v0, v1
	v_cvt_i32_f32_e32 v1, v7
	v_add_f32_e32 v0, v0, v2
	v_cvt_f32_i32_dpp v2, v5 row_shl:1 row_mask:0xf bank_mask:0xf bound_ctrl:1
	v_add_f32_e32 v0, v0, v3
	v_cvt_f32_i32_dpp v3, v6 row_shl:2 row_mask:0xf bank_mask:0xf bound_ctrl:1
	v_cvt_f32_i32_dpp v1, v1 row_shl:3 row_mask:0xf bank_mask:0xf bound_ctrl:1
	v_add_f32_e32 v2, v4, v2
	v_cvt_i32_f32_e32 v5, v0
	v_add_f32_e32 v2, v2, v3
	v_add_f32_e32 v1, v2, v1
	v_cvt_i32_f32_e32 v2, v1
	v_cvt_f32_i32_dpp v3, v5 row_shl:4 row_mask:0xf bank_mask:0xf bound_ctrl:1
	v_add_f32_e32 v0, v0, v3
	v_cvt_f32_i32_dpp v2, v2 row_shl:4 row_mask:0xf bank_mask:0xf bound_ctrl:1
	v_cvt_i32_f32_e32 v3, v0
	v_add_f32_e32 v1, v1, v2
	v_cvt_i32_f32_e32 v2, v1
	v_cvt_f32_i32_dpp v3, v3 row_shl:8 row_mask:0xf bank_mask:0xf bound_ctrl:1
	v_add_f32_e32 v0, v0, v3
	v_cvt_f32_i32_dpp v2, v2 row_shl:8 row_mask:0xf bank_mask:0xf bound_ctrl:1
	v_cvt_i32_f32_e32 v0, v0
	v_add_f32_e32 v1, v1, v2
	v_cvt_i32_f32_e32 v1, v1
	v_cvt_f32_i32_dpp v0, v0 row_shr:15 row_mask:0xf bank_mask:0xf bound_ctrl:1
	s_nop 0
	v_cvt_f32_i32_dpp v2, v1 row_shr:15 row_mask:0xf bank_mask:0xf bound_ctrl:1
	v_cvt_i32_f32_e32 v1, v0
	v_cvt_i32_f32_e32 v3, v2
	s_nop 0
	v_cvt_f32_i32_dpp v1, v1 row_bcast:15 row_mask:0xf bank_mask:0xf bound_ctrl:1
	v_cvt_f32_i32_dpp v3, v3 row_bcast:15 row_mask:0xf bank_mask:0xf bound_ctrl:1
	v_add_f32_e32 v1, v0, v1
	v_cvt_i32_f32_e32 v0, v1
	v_add_f32_e32 v2, v2, v3
	v_cvt_i32_f32_e32 v3, v2
	v_mov_b32_dpp v4, v0 row_bcast:31 row_mask:0xf bank_mask:0xf bound_ctrl:1
	s_nop 0
	v_mov_b32_dpp v0, v3 row_bcast:31 row_mask:0xf bank_mask:0xf bound_ctrl:1
	s_and_saveexec_b64 s[18:19], s[0:1]
	s_cbranch_execz .LBB161_13
; %bb.22:                               ;   in Loop: Header=BB161_14 Depth=1
	s_and_b64 vcc, exec, s[4:5]
	v_mov_b32_e32 v3, 0
	v_mov_b32_e32 v5, 0
	s_cbranch_vccnz .LBB161_24
; %bb.23:                               ;   in Loop: Header=BB161_14 Depth=1
	v_mul_hi_u32 v3, v32, v41
	v_mul_lo_u32 v3, v3, s10
	v_sub_u32_e32 v3, v32, v3
	v_subrev_u32_e32 v5, s10, v3
	v_cmp_le_u32_e32 vcc, s10, v3
	s_nop 1
	v_cndmask_b32_e32 v3, v3, v5, vcc
	v_subrev_u32_e32 v5, s10, v3
	v_cmp_le_u32_e32 vcc, s10, v3
	s_nop 1
	v_cndmask_b32_e32 v34, v3, v5, vcc
	v_or_b32_e32 v3, 1, v32
	v_mul_hi_u32 v5, v3, v41
	v_mul_lo_u32 v5, v5, s10
	v_sub_u32_e32 v3, v3, v5
	v_subrev_u32_e32 v5, s10, v3
	v_cmp_le_u32_e32 vcc, s10, v3
	v_lshl_add_u64 v[6:7], v[34:35], 1, s[12:13]
	s_nop 0
	v_cndmask_b32_e32 v3, v3, v5, vcc
	v_subrev_u32_e32 v5, s10, v3
	v_cmp_le_u32_e32 vcc, s10, v3
	s_nop 1
	v_cndmask_b32_e32 v34, v3, v5, vcc
	v_lshl_add_u64 v[8:9], v[34:35], 1, s[12:13]
	global_load_ushort v5, v[6:7], off
	global_load_ushort v3, v[8:9], off
.LBB161_24:                             ;   in Loop: Header=BB161_14 Depth=1
	v_cvt_f32_i32_e32 v4, v4
	v_add_f32_e32 v1, v1, v4
	s_waitcnt vmcnt(1)
	v_lshlrev_b32_e32 v4, 16, v5
	v_add_f32_e32 v1, v1, v4
	v_and_b32_e32 v4, 0x7f800000, v1
	v_cmp_ne_u32_e32 vcc, s25, v4
                                        ; implicit-def: $vgpr4
	s_and_saveexec_b64 s[20:21], vcc
	s_xor_b64 s[20:21], exec, s[20:21]
; %bb.25:                               ;   in Loop: Header=BB161_14 Depth=1
	v_bfe_u32 v4, v1, 16, 1
	v_add3_u32 v4, v1, v4, s26
                                        ; implicit-def: $vgpr1
; %bb.26:                               ;   in Loop: Header=BB161_14 Depth=1
	s_andn2_saveexec_b64 s[20:21], s[20:21]
; %bb.27:                               ;   in Loop: Header=BB161_14 Depth=1
	v_or_b32_e32 v4, 0x10000, v1
	v_cmp_eq_u32_sdwa vcc, v1, v35 src0_sel:WORD_0 src1_sel:DWORD
	s_nop 1
	v_cndmask_b32_e32 v4, v4, v1, vcc
; %bb.28:                               ;   in Loop: Header=BB161_14 Depth=1
	s_or_b64 exec, exec, s[20:21]
	v_cvt_f32_i32_e32 v5, v0
	s_waitcnt vmcnt(0)
	v_lshlrev_b32_e32 v3, 16, v3
	v_mov_b32_e32 v33, v35
	v_lshl_add_u64 v[0:1], v[32:33], 1, s[14:15]
	v_add_f32_e32 v2, v2, v5
	v_add_f32_e32 v2, v2, v3
	v_and_b32_e32 v3, 0x7f800000, v2
	v_cmp_ne_u32_e32 vcc, s25, v3
	global_store_short_d16_hi v[0:1], v4, off
                                        ; implicit-def: $vgpr3
	s_and_saveexec_b64 s[20:21], vcc
	s_xor_b64 s[20:21], exec, s[20:21]
; %bb.29:                               ;   in Loop: Header=BB161_14 Depth=1
	v_bfe_u32 v3, v2, 16, 1
	v_add3_u32 v3, v2, v3, s26
                                        ; implicit-def: $vgpr2
; %bb.30:                               ;   in Loop: Header=BB161_14 Depth=1
	s_andn2_saveexec_b64 s[20:21], s[20:21]
	s_cbranch_execz .LBB161_12
; %bb.31:                               ;   in Loop: Header=BB161_14 Depth=1
	v_or_b32_e32 v3, 0x10000, v2
	v_cmp_eq_u32_sdwa vcc, v2, v35 src0_sel:WORD_0 src1_sel:DWORD
	s_nop 1
	v_cndmask_b32_e32 v3, v3, v2, vcc
	s_branch .LBB161_12
.LBB161_32:
	s_endpgm
	.section	.rodata,"a",@progbits
	.p2align	6, 0x0
	.amdhsa_kernel _Z16wvSplitK_hf_sml_I14__hip_bfloat16Li32ELi2ELi16ELi8ELi2ELi1EEviiiiiiPKT_S3_S3_PS1_ii
		.amdhsa_group_segment_fixed_size 65536
		.amdhsa_private_segment_fixed_size 0
		.amdhsa_kernarg_size 64
		.amdhsa_user_sgpr_count 2
		.amdhsa_user_sgpr_dispatch_ptr 0
		.amdhsa_user_sgpr_queue_ptr 0
		.amdhsa_user_sgpr_kernarg_segment_ptr 1
		.amdhsa_user_sgpr_dispatch_id 0
		.amdhsa_user_sgpr_kernarg_preload_length 0
		.amdhsa_user_sgpr_kernarg_preload_offset 0
		.amdhsa_user_sgpr_private_segment_size 0
		.amdhsa_uses_dynamic_stack 0
		.amdhsa_enable_private_segment 0
		.amdhsa_system_sgpr_workgroup_id_x 1
		.amdhsa_system_sgpr_workgroup_id_y 0
		.amdhsa_system_sgpr_workgroup_id_z 0
		.amdhsa_system_sgpr_workgroup_info 0
		.amdhsa_system_vgpr_workitem_id 1
		.amdhsa_next_free_vgpr 44
		.amdhsa_next_free_sgpr 28
		.amdhsa_accum_offset 44
		.amdhsa_reserve_vcc 1
		.amdhsa_float_round_mode_32 0
		.amdhsa_float_round_mode_16_64 0
		.amdhsa_float_denorm_mode_32 3
		.amdhsa_float_denorm_mode_16_64 3
		.amdhsa_dx10_clamp 1
		.amdhsa_ieee_mode 1
		.amdhsa_fp16_overflow 0
		.amdhsa_tg_split 0
		.amdhsa_exception_fp_ieee_invalid_op 0
		.amdhsa_exception_fp_denorm_src 0
		.amdhsa_exception_fp_ieee_div_zero 0
		.amdhsa_exception_fp_ieee_overflow 0
		.amdhsa_exception_fp_ieee_underflow 0
		.amdhsa_exception_fp_ieee_inexact 0
		.amdhsa_exception_int_div_zero 0
	.end_amdhsa_kernel
	.section	.text._Z16wvSplitK_hf_sml_I14__hip_bfloat16Li32ELi2ELi16ELi8ELi2ELi1EEviiiiiiPKT_S3_S3_PS1_ii,"axG",@progbits,_Z16wvSplitK_hf_sml_I14__hip_bfloat16Li32ELi2ELi16ELi8ELi2ELi1EEviiiiiiPKT_S3_S3_PS1_ii,comdat
.Lfunc_end161:
	.size	_Z16wvSplitK_hf_sml_I14__hip_bfloat16Li32ELi2ELi16ELi8ELi2ELi1EEviiiiiiPKT_S3_S3_PS1_ii, .Lfunc_end161-_Z16wvSplitK_hf_sml_I14__hip_bfloat16Li32ELi2ELi16ELi8ELi2ELi1EEviiiiiiPKT_S3_S3_PS1_ii
                                        ; -- End function
	.section	.AMDGPU.csdata,"",@progbits
; Kernel info:
; codeLenInByte = 1856
; NumSgprs: 34
; NumVgprs: 44
; NumAgprs: 0
; TotalNumVgprs: 44
; ScratchSize: 0
; MemoryBound: 0
; FloatMode: 240
; IeeeMode: 1
; LDSByteSize: 65536 bytes/workgroup (compile time only)
; SGPRBlocks: 4
; VGPRBlocks: 5
; NumSGPRsForWavesPerEU: 34
; NumVGPRsForWavesPerEU: 44
; AccumOffset: 44
; Occupancy: 2
; WaveLimiterHint : 0
; COMPUTE_PGM_RSRC2:SCRATCH_EN: 0
; COMPUTE_PGM_RSRC2:USER_SGPR: 2
; COMPUTE_PGM_RSRC2:TRAP_HANDLER: 0
; COMPUTE_PGM_RSRC2:TGID_X_EN: 1
; COMPUTE_PGM_RSRC2:TGID_Y_EN: 0
; COMPUTE_PGM_RSRC2:TGID_Z_EN: 0
; COMPUTE_PGM_RSRC2:TIDIG_COMP_CNT: 1
; COMPUTE_PGM_RSRC3_GFX90A:ACCUM_OFFSET: 10
; COMPUTE_PGM_RSRC3_GFX90A:TG_SPLIT: 0
	.section	.text._Z12wvSplitK_hf_I14__hip_bfloat16Li32ELi2ELi16ELi8ELi2ELi1EEviiiiiiPKT_S3_S3_PS1_ii,"axG",@progbits,_Z12wvSplitK_hf_I14__hip_bfloat16Li32ELi2ELi16ELi8ELi2ELi1EEviiiiiiPKT_S3_S3_PS1_ii,comdat
	.protected	_Z12wvSplitK_hf_I14__hip_bfloat16Li32ELi2ELi16ELi8ELi2ELi1EEviiiiiiPKT_S3_S3_PS1_ii ; -- Begin function _Z12wvSplitK_hf_I14__hip_bfloat16Li32ELi2ELi16ELi8ELi2ELi1EEviiiiiiPKT_S3_S3_PS1_ii
	.globl	_Z12wvSplitK_hf_I14__hip_bfloat16Li32ELi2ELi16ELi8ELi2ELi1EEviiiiiiPKT_S3_S3_PS1_ii
	.p2align	8
	.type	_Z12wvSplitK_hf_I14__hip_bfloat16Li32ELi2ELi16ELi8ELi2ELi1EEviiiiiiPKT_S3_S3_PS1_ii,@function
_Z12wvSplitK_hf_I14__hip_bfloat16Li32ELi2ELi16ELi8ELi2ELi1EEviiiiiiPKT_S3_S3_PS1_ii: ; @_Z12wvSplitK_hf_I14__hip_bfloat16Li32ELi2ELi16ELi8ELi2ELi1EEviiiiiiPKT_S3_S3_PS1_ii
; %bb.0:
	s_load_dwordx2 s[4:5], s[0:1], 0x38
	s_load_dwordx2 s[16:17], s[0:1], 0x20
	s_load_dwordx4 s[8:11], s[0:1], 0x0
	s_load_dword s30, s[0:1], 0x10
	v_bfe_u32 v4, v0, 10, 10
	s_waitcnt lgkmcnt(0)
	s_mul_i32 s2, s2, s4
	v_add_lshl_u32 v34, s2, v4, 1
	s_mov_b32 s6, 1
	v_add_u32_e32 v1, 2, v34
	v_cmp_gt_u32_e32 vcc, s11, v34
	v_cmp_le_u32_e64 s[2:3], s11, v1
	s_mov_b32 s7, s6
	s_and_b64 s[12:13], vcc, s[2:3]
	v_mov_b64_e32 v[32:33], s[6:7]
	s_and_saveexec_b64 s[2:3], s[12:13]
	s_cbranch_execz .LBB162_6
; %bb.1:
	s_add_i32 s20, s11, -2
	v_cmp_ne_u32_e32 vcc, s20, v34
	v_mov_b64_e32 v[32:33], s[6:7]
	s_and_saveexec_b64 s[6:7], vcc
	s_cbranch_execz .LBB162_5
; %bb.2:
	v_subrev_u32_e32 v1, s20, v34
	s_mov_b32 s12, 1
	v_cmp_lt_u32_e32 vcc, 1, v1
	s_mov_b64 s[14:15], 0
	s_mov_b64 s[18:19], 0
	v_cndmask_b32_e32 v2, 1, v1, vcc
	s_mov_b32 s13, s12
.LBB162_3:                              ; =>This Inner Loop Header: Depth=1
	s_cmp_lg_u32 s18, 1
	s_cselect_b32 s13, s13, 0
	s_cmp_lg_u32 s18, 0
	s_cselect_b32 s12, s12, 0
	s_add_u32 s18, s18, 1
	s_addc_u32 s19, s19, 0
	v_cmp_eq_u32_e32 vcc, s18, v2
	s_or_b64 s[14:15], vcc, s[14:15]
	v_mov_b64_e32 v[32:33], s[12:13]
	s_andn2_b64 exec, exec, s[14:15]
	s_cbranch_execnz .LBB162_3
; %bb.4:
	s_or_b64 exec, exec, s[14:15]
	v_mov_b32_e32 v34, s20
.LBB162_5:
	s_or_b64 exec, exec, s[6:7]
.LBB162_6:
	s_or_b64 exec, exec, s[2:3]
	v_and_b32_e32 v5, 0x3ff, v0
	v_lshlrev_b32_e32 v48, 3, v5
	v_lshl_add_u32 v6, v4, 8, v48
	s_min_u32 s6, s10, 0x8000
	v_cmp_gt_u32_e32 vcc, s6, v6
	s_and_saveexec_b64 s[2:3], vcc
	s_cbranch_execz .LBB162_15
; %bb.7:
	v_lshlrev_b32_e32 v0, 1, v6
	global_load_dwordx4 v[8:11], v0, s[16:17]
	v_add_u32_e32 v1, 0x1000, v6
	v_cmp_gt_u32_e32 vcc, s6, v1
	s_waitcnt vmcnt(0)
	ds_write_b128 v0, v[8:11]
	s_and_saveexec_b64 s[12:13], vcc
	s_xor_b64 s[12:13], exec, s[12:13]
	s_cbranch_execz .LBB162_15
; %bb.8:
	v_mov_b32_e32 v1, 0
	v_lshl_add_u64 v[2:3], s[16:17], 0, v[0:1]
	v_add_co_u32_e32 v8, vcc, 0x2000, v2
	v_add_u32_e32 v1, 0x2000, v6
	s_nop 0
	v_addc_co_u32_e32 v9, vcc, 0, v3, vcc
	global_load_dwordx4 v[8:11], v[8:9], off
	v_cmp_gt_u32_e32 vcc, s6, v1
	s_waitcnt vmcnt(0)
	ds_write_b128 v0, v[8:11] offset:8192
	s_and_saveexec_b64 s[12:13], vcc
	s_xor_b64 s[12:13], exec, s[12:13]
	s_cbranch_execz .LBB162_15
; %bb.9:
	v_add_co_u32_e32 v8, vcc, 0x4000, v2
	v_add_u32_e32 v1, 0x3000, v6
	s_nop 0
	v_addc_co_u32_e32 v9, vcc, 0, v3, vcc
	global_load_dwordx4 v[8:11], v[8:9], off
	v_cmp_gt_u32_e32 vcc, s6, v1
	s_waitcnt vmcnt(0)
	ds_write_b128 v0, v[8:11] offset:16384
	s_and_saveexec_b64 s[12:13], vcc
	s_xor_b64 s[12:13], exec, s[12:13]
	s_cbranch_execz .LBB162_15
; %bb.10:
	;; [unrolled: 12-line block ×6, first 2 shown]
	v_add_co_u32_e32 v2, vcc, 0xe000, v2
	s_nop 1
	v_addc_co_u32_e32 v3, vcc, 0, v3, vcc
	global_load_dwordx4 v[6:9], v[2:3], off
	s_waitcnt vmcnt(0)
	ds_write_b128 v0, v[6:9] offset:57344
.LBB162_15:
	s_or_b64 exec, exec, s[2:3]
	v_cmp_gt_u32_e32 vcc, s4, v4
	v_cmp_gt_u32_e64 s[2:3], s11, v34
	s_and_b64 s[2:3], vcc, s[2:3]
	s_waitcnt lgkmcnt(0)
	s_barrier
	s_and_saveexec_b64 s[6:7], s[2:3]
	s_cbranch_execz .LBB162_54
; %bb.16:
	v_cvt_f32_u32_e32 v0, s30
	s_load_dwordx4 s[12:15], s[0:1], 0x28
	s_load_dwordx2 s[18:19], s[0:1], 0x18
	s_cmp_lg_u32 s8, 0
	s_cselect_b64 s[2:3], -1, 0
	v_rcp_iflag_f32_e32 v0, v0
	s_add_i32 s10, s8, -8
	s_add_i32 s31, s11, -1
	s_mul_i32 s6, s4, s5
	v_mul_f32_e32 v0, 0x4f7ffffe, v0
	v_cvt_u32_f32_e32 v0, v0
	s_waitcnt lgkmcnt(0)
	s_cmp_lg_u64 s[12:13], 0
	s_cselect_b64 s[4:5], -1, 0
	s_lshl_b32 s33, s6, 1
	s_sub_i32 s6, 0, s30
	v_mul_lo_u32 v1, s6, v0
	v_mul_hi_u32 v1, v0, v1
	v_add_u32_e32 v49, v0, v1
	v_cndmask_b32_e64 v0, 0, 1, s[2:3]
	v_cmp_ne_u32_e64 s[2:3], 1, v0
	v_cndmask_b32_e64 v0, 0, 1, s[4:5]
	v_cmp_eq_u32_e64 s[0:1], 31, v5
	s_mov_b64 s[20:21], 0
	s_add_i32 s34, s11, -2
	v_mov_b32_e32 v37, 0
	v_lshlrev_b32_e32 v50, 4, v5
	s_movk_i32 s35, 0x7fff
	v_cmp_ne_u32_e64 s[4:5], 1, v0
	s_mov_b32 s36, 0x7f800000
	s_branch .LBB162_19
.LBB162_17:                             ;   in Loop: Header=BB162_19 Depth=1
	s_or_b64 exec, exec, s[24:25]
	v_mov_b32_e32 v34, s34
.LBB162_18:                             ;   in Loop: Header=BB162_19 Depth=1
	s_or_b64 exec, exec, s[22:23]
	v_cmp_le_u32_e32 vcc, s11, v34
	s_or_b64 s[20:21], vcc, s[20:21]
	s_andn2_b64 exec, exec, s[20:21]
	s_cbranch_execz .LBB162_54
.LBB162_19:                             ; =>This Loop Header: Depth=1
                                        ;     Child Loop BB162_24 Depth 2
                                        ;     Child Loop BB162_52 Depth 2
	s_and_b64 vcc, exec, s[2:3]
	v_add_u32_e32 v38, 1, v34
	v_mov_b32_e32 v7, v37
	v_mov_b32_e32 v6, v37
	s_waitcnt vmcnt(1)
	v_mov_b32_e32 v5, v37
	v_mov_b32_e32 v4, v37
	;; [unrolled: 1-line block ×3, first 2 shown]
	s_waitcnt vmcnt(0)
	v_mov_b32_e32 v2, v37
	v_mov_b32_e32 v1, v37
	;; [unrolled: 1-line block ×3, first 2 shown]
	s_cbranch_vccnz .LBB162_34
; %bb.20:                               ;   in Loop: Header=BB162_19 Depth=1
	v_min_u32_e32 v0, s31, v34
	v_mul_lo_u32 v36, v0, s9
	v_min_u32_e32 v0, s31, v38
	v_mul_lo_u32 v2, v0, s9
	v_mov_b32_e32 v3, v37
	v_mov_b32_e32 v0, 0
	s_mov_b32 s6, 0
	v_lshlrev_b64 v[40:41], 1, v[36:37]
	v_lshlrev_b64 v[42:43], 1, v[2:3]
	v_mov_b32_e32 v35, v50
	s_mov_b32 s28, 0
	v_mov_b32_e32 v1, v0
	v_mov_b32_e32 v2, v0
	;; [unrolled: 1-line block ×7, first 2 shown]
	s_branch .LBB162_24
.LBB162_21:                             ;   in Loop: Header=BB162_24 Depth=2
	s_or_b64 exec, exec, s[26:27]
.LBB162_22:                             ;   in Loop: Header=BB162_24 Depth=2
	s_or_b64 exec, exec, s[24:25]
.LBB162_23:                             ;   in Loop: Header=BB162_24 Depth=2
	s_or_b64 exec, exec, s[22:23]
	s_waitcnt vmcnt(0) lgkmcnt(0)
	v_mfma_f32_4x4x4_16b_bf16 v[0:3], v[24:25], v[20:21], v[0:3]
	s_addk_i32 s28, 0x200
	v_mfma_f32_4x4x4_16b_bf16 v[4:7], v[24:25], v[12:13], v[4:7]
	v_add_u32_e32 v35, 0x400, v35
	v_mfma_f32_4x4x4_16b_bf16 v[0:3], v[26:27], v[22:23], v[0:3]
	s_cmp_ge_u32 s28, s8
	v_mfma_f32_4x4x4_16b_bf16 v[4:7], v[26:27], v[14:15], v[4:7]
	v_mfma_f32_4x4x4_16b_bf16 v[0:3], v[28:29], v[16:17], v[0:3]
	s_nop 0
	v_mfma_f32_4x4x4_16b_bf16 v[4:7], v[28:29], v[8:9], v[4:7]
	v_mfma_f32_4x4x4_16b_bf16 v[0:3], v[30:31], v[18:19], v[0:3]
	s_nop 0
	v_mfma_f32_4x4x4_16b_bf16 v[4:7], v[30:31], v[10:11], v[4:7]
	s_cbranch_scc1 .LBB162_34
.LBB162_24:                             ;   Parent Loop BB162_19 Depth=1
                                        ; =>  This Inner Loop Header: Depth=2
	v_add_u32_e32 v46, s28, v48
	v_min_u32_e32 v36, s10, v46
	v_lshl_add_u64 v[8:9], v[36:37], 1, s[18:19]
	v_add_u32_e32 v44, 0x100, v46
	v_lshl_add_u64 v[10:11], v[8:9], 0, v[40:41]
	v_lshl_add_u64 v[8:9], v[8:9], 0, v[42:43]
	v_min_u32_e32 v36, s10, v44
	global_load_dwordx4 v[20:23], v[10:11], off nt
	global_load_dwordx4 v[12:15], v[8:9], off nt
	v_lshl_add_u64 v[8:9], v[36:37], 1, s[18:19]
	v_lshl_add_u64 v[24:25], v[8:9], 0, v[40:41]
	;; [unrolled: 1-line block ×3, first 2 shown]
	global_load_dwordx4 v[16:19], v[24:25], off nt
	global_load_dwordx4 v[8:11], v[26:27], off nt
	s_mov_b32 s7, s6
	v_cmp_gt_u32_e32 vcc, s8, v46
	v_mov_b64_e32 v[24:25], s[6:7]
	v_mov_b32_e32 v31, 0
	v_mov_b32_e32 v30, 0
	;; [unrolled: 1-line block ×4, first 2 shown]
	v_mov_b64_e32 v[26:27], s[6:7]
	s_and_saveexec_b64 s[22:23], vcc
	s_cbranch_execz .LBB162_23
; %bb.25:                               ;   in Loop: Header=BB162_24 Depth=2
	v_cmp_lt_u32_e32 vcc, s35, v46
                                        ; implicit-def: $vgpr24_vgpr25
	s_and_saveexec_b64 s[24:25], vcc
	s_xor_b64 s[24:25], exec, s[24:25]
	s_cbranch_execz .LBB162_27
; %bb.26:                               ;   in Loop: Header=BB162_24 Depth=2
	v_mov_b32_e32 v47, v37
	v_lshl_add_u64 v[24:25], v[46:47], 1, s[16:17]
	global_load_dwordx4 v[24:27], v[24:25], off
.LBB162_27:                             ;   in Loop: Header=BB162_24 Depth=2
	s_andn2_saveexec_b64 s[24:25], s[24:25]
	s_cbranch_execz .LBB162_29
; %bb.28:                               ;   in Loop: Header=BB162_24 Depth=2
	s_waitcnt vmcnt(0)
	ds_read_b128 v[24:27], v35
.LBB162_29:                             ;   in Loop: Header=BB162_24 Depth=2
	s_or_b64 exec, exec, s[24:25]
	v_cmp_gt_u32_e32 vcc, s8, v44
	v_mov_b32_e32 v31, 0
	v_mov_b32_e32 v30, 0
	v_mov_b32_e32 v29, 0
	v_mov_b32_e32 v28, 0
	s_and_saveexec_b64 s[24:25], vcc
	s_cbranch_execz .LBB162_22
; %bb.30:                               ;   in Loop: Header=BB162_24 Depth=2
	v_cmp_lt_u32_e32 vcc, s35, v44
                                        ; implicit-def: $vgpr31
	s_and_saveexec_b64 s[26:27], vcc
	s_xor_b64 s[26:27], exec, s[26:27]
	s_cbranch_execz .LBB162_32
; %bb.31:                               ;   in Loop: Header=BB162_24 Depth=2
	v_mov_b32_e32 v45, v37
	v_lshl_add_u64 v[28:29], v[44:45], 1, s[16:17]
	global_load_dwordx4 v[28:31], v[28:29], off
.LBB162_32:                             ;   in Loop: Header=BB162_24 Depth=2
	s_andn2_saveexec_b64 s[26:27], s[26:27]
	s_cbranch_execz .LBB162_21
; %bb.33:                               ;   in Loop: Header=BB162_24 Depth=2
	s_waitcnt vmcnt(0)
	ds_read_b128 v[28:31], v35 offset:512
	s_branch .LBB162_21
.LBB162_34:                             ;   in Loop: Header=BB162_19 Depth=1
	s_nop 1
	v_cvt_i32_f32_e32 v1, v1
	v_cvt_i32_f32_e32 v2, v2
	v_cvt_i32_f32_e32 v3, v3
	v_cvt_i32_f32_e32 v5, v5
	v_cvt_f32_i32_dpp v1, v1 row_shl:1 row_mask:0xf bank_mask:0xf bound_ctrl:1
	v_cvt_f32_i32_dpp v2, v2 row_shl:2 row_mask:0xf bank_mask:0xf bound_ctrl:1
	v_cvt_i32_f32_e32 v6, v6
	v_cvt_f32_i32_dpp v3, v3 row_shl:3 row_mask:0xf bank_mask:0xf bound_ctrl:1
	v_add_f32_e32 v0, v0, v1
	v_cvt_i32_f32_e32 v1, v7
	v_add_f32_e32 v0, v0, v2
	v_cvt_f32_i32_dpp v2, v5 row_shl:1 row_mask:0xf bank_mask:0xf bound_ctrl:1
	v_add_f32_e32 v0, v0, v3
	v_cvt_f32_i32_dpp v3, v6 row_shl:2 row_mask:0xf bank_mask:0xf bound_ctrl:1
	v_cvt_f32_i32_dpp v1, v1 row_shl:3 row_mask:0xf bank_mask:0xf bound_ctrl:1
	v_add_f32_e32 v2, v4, v2
	v_cvt_i32_f32_e32 v5, v0
	v_add_f32_e32 v2, v2, v3
	v_add_f32_e32 v1, v2, v1
	v_cvt_i32_f32_e32 v2, v1
	v_cvt_f32_i32_dpp v3, v5 row_shl:4 row_mask:0xf bank_mask:0xf bound_ctrl:1
	v_add_f32_e32 v0, v0, v3
	v_cvt_f32_i32_dpp v2, v2 row_shl:4 row_mask:0xf bank_mask:0xf bound_ctrl:1
	v_cvt_i32_f32_e32 v3, v0
	v_add_f32_e32 v1, v1, v2
	v_cvt_i32_f32_e32 v2, v1
	v_cvt_f32_i32_dpp v3, v3 row_shl:8 row_mask:0xf bank_mask:0xf bound_ctrl:1
	v_add_f32_e32 v0, v0, v3
	v_cvt_f32_i32_dpp v2, v2 row_shl:8 row_mask:0xf bank_mask:0xf bound_ctrl:1
	v_cvt_i32_f32_e32 v0, v0
	v_add_f32_e32 v1, v1, v2
	v_cvt_i32_f32_e32 v1, v1
	v_cvt_f32_i32_dpp v0, v0 row_shr:15 row_mask:0xf bank_mask:0xf bound_ctrl:1
	v_cvt_i32_f32_e32 v2, v0
	v_cvt_f32_i32_dpp v1, v1 row_shr:15 row_mask:0xf bank_mask:0xf bound_ctrl:1
	s_nop 0
	v_cvt_f32_i32_dpp v2, v2 row_bcast:15 row_mask:0xf bank_mask:0xf bound_ctrl:1
	v_cvt_i32_f32_e32 v3, v1
	s_nop 1
	v_cvt_f32_i32_dpp v4, v3 row_bcast:15 row_mask:0xf bank_mask:0xf bound_ctrl:1
	v_add_f32_e32 v3, v0, v2
	v_add_f32_e32 v0, v1, v4
	v_cvt_i32_f32_e32 v1, v3
	v_cvt_i32_f32_e32 v2, v0
	s_nop 0
	v_mov_b32_dpp v4, v1 row_bcast:31 row_mask:0xf bank_mask:0xf bound_ctrl:1
	v_mov_b32_dpp v1, v2 row_bcast:31 row_mask:0xf bank_mask:0xf bound_ctrl:1
	s_and_saveexec_b64 s[6:7], s[0:1]
	s_cbranch_execz .LBB162_49
; %bb.35:                               ;   in Loop: Header=BB162_19 Depth=1
	s_and_b64 vcc, exec, s[4:5]
	v_mov_b32_e32 v2, 0
	v_mov_b32_e32 v5, 0
	s_cbranch_vccnz .LBB162_37
; %bb.36:                               ;   in Loop: Header=BB162_19 Depth=1
	v_mul_hi_u32 v2, v34, v49
	v_mul_lo_u32 v2, v2, s30
	v_sub_u32_e32 v2, v34, v2
	v_subrev_u32_e32 v5, s30, v2
	v_cmp_le_u32_e32 vcc, s30, v2
	s_nop 1
	v_cndmask_b32_e32 v2, v2, v5, vcc
	v_subrev_u32_e32 v5, s30, v2
	v_cmp_le_u32_e32 vcc, s30, v2
	s_nop 1
	v_cndmask_b32_e32 v36, v2, v5, vcc
	v_mul_hi_u32 v2, v38, v49
	v_mul_lo_u32 v2, v2, s30
	v_sub_u32_e32 v2, v38, v2
	v_subrev_u32_e32 v5, s30, v2
	v_cmp_le_u32_e32 vcc, s30, v2
	v_lshl_add_u64 v[6:7], v[36:37], 1, s[12:13]
	s_nop 0
	v_cndmask_b32_e32 v2, v2, v5, vcc
	v_subrev_u32_e32 v5, s30, v2
	v_cmp_le_u32_e32 vcc, s30, v2
	s_nop 1
	v_cndmask_b32_e32 v36, v2, v5, vcc
	v_lshl_add_u64 v[8:9], v[36:37], 1, s[12:13]
	global_load_ushort v5, v[6:7], off
	global_load_ushort v2, v[8:9], off
.LBB162_37:                             ;   in Loop: Header=BB162_19 Depth=1
	v_cmp_ne_u32_e32 vcc, 0, v32
	s_and_saveexec_b64 s[22:23], vcc
	s_cbranch_execz .LBB162_43
; %bb.38:                               ;   in Loop: Header=BB162_19 Depth=1
	v_cvt_f32_i32_e32 v4, v4
	v_add_f32_e32 v3, v3, v4
	s_waitcnt vmcnt(1)
	v_lshlrev_b32_e32 v4, 16, v5
	v_add_f32_e32 v4, v3, v4
	v_and_b32_e32 v3, 0x7f800000, v4
	v_cmp_ne_u32_e32 vcc, s36, v3
                                        ; implicit-def: $vgpr3
	s_and_saveexec_b64 s[24:25], vcc
	s_xor_b64 s[24:25], exec, s[24:25]
; %bb.39:                               ;   in Loop: Header=BB162_19 Depth=1
	v_bfe_u32 v3, v4, 16, 1
	v_add3_u32 v3, v4, v3, s35
                                        ; implicit-def: $vgpr4
; %bb.40:                               ;   in Loop: Header=BB162_19 Depth=1
	s_andn2_saveexec_b64 s[24:25], s[24:25]
; %bb.41:                               ;   in Loop: Header=BB162_19 Depth=1
	v_or_b32_e32 v3, 0x10000, v4
	v_cmp_eq_u32_sdwa vcc, v4, v37 src0_sel:WORD_0 src1_sel:DWORD
	s_nop 1
	v_cndmask_b32_e32 v3, v3, v4, vcc
; %bb.42:                               ;   in Loop: Header=BB162_19 Depth=1
	s_or_b64 exec, exec, s[24:25]
	v_mov_b32_e32 v35, v37
	v_lshl_add_u64 v[4:5], v[34:35], 1, s[14:15]
	global_store_short_d16_hi v[4:5], v3, off
.LBB162_43:                             ;   in Loop: Header=BB162_19 Depth=1
	s_or_b64 exec, exec, s[22:23]
	v_cmp_ne_u32_e32 vcc, 0, v33
	s_and_b64 exec, exec, vcc
	s_cbranch_execz .LBB162_49
; %bb.44:                               ;   in Loop: Header=BB162_19 Depth=1
	v_cvt_f32_i32_e32 v1, v1
	v_add_f32_e32 v0, v0, v1
	s_waitcnt vmcnt(0)
	v_lshlrev_b32_e32 v1, 16, v2
	v_add_f32_e32 v1, v0, v1
	v_and_b32_e32 v0, 0x7f800000, v1
	v_cmp_ne_u32_e32 vcc, s36, v0
                                        ; implicit-def: $vgpr0
	s_and_saveexec_b64 s[22:23], vcc
	s_xor_b64 s[22:23], exec, s[22:23]
; %bb.45:                               ;   in Loop: Header=BB162_19 Depth=1
	v_bfe_u32 v0, v1, 16, 1
	v_add3_u32 v0, v1, v0, s35
                                        ; implicit-def: $vgpr1
; %bb.46:                               ;   in Loop: Header=BB162_19 Depth=1
	s_andn2_saveexec_b64 s[22:23], s[22:23]
; %bb.47:                               ;   in Loop: Header=BB162_19 Depth=1
	v_or_b32_e32 v0, 0x10000, v1
	v_cmp_eq_u32_sdwa vcc, v1, v37 src0_sel:WORD_0 src1_sel:DWORD
	s_nop 1
	v_cndmask_b32_e32 v0, v0, v1, vcc
; %bb.48:                               ;   in Loop: Header=BB162_19 Depth=1
	s_or_b64 exec, exec, s[22:23]
	v_mov_b32_e32 v39, v37
	v_lshl_add_u64 v[2:3], v[38:39], 1, s[14:15]
	global_store_short_d16_hi v[2:3], v0, off
.LBB162_49:                             ;   in Loop: Header=BB162_19 Depth=1
	s_or_b64 exec, exec, s[6:7]
	v_add_u32_e32 v34, s33, v34
	v_add_u32_e32 v0, 2, v34
	v_cmp_gt_u32_e32 vcc, s11, v34
	v_cmp_le_u32_e64 s[6:7], s11, v0
	s_and_b64 s[6:7], vcc, s[6:7]
	s_and_saveexec_b64 s[22:23], s[6:7]
	s_cbranch_execz .LBB162_18
; %bb.50:                               ;   in Loop: Header=BB162_19 Depth=1
	v_cmp_ne_u32_e32 vcc, s34, v34
	s_and_saveexec_b64 s[24:25], vcc
	s_cbranch_execz .LBB162_17
; %bb.51:                               ;   in Loop: Header=BB162_19 Depth=1
	v_subrev_u32_e32 v0, s34, v34
	v_cmp_lt_u32_e32 vcc, 1, v0
	s_mov_b64 s[26:27], 0
	s_mov_b64 s[28:29], 0
	v_cndmask_b32_e32 v0, 1, v0, vcc
.LBB162_52:                             ;   Parent Loop BB162_19 Depth=1
                                        ; =>  This Inner Loop Header: Depth=2
	s_cmp_lg_u32 s28, 1
	s_cselect_b64 vcc, -1, 0
	s_cmp_lg_u32 s28, 0
	v_cndmask_b32_e32 v33, 0, v33, vcc
	s_cselect_b64 vcc, -1, 0
	s_add_u32 s28, s28, 1
	s_addc_u32 s29, s29, 0
	v_cmp_eq_u32_e64 s[6:7], s28, v0
	s_or_b64 s[26:27], s[6:7], s[26:27]
	v_cndmask_b32_e32 v32, 0, v32, vcc
	s_andn2_b64 exec, exec, s[26:27]
	s_cbranch_execnz .LBB162_52
; %bb.53:                               ;   in Loop: Header=BB162_19 Depth=1
	s_or_b64 exec, exec, s[26:27]
	s_branch .LBB162_17
.LBB162_54:
	s_endpgm
	.section	.rodata,"a",@progbits
	.p2align	6, 0x0
	.amdhsa_kernel _Z12wvSplitK_hf_I14__hip_bfloat16Li32ELi2ELi16ELi8ELi2ELi1EEviiiiiiPKT_S3_S3_PS1_ii
		.amdhsa_group_segment_fixed_size 65536
		.amdhsa_private_segment_fixed_size 0
		.amdhsa_kernarg_size 64
		.amdhsa_user_sgpr_count 2
		.amdhsa_user_sgpr_dispatch_ptr 0
		.amdhsa_user_sgpr_queue_ptr 0
		.amdhsa_user_sgpr_kernarg_segment_ptr 1
		.amdhsa_user_sgpr_dispatch_id 0
		.amdhsa_user_sgpr_kernarg_preload_length 0
		.amdhsa_user_sgpr_kernarg_preload_offset 0
		.amdhsa_user_sgpr_private_segment_size 0
		.amdhsa_uses_dynamic_stack 0
		.amdhsa_enable_private_segment 0
		.amdhsa_system_sgpr_workgroup_id_x 1
		.amdhsa_system_sgpr_workgroup_id_y 0
		.amdhsa_system_sgpr_workgroup_id_z 0
		.amdhsa_system_sgpr_workgroup_info 0
		.amdhsa_system_vgpr_workitem_id 1
		.amdhsa_next_free_vgpr 51
		.amdhsa_next_free_sgpr 37
		.amdhsa_accum_offset 52
		.amdhsa_reserve_vcc 1
		.amdhsa_float_round_mode_32 0
		.amdhsa_float_round_mode_16_64 0
		.amdhsa_float_denorm_mode_32 3
		.amdhsa_float_denorm_mode_16_64 3
		.amdhsa_dx10_clamp 1
		.amdhsa_ieee_mode 1
		.amdhsa_fp16_overflow 0
		.amdhsa_tg_split 0
		.amdhsa_exception_fp_ieee_invalid_op 0
		.amdhsa_exception_fp_denorm_src 0
		.amdhsa_exception_fp_ieee_div_zero 0
		.amdhsa_exception_fp_ieee_overflow 0
		.amdhsa_exception_fp_ieee_underflow 0
		.amdhsa_exception_fp_ieee_inexact 0
		.amdhsa_exception_int_div_zero 0
	.end_amdhsa_kernel
	.section	.text._Z12wvSplitK_hf_I14__hip_bfloat16Li32ELi2ELi16ELi8ELi2ELi1EEviiiiiiPKT_S3_S3_PS1_ii,"axG",@progbits,_Z12wvSplitK_hf_I14__hip_bfloat16Li32ELi2ELi16ELi8ELi2ELi1EEviiiiiiPKT_S3_S3_PS1_ii,comdat
.Lfunc_end162:
	.size	_Z12wvSplitK_hf_I14__hip_bfloat16Li32ELi2ELi16ELi8ELi2ELi1EEviiiiiiPKT_S3_S3_PS1_ii, .Lfunc_end162-_Z12wvSplitK_hf_I14__hip_bfloat16Li32ELi2ELi16ELi8ELi2ELi1EEviiiiiiPKT_S3_S3_PS1_ii
                                        ; -- End function
	.section	.AMDGPU.csdata,"",@progbits
; Kernel info:
; codeLenInByte = 2264
; NumSgprs: 43
; NumVgprs: 51
; NumAgprs: 0
; TotalNumVgprs: 51
; ScratchSize: 0
; MemoryBound: 1
; FloatMode: 240
; IeeeMode: 1
; LDSByteSize: 65536 bytes/workgroup (compile time only)
; SGPRBlocks: 5
; VGPRBlocks: 6
; NumSGPRsForWavesPerEU: 43
; NumVGPRsForWavesPerEU: 51
; AccumOffset: 52
; Occupancy: 2
; WaveLimiterHint : 0
; COMPUTE_PGM_RSRC2:SCRATCH_EN: 0
; COMPUTE_PGM_RSRC2:USER_SGPR: 2
; COMPUTE_PGM_RSRC2:TRAP_HANDLER: 0
; COMPUTE_PGM_RSRC2:TGID_X_EN: 1
; COMPUTE_PGM_RSRC2:TGID_Y_EN: 0
; COMPUTE_PGM_RSRC2:TGID_Z_EN: 0
; COMPUTE_PGM_RSRC2:TIDIG_COMP_CNT: 1
; COMPUTE_PGM_RSRC3_GFX90A:ACCUM_OFFSET: 12
; COMPUTE_PGM_RSRC3_GFX90A:TG_SPLIT: 0
	.section	.text._Z16wvSplitK_hf_big_I14__hip_bfloat16Li32ELi2ELi16ELi8ELi2ELi1EEviiiiiiPKT_S3_S3_PS1_ii,"axG",@progbits,_Z16wvSplitK_hf_big_I14__hip_bfloat16Li32ELi2ELi16ELi8ELi2ELi1EEviiiiiiPKT_S3_S3_PS1_ii,comdat
	.protected	_Z16wvSplitK_hf_big_I14__hip_bfloat16Li32ELi2ELi16ELi8ELi2ELi1EEviiiiiiPKT_S3_S3_PS1_ii ; -- Begin function _Z16wvSplitK_hf_big_I14__hip_bfloat16Li32ELi2ELi16ELi8ELi2ELi1EEviiiiiiPKT_S3_S3_PS1_ii
	.globl	_Z16wvSplitK_hf_big_I14__hip_bfloat16Li32ELi2ELi16ELi8ELi2ELi1EEviiiiiiPKT_S3_S3_PS1_ii
	.p2align	8
	.type	_Z16wvSplitK_hf_big_I14__hip_bfloat16Li32ELi2ELi16ELi8ELi2ELi1EEviiiiiiPKT_S3_S3_PS1_ii,@function
_Z16wvSplitK_hf_big_I14__hip_bfloat16Li32ELi2ELi16ELi8ELi2ELi1EEviiiiiiPKT_S3_S3_PS1_ii: ; @_Z16wvSplitK_hf_big_I14__hip_bfloat16Li32ELi2ELi16ELi8ELi2ELi1EEviiiiiiPKT_S3_S3_PS1_ii
; %bb.0:
	s_load_dwordx2 s[4:5], s[0:1], 0x38
	v_bfe_u32 v1, v0, 10, 10
	s_waitcnt lgkmcnt(0)
	v_cmp_gt_u32_e32 vcc, s4, v1
	s_and_saveexec_b64 s[6:7], vcc
	s_cbranch_execz .LBB163_52
; %bb.1:
	s_load_dwordx4 s[20:23], s[0:1], 0x0
	s_mul_i32 s2, s2, s4
	v_add_lshl_u32 v34, s2, v1, 1
	s_mov_b32 s6, 1
	v_add_u32_e32 v2, 2, v34
	s_waitcnt lgkmcnt(0)
	v_cmp_gt_u32_e32 vcc, s23, v34
	v_cmp_le_u32_e64 s[2:3], s23, v2
	s_mov_b32 s7, s6
	s_and_b64 s[8:9], vcc, s[2:3]
	v_mov_b64_e32 v[32:33], s[6:7]
	s_and_saveexec_b64 s[2:3], s[8:9]
	s_cbranch_execz .LBB163_7
; %bb.2:
	s_add_i32 s14, s23, -2
	v_cmp_ne_u32_e32 vcc, s14, v34
	v_mov_b64_e32 v[32:33], s[6:7]
	s_and_saveexec_b64 s[6:7], vcc
	s_cbranch_execz .LBB163_6
; %bb.3:
	v_subrev_u32_e32 v2, s14, v34
	s_mov_b32 s8, 1
	v_cmp_lt_u32_e32 vcc, 1, v2
	s_mov_b64 s[10:11], 0
	s_mov_b64 s[12:13], 0
	v_cndmask_b32_e32 v2, 1, v2, vcc
	s_mov_b32 s9, s8
.LBB163_4:                              ; =>This Inner Loop Header: Depth=1
	s_cmp_lg_u32 s12, 1
	s_cselect_b32 s9, s9, 0
	s_cmp_lg_u32 s12, 0
	s_cselect_b32 s8, s8, 0
	s_add_u32 s12, s12, 1
	s_addc_u32 s13, s13, 0
	v_cmp_eq_u32_e32 vcc, s12, v2
	s_or_b64 s[10:11], vcc, s[10:11]
	v_mov_b64_e32 v[32:33], s[8:9]
	s_andn2_b64 exec, exec, s[10:11]
	s_cbranch_execnz .LBB163_4
; %bb.5:
	s_or_b64 exec, exec, s[10:11]
	v_mov_b32_e32 v34, s14
.LBB163_6:
	s_or_b64 exec, exec, s[6:7]
.LBB163_7:
	s_or_b64 exec, exec, s[2:3]
	s_lshl_b32 s2, s4, 1
	s_abs_i32 s3, s2
	v_cvt_f32_u32_e32 v2, s3
	s_sub_i32 s8, 0, s3
	s_abs_i32 s7, s23
	s_ashr_i32 s6, s23, 31
	v_rcp_iflag_f32_e32 v2, v2
	s_nop 0
	v_mul_f32_e32 v2, 0x4f7ffffe, v2
	v_cvt_u32_f32_e32 v2, v2
	s_nop 0
	v_readfirstlane_b32 s9, v2
	s_mul_i32 s8, s8, s9
	s_mul_hi_u32 s8, s9, s8
	s_add_i32 s9, s9, s8
	s_mul_hi_u32 s8, s7, s9
	s_mul_i32 s8, s8, s3
	s_sub_i32 s7, s7, s8
	s_sub_i32 s8, s7, s3
	s_cmp_ge_u32 s7, s3
	s_cselect_b32 s7, s8, s7
	s_sub_i32 s8, s7, s3
	s_cmp_ge_u32 s7, s3
	s_cselect_b32 s3, s8, s7
	s_xor_b32 s3, s3, s6
	s_sub_i32 s3, s3, s6
	s_add_i32 s2, s2, s23
	s_sub_i32 s2, s2, s3
	s_cmp_eq_u32 s3, 0
	s_cselect_b32 s33, s23, s2
	v_cmp_gt_u32_e32 vcc, s33, v34
	s_and_b64 exec, exec, vcc
	s_cbranch_execz .LBB163_52
; %bb.8:
	s_load_dwordx8 s[12:19], s[0:1], 0x18
	s_load_dword s38, s[0:1], 0x10
	s_min_u32 s39, s22, 0x8000
	s_cmp_lg_u32 s20, 0
	s_cselect_b64 s[2:3], -1, 0
	s_cmp_lg_u32 s22, 0
	s_waitcnt lgkmcnt(0)
	v_cvt_f32_u32_e32 v2, s38
	s_mul_i32 s0, s5, s4
	s_cselect_b64 s[6:7], -1, 0
	v_and_b32_e32 v0, 0x3ff, v0
	v_rcp_iflag_f32_e32 v2, v2
	s_lshl_b32 s40, s4, 8
	s_add_i32 s41, s20, -8
	s_add_i32 s42, s23, -1
	v_mul_f32_e32 v2, 0x4f7ffffe, v2
	v_cvt_u32_f32_e32 v2, v2
	s_lshl_b32 s43, s0, 1
	v_lshlrev_b32_e32 v42, 3, v0
	v_cmp_eq_u32_e64 s[0:1], 31, v0
	s_cmp_lg_u64 s[16:17], 0
	v_lshlrev_b32_e32 v0, 4, v0
	s_cselect_b64 s[8:9], -1, 0
	s_add_i32 s44, s23, -2
	s_sub_i32 s5, 0, s38
	v_lshl_add_u32 v44, v1, 9, v0
	v_cndmask_b32_e64 v0, 0, 1, s[2:3]
	v_mul_lo_u32 v3, s5, v2
	s_add_u32 s26, s18, 2
	v_cmp_ne_u32_e64 s[2:3], 1, v0
	v_cndmask_b32_e64 v0, 0, 1, s[6:7]
	v_mul_hi_u32 v3, v2, v3
	s_addc_u32 s27, s19, 0
	s_lshl_b32 s45, s4, 9
	v_cmp_ne_u32_e64 s[4:5], 1, v0
	v_cndmask_b32_e64 v0, 0, 1, s[8:9]
	s_mov_b64 s[24:25], 0
	v_add_u32_e32 v43, v2, v3
	v_mov_b32_e32 v37, 0
	v_lshl_add_u32 v45, v1, 8, v42
	v_cmp_ne_u32_e64 s[6:7], 1, v0
	s_mov_b32 s46, 0x7f800000
	s_movk_i32 s47, 0x7fff
	s_branch .LBB163_12
.LBB163_9:                              ;   in Loop: Header=BB163_12 Depth=1
	s_or_b64 exec, exec, s[30:31]
	v_mov_b32_e32 v34, s44
.LBB163_10:                             ;   in Loop: Header=BB163_12 Depth=1
	s_or_b64 exec, exec, s[28:29]
.LBB163_11:                             ;   in Loop: Header=BB163_12 Depth=1
	s_or_b64 exec, exec, s[10:11]
	v_cmp_le_u32_e32 vcc, s33, v34
	s_or_b64 s[24:25], vcc, s[24:25]
	s_andn2_b64 exec, exec, s[24:25]
	s_cbranch_execz .LBB163_52
.LBB163_12:                             ; =>This Loop Header: Depth=1
                                        ;     Child Loop BB163_17 Depth 2
                                        ;       Child Loop BB163_22 Depth 3
                                        ;     Child Loop BB163_50 Depth 2
	s_and_b64 vcc, exec, s[2:3]
	v_mov_b32_e32 v3, v37
	s_waitcnt vmcnt(0)
	v_mov_b32_e32 v2, v37
	v_mov_b32_e32 v1, v37
	;; [unrolled: 1-line block ×7, first 2 shown]
	s_cbranch_vccnz .LBB163_29
; %bb.13:                               ;   in Loop: Header=BB163_12 Depth=1
	v_min_u32_e32 v0, s42, v34
	v_mul_lo_u32 v36, v0, s21
	v_add_u32_e32 v0, 1, v34
	v_min_u32_e32 v0, s42, v0
	v_mul_lo_u32 v0, v0, s21
	v_mov_b32_e32 v1, v37
	v_mov_b32_e32 v4, 0
	v_cmp_gt_u32_e64 s[8:9], s23, v34
	s_mov_b32 s34, 0
	v_lshlrev_b64 v[38:39], 1, v[36:37]
	v_lshlrev_b64 v[40:41], 1, v[0:1]
	s_mov_b32 s35, 0
	v_mov_b32_e32 v5, v4
	v_mov_b32_e32 v6, v4
	;; [unrolled: 1-line block ×7, first 2 shown]
	s_branch .LBB163_17
.LBB163_14:                             ;   in Loop: Header=BB163_17 Depth=2
	s_or_b64 exec, exec, s[30:31]
.LBB163_15:                             ;   in Loop: Header=BB163_17 Depth=2
	s_or_b64 exec, exec, s[28:29]
	s_waitcnt vmcnt(3) lgkmcnt(0)
	v_mfma_f32_4x4x4_16b_bf16 v[4:7], v[28:29], v[24:25], v[4:7]
	s_waitcnt vmcnt(2)
	v_mfma_f32_4x4x4_16b_bf16 v[0:3], v[28:29], v[12:13], v[0:3]
	v_mfma_f32_4x4x4_16b_bf16 v[4:7], v[30:31], v[26:27], v[4:7]
	s_nop 0
	v_mfma_f32_4x4x4_16b_bf16 v[0:3], v[30:31], v[14:15], v[0:3]
	s_waitcnt vmcnt(1)
	v_mfma_f32_4x4x4_16b_bf16 v[4:7], v[20:21], v[16:17], v[4:7]
	s_waitcnt vmcnt(0)
	v_mfma_f32_4x4x4_16b_bf16 v[0:3], v[20:21], v[8:9], v[0:3]
	v_mfma_f32_4x4x4_16b_bf16 v[4:7], v[22:23], v[18:19], v[4:7]
	s_nop 0
	v_mfma_f32_4x4x4_16b_bf16 v[0:3], v[22:23], v[10:11], v[0:3]
.LBB163_16:                             ;   in Loop: Header=BB163_17 Depth=2
	s_or_b64 exec, exec, s[10:11]
	s_addk_i32 s35, 0x200
	s_cmp_ge_u32 s35, s20
	s_cbranch_scc1 .LBB163_29
.LBB163_17:                             ;   Parent Loop BB163_12 Depth=1
                                        ; =>  This Loop Header: Depth=2
                                        ;       Child Loop BB163_22 Depth 3
	s_cmp_eq_u32 s35, 0
	s_cselect_b64 s[10:11], -1, 0
	s_add_i32 s28, s34, s39
	s_cmp_eq_u32 s35, s28
	s_cselect_b64 s[30:31], -1, 0
	s_or_b64 s[30:31], s[10:11], s[30:31]
	s_andn2_b64 vcc, exec, s[30:31]
	s_cbranch_vccz .LBB163_19
; %bb.18:                               ;   in Loop: Header=BB163_17 Depth=2
	s_and_saveexec_b64 s[10:11], s[8:9]
	s_cbranch_execz .LBB163_16
	s_branch .LBB163_26
.LBB163_19:                             ;   in Loop: Header=BB163_17 Depth=2
	s_and_b64 s[10:11], s[10:11], exec
	s_cselect_b32 s34, s34, s28
	s_and_b64 vcc, exec, s[4:5]
	s_barrier
	s_cbranch_vccnz .LBB163_25
; %bb.20:                               ;   in Loop: Header=BB163_17 Depth=2
	v_add_u32_e32 v8, s34, v45
	s_mov_b32 s36, 0
	s_mov_b64 s[28:29], 0
	v_mov_b32_e32 v9, v44
                                        ; implicit-def: $sgpr30_sgpr31
	s_branch .LBB163_22
.LBB163_21:                             ;   in Loop: Header=BB163_22 Depth=3
	s_or_b64 exec, exec, s[10:11]
	s_and_b64 s[10:11], exec, s[30:31]
	s_or_b64 s[28:29], s[10:11], s[28:29]
	s_andn2_b64 exec, exec, s[28:29]
	s_cbranch_execz .LBB163_24
.LBB163_22:                             ;   Parent Loop BB163_12 Depth=1
                                        ;     Parent Loop BB163_17 Depth=2
                                        ; =>    This Inner Loop Header: Depth=3
	v_add_u32_e32 v10, s36, v45
	v_add_u32_e32 v36, s36, v8
	v_cmp_gt_u32_e32 vcc, s22, v36
	v_cmp_gt_u32_e64 s[10:11], s39, v10
	s_and_b64 s[48:49], s[10:11], vcc
	s_or_b64 s[30:31], s[30:31], exec
	s_and_saveexec_b64 s[10:11], s[48:49]
	s_cbranch_execz .LBB163_21
; %bb.23:                               ;   in Loop: Header=BB163_22 Depth=3
	v_lshl_add_u64 v[10:11], v[36:37], 1, s[14:15]
	global_load_dwordx4 v[10:13], v[10:11], off
	s_add_i32 s36, s36, s40
	s_cmp_ge_u32 s36, s39
	s_cselect_b64 s[48:49], -1, 0
	s_andn2_b64 s[30:31], s[30:31], exec
	s_and_b64 s[48:49], s[48:49], exec
	s_or_b64 s[30:31], s[30:31], s[48:49]
	s_waitcnt vmcnt(0)
	ds_write_b128 v9, v[10:13]
	v_add_u32_e32 v9, s45, v9
	s_branch .LBB163_21
.LBB163_24:                             ;   in Loop: Header=BB163_17 Depth=2
	s_or_b64 exec, exec, s[28:29]
.LBB163_25:                             ;   in Loop: Header=BB163_17 Depth=2
	s_waitcnt lgkmcnt(0)
	s_barrier
	s_and_saveexec_b64 s[10:11], s[8:9]
	s_cbranch_execz .LBB163_16
.LBB163_26:                             ;   in Loop: Header=BB163_17 Depth=2
	v_add_u32_e32 v35, s35, v42
	v_min_u32_e32 v36, s41, v35
	v_lshl_add_u64 v[8:9], v[36:37], 1, s[12:13]
	v_add_u32_e32 v46, 0x100, v35
	v_lshl_add_u64 v[10:11], v[8:9], 0, v[38:39]
	v_lshl_add_u64 v[8:9], v[8:9], 0, v[40:41]
	v_min_u32_e32 v36, s41, v46
	global_load_dwordx4 v[24:27], v[10:11], off nt
	global_load_dwordx4 v[12:15], v[8:9], off nt
	v_lshl_add_u64 v[8:9], v[36:37], 1, s[12:13]
	v_lshl_add_u64 v[20:21], v[8:9], 0, v[38:39]
	;; [unrolled: 1-line block ×3, first 2 shown]
	global_load_dwordx4 v[16:19], v[20:21], off nt
	global_load_dwordx4 v[8:11], v[22:23], off nt
	v_cmp_gt_u32_e32 vcc, s20, v35
	v_mov_b32_e32 v30, 0
	v_mov_b32_e32 v31, 0
	;; [unrolled: 1-line block ×8, first 2 shown]
	s_and_saveexec_b64 s[28:29], vcc
	s_cbranch_execz .LBB163_15
; %bb.27:                               ;   in Loop: Header=BB163_17 Depth=2
	v_subrev_u32_e32 v20, s34, v35
	v_lshlrev_b32_e32 v35, 1, v20
	ds_read_b128 v[28:31], v35
	v_cmp_gt_u32_e32 vcc, s20, v46
	v_mov_b32_e32 v23, 0
	v_mov_b32_e32 v22, 0
	;; [unrolled: 1-line block ×4, first 2 shown]
	s_and_saveexec_b64 s[30:31], vcc
	s_cbranch_execz .LBB163_14
; %bb.28:                               ;   in Loop: Header=BB163_17 Depth=2
	ds_read_b128 v[20:23], v35 offset:512
	s_branch .LBB163_14
.LBB163_29:                             ;   in Loop: Header=BB163_12 Depth=1
	v_cmp_le_u32_e32 vcc, s23, v34
	s_and_saveexec_b64 s[8:9], vcc
	s_xor_b64 s[8:9], exec, s[8:9]
; %bb.30:                               ;   in Loop: Header=BB163_12 Depth=1
	v_add_u32_e32 v34, s43, v34
                                        ; implicit-def: $vgpr3
                                        ; implicit-def: $vgpr7
; %bb.31:                               ;   in Loop: Header=BB163_12 Depth=1
	s_andn2_saveexec_b64 s[10:11], s[8:9]
	s_cbranch_execz .LBB163_11
; %bb.32:                               ;   in Loop: Header=BB163_12 Depth=1
	v_cvt_i32_f32_e32 v5, v5
	v_cvt_i32_f32_e32 v1, v1
	;; [unrolled: 1-line block ×6, first 2 shown]
	v_cvt_f32_i32_dpp v5, v5 row_shl:1 row_mask:0xf bank_mask:0xf bound_ctrl:1
	v_cvt_f32_i32_dpp v1, v1 row_shl:1 row_mask:0xf bank_mask:0xf bound_ctrl:1
	;; [unrolled: 1-line block ×6, first 2 shown]
	v_add_f32_e32 v4, v4, v5
	v_add_f32_e32 v0, v0, v1
	;; [unrolled: 1-line block ×6, first 2 shown]
	v_cvt_i32_f32_e32 v5, v4
	v_cvt_i32_f32_e32 v1, v0
	s_nop 0
	v_cvt_f32_i32_dpp v2, v5 row_shl:4 row_mask:0xf bank_mask:0xf bound_ctrl:1
	v_cvt_f32_i32_dpp v1, v1 row_shl:4 row_mask:0xf bank_mask:0xf bound_ctrl:1
	v_add_f32_e32 v2, v4, v2
	v_add_f32_e32 v0, v0, v1
	v_cvt_i32_f32_e32 v3, v2
	v_cvt_i32_f32_e32 v1, v0
	s_nop 0
	v_cvt_f32_i32_dpp v3, v3 row_shl:8 row_mask:0xf bank_mask:0xf bound_ctrl:1
	v_cvt_f32_i32_dpp v1, v1 row_shl:8 row_mask:0xf bank_mask:0xf bound_ctrl:1
	v_add_f32_e32 v2, v2, v3
	v_add_f32_e32 v0, v0, v1
	v_cvt_i32_f32_e32 v2, v2
	v_cvt_i32_f32_e32 v0, v0
	s_nop 0
	v_cvt_f32_i32_dpp v1, v2 row_shr:15 row_mask:0xf bank_mask:0xf bound_ctrl:1
	v_cvt_f32_i32_dpp v0, v0 row_shr:15 row_mask:0xf bank_mask:0xf bound_ctrl:1
	v_cvt_i32_f32_e32 v2, v1
	v_cvt_i32_f32_e32 v3, v0
	s_nop 0
	v_cvt_f32_i32_dpp v2, v2 row_bcast:15 row_mask:0xf bank_mask:0xf bound_ctrl:1
	v_cvt_f32_i32_dpp v4, v3 row_bcast:15 row_mask:0xf bank_mask:0xf bound_ctrl:1
	v_add_f32_e32 v3, v1, v2
	v_add_f32_e32 v0, v0, v4
	v_cvt_i32_f32_e32 v1, v3
	v_cvt_i32_f32_e32 v2, v0
	s_nop 0
	v_mov_b32_dpp v4, v1 row_bcast:31 row_mask:0xf bank_mask:0xf bound_ctrl:1
	v_mov_b32_dpp v1, v2 row_bcast:31 row_mask:0xf bank_mask:0xf bound_ctrl:1
	s_and_saveexec_b64 s[8:9], s[0:1]
	s_cbranch_execz .LBB163_47
; %bb.33:                               ;   in Loop: Header=BB163_12 Depth=1
	s_and_b64 vcc, exec, s[6:7]
	v_mov_b32_e32 v2, 0
	v_mov_b32_e32 v5, 0
	s_cbranch_vccnz .LBB163_35
; %bb.34:                               ;   in Loop: Header=BB163_12 Depth=1
	v_mul_hi_u32 v2, v34, v43
	v_mul_lo_u32 v2, v2, s38
	v_sub_u32_e32 v2, v34, v2
	v_subrev_u32_e32 v5, s38, v2
	v_cmp_le_u32_e32 vcc, s38, v2
	s_nop 1
	v_cndmask_b32_e32 v2, v2, v5, vcc
	v_subrev_u32_e32 v5, s38, v2
	v_cmp_le_u32_e32 vcc, s38, v2
	s_nop 1
	v_cndmask_b32_e32 v36, v2, v5, vcc
	v_add_u32_e32 v2, 1, v34
	v_mul_hi_u32 v5, v2, v43
	v_mul_lo_u32 v5, v5, s38
	v_sub_u32_e32 v2, v2, v5
	v_subrev_u32_e32 v5, s38, v2
	v_cmp_le_u32_e32 vcc, s38, v2
	v_lshl_add_u64 v[6:7], v[36:37], 1, s[16:17]
	s_nop 0
	v_cndmask_b32_e32 v2, v2, v5, vcc
	v_subrev_u32_e32 v5, s38, v2
	v_cmp_le_u32_e32 vcc, s38, v2
	s_nop 1
	v_cndmask_b32_e32 v36, v2, v5, vcc
	v_lshl_add_u64 v[8:9], v[36:37], 1, s[16:17]
	global_load_ushort v5, v[6:7], off
	global_load_ushort v2, v[8:9], off
.LBB163_35:                             ;   in Loop: Header=BB163_12 Depth=1
	v_cmp_ne_u32_e32 vcc, 0, v32
	s_and_saveexec_b64 s[28:29], vcc
	s_cbranch_execz .LBB163_41
; %bb.36:                               ;   in Loop: Header=BB163_12 Depth=1
	v_cvt_f32_i32_e32 v4, v4
	v_add_f32_e32 v3, v3, v4
	s_waitcnt vmcnt(1)
	v_lshlrev_b32_e32 v4, 16, v5
	v_add_f32_e32 v4, v3, v4
	v_and_b32_e32 v3, 0x7f800000, v4
	v_cmp_ne_u32_e32 vcc, s46, v3
                                        ; implicit-def: $vgpr3
	s_and_saveexec_b64 s[30:31], vcc
	s_xor_b64 s[30:31], exec, s[30:31]
; %bb.37:                               ;   in Loop: Header=BB163_12 Depth=1
	v_bfe_u32 v3, v4, 16, 1
	v_add3_u32 v3, v4, v3, s47
                                        ; implicit-def: $vgpr4
; %bb.38:                               ;   in Loop: Header=BB163_12 Depth=1
	s_andn2_saveexec_b64 s[30:31], s[30:31]
; %bb.39:                               ;   in Loop: Header=BB163_12 Depth=1
	v_or_b32_e32 v3, 0x10000, v4
	v_cmp_eq_u32_sdwa vcc, v4, v37 src0_sel:WORD_0 src1_sel:DWORD
	s_nop 1
	v_cndmask_b32_e32 v3, v3, v4, vcc
; %bb.40:                               ;   in Loop: Header=BB163_12 Depth=1
	s_or_b64 exec, exec, s[30:31]
	v_mov_b32_e32 v35, v37
	v_lshl_add_u64 v[4:5], v[34:35], 1, s[18:19]
	global_store_short_d16_hi v[4:5], v3, off
.LBB163_41:                             ;   in Loop: Header=BB163_12 Depth=1
	s_or_b64 exec, exec, s[28:29]
	v_cmp_ne_u32_e32 vcc, 0, v33
	s_and_b64 exec, exec, vcc
	s_cbranch_execz .LBB163_47
; %bb.42:                               ;   in Loop: Header=BB163_12 Depth=1
	v_cvt_f32_i32_e32 v1, v1
	v_add_f32_e32 v0, v0, v1
	s_waitcnt vmcnt(0)
	v_lshlrev_b32_e32 v1, 16, v2
	v_add_f32_e32 v1, v0, v1
	v_and_b32_e32 v0, 0x7f800000, v1
	v_cmp_ne_u32_e32 vcc, s46, v0
                                        ; implicit-def: $vgpr0
	s_and_saveexec_b64 s[28:29], vcc
	s_xor_b64 s[28:29], exec, s[28:29]
; %bb.43:                               ;   in Loop: Header=BB163_12 Depth=1
	v_bfe_u32 v0, v1, 16, 1
	v_add3_u32 v0, v1, v0, s47
                                        ; implicit-def: $vgpr1
; %bb.44:                               ;   in Loop: Header=BB163_12 Depth=1
	s_andn2_saveexec_b64 s[28:29], s[28:29]
; %bb.45:                               ;   in Loop: Header=BB163_12 Depth=1
	v_or_b32_e32 v0, 0x10000, v1
	v_cmp_eq_u32_sdwa vcc, v1, v37 src0_sel:WORD_0 src1_sel:DWORD
	s_nop 1
	v_cndmask_b32_e32 v0, v0, v1, vcc
; %bb.46:                               ;   in Loop: Header=BB163_12 Depth=1
	s_or_b64 exec, exec, s[28:29]
	v_mov_b32_e32 v35, v37
	v_lshl_add_u64 v[2:3], v[34:35], 1, s[26:27]
	global_store_short_d16_hi v[2:3], v0, off
.LBB163_47:                             ;   in Loop: Header=BB163_12 Depth=1
	s_or_b64 exec, exec, s[8:9]
	v_add_u32_e32 v34, s43, v34
	v_add_u32_e32 v0, 2, v34
	v_cmp_gt_u32_e32 vcc, s23, v34
	v_cmp_le_u32_e64 s[8:9], s23, v0
	s_and_b64 s[8:9], vcc, s[8:9]
	s_and_saveexec_b64 s[28:29], s[8:9]
	s_cbranch_execz .LBB163_10
; %bb.48:                               ;   in Loop: Header=BB163_12 Depth=1
	v_cmp_ne_u32_e32 vcc, s44, v34
	s_and_saveexec_b64 s[30:31], vcc
	s_cbranch_execz .LBB163_9
; %bb.49:                               ;   in Loop: Header=BB163_12 Depth=1
	v_subrev_u32_e32 v0, s44, v34
	v_cmp_lt_u32_e32 vcc, 1, v0
	s_mov_b64 s[34:35], 0
	s_mov_b64 s[36:37], 0
	v_cndmask_b32_e32 v0, 1, v0, vcc
.LBB163_50:                             ;   Parent Loop BB163_12 Depth=1
                                        ; =>  This Inner Loop Header: Depth=2
	s_cmp_lg_u32 s36, 1
	s_cselect_b64 vcc, -1, 0
	s_cmp_lg_u32 s36, 0
	v_cndmask_b32_e32 v33, 0, v33, vcc
	s_cselect_b64 vcc, -1, 0
	s_add_u32 s36, s36, 1
	s_addc_u32 s37, s37, 0
	v_cmp_eq_u32_e64 s[8:9], s36, v0
	s_or_b64 s[34:35], s[8:9], s[34:35]
	v_cndmask_b32_e32 v32, 0, v32, vcc
	s_andn2_b64 exec, exec, s[34:35]
	s_cbranch_execnz .LBB163_50
; %bb.51:                               ;   in Loop: Header=BB163_12 Depth=1
	s_or_b64 exec, exec, s[34:35]
	s_branch .LBB163_9
.LBB163_52:
	s_endpgm
	.section	.rodata,"a",@progbits
	.p2align	6, 0x0
	.amdhsa_kernel _Z16wvSplitK_hf_big_I14__hip_bfloat16Li32ELi2ELi16ELi8ELi2ELi1EEviiiiiiPKT_S3_S3_PS1_ii
		.amdhsa_group_segment_fixed_size 65536
		.amdhsa_private_segment_fixed_size 0
		.amdhsa_kernarg_size 64
		.amdhsa_user_sgpr_count 2
		.amdhsa_user_sgpr_dispatch_ptr 0
		.amdhsa_user_sgpr_queue_ptr 0
		.amdhsa_user_sgpr_kernarg_segment_ptr 1
		.amdhsa_user_sgpr_dispatch_id 0
		.amdhsa_user_sgpr_kernarg_preload_length 0
		.amdhsa_user_sgpr_kernarg_preload_offset 0
		.amdhsa_user_sgpr_private_segment_size 0
		.amdhsa_uses_dynamic_stack 0
		.amdhsa_enable_private_segment 0
		.amdhsa_system_sgpr_workgroup_id_x 1
		.amdhsa_system_sgpr_workgroup_id_y 0
		.amdhsa_system_sgpr_workgroup_id_z 0
		.amdhsa_system_sgpr_workgroup_info 0
		.amdhsa_system_vgpr_workitem_id 1
		.amdhsa_next_free_vgpr 47
		.amdhsa_next_free_sgpr 50
		.amdhsa_accum_offset 48
		.amdhsa_reserve_vcc 1
		.amdhsa_float_round_mode_32 0
		.amdhsa_float_round_mode_16_64 0
		.amdhsa_float_denorm_mode_32 3
		.amdhsa_float_denorm_mode_16_64 3
		.amdhsa_dx10_clamp 1
		.amdhsa_ieee_mode 1
		.amdhsa_fp16_overflow 0
		.amdhsa_tg_split 0
		.amdhsa_exception_fp_ieee_invalid_op 0
		.amdhsa_exception_fp_denorm_src 0
		.amdhsa_exception_fp_ieee_div_zero 0
		.amdhsa_exception_fp_ieee_overflow 0
		.amdhsa_exception_fp_ieee_underflow 0
		.amdhsa_exception_fp_ieee_inexact 0
		.amdhsa_exception_int_div_zero 0
	.end_amdhsa_kernel
	.section	.text._Z16wvSplitK_hf_big_I14__hip_bfloat16Li32ELi2ELi16ELi8ELi2ELi1EEviiiiiiPKT_S3_S3_PS1_ii,"axG",@progbits,_Z16wvSplitK_hf_big_I14__hip_bfloat16Li32ELi2ELi16ELi8ELi2ELi1EEviiiiiiPKT_S3_S3_PS1_ii,comdat
.Lfunc_end163:
	.size	_Z16wvSplitK_hf_big_I14__hip_bfloat16Li32ELi2ELi16ELi8ELi2ELi1EEviiiiiiPKT_S3_S3_PS1_ii, .Lfunc_end163-_Z16wvSplitK_hf_big_I14__hip_bfloat16Li32ELi2ELi16ELi8ELi2ELi1EEviiiiiiPKT_S3_S3_PS1_ii
                                        ; -- End function
	.section	.AMDGPU.csdata,"",@progbits
; Kernel info:
; codeLenInByte = 2116
; NumSgprs: 56
; NumVgprs: 47
; NumAgprs: 0
; TotalNumVgprs: 47
; ScratchSize: 0
; MemoryBound: 0
; FloatMode: 240
; IeeeMode: 1
; LDSByteSize: 65536 bytes/workgroup (compile time only)
; SGPRBlocks: 6
; VGPRBlocks: 5
; NumSGPRsForWavesPerEU: 56
; NumVGPRsForWavesPerEU: 47
; AccumOffset: 48
; Occupancy: 2
; WaveLimiterHint : 0
; COMPUTE_PGM_RSRC2:SCRATCH_EN: 0
; COMPUTE_PGM_RSRC2:USER_SGPR: 2
; COMPUTE_PGM_RSRC2:TRAP_HANDLER: 0
; COMPUTE_PGM_RSRC2:TGID_X_EN: 1
; COMPUTE_PGM_RSRC2:TGID_Y_EN: 0
; COMPUTE_PGM_RSRC2:TGID_Z_EN: 0
; COMPUTE_PGM_RSRC2:TIDIG_COMP_CNT: 1
; COMPUTE_PGM_RSRC3_GFX90A:ACCUM_OFFSET: 11
; COMPUTE_PGM_RSRC3_GFX90A:TG_SPLIT: 0
	.section	.text._Z16wvSplitK_hf_sml_I14__hip_bfloat16Li32ELi3ELi16ELi8ELi2ELi1EEviiiiiiPKT_S3_S3_PS1_ii,"axG",@progbits,_Z16wvSplitK_hf_sml_I14__hip_bfloat16Li32ELi3ELi16ELi8ELi2ELi1EEviiiiiiPKT_S3_S3_PS1_ii,comdat
	.protected	_Z16wvSplitK_hf_sml_I14__hip_bfloat16Li32ELi3ELi16ELi8ELi2ELi1EEviiiiiiPKT_S3_S3_PS1_ii ; -- Begin function _Z16wvSplitK_hf_sml_I14__hip_bfloat16Li32ELi3ELi16ELi8ELi2ELi1EEviiiiiiPKT_S3_S3_PS1_ii
	.globl	_Z16wvSplitK_hf_sml_I14__hip_bfloat16Li32ELi3ELi16ELi8ELi2ELi1EEviiiiiiPKT_S3_S3_PS1_ii
	.p2align	8
	.type	_Z16wvSplitK_hf_sml_I14__hip_bfloat16Li32ELi3ELi16ELi8ELi2ELi1EEviiiiiiPKT_S3_S3_PS1_ii,@function
_Z16wvSplitK_hf_sml_I14__hip_bfloat16Li32ELi3ELi16ELi8ELi2ELi1EEviiiiiiPKT_S3_S3_PS1_ii: ; @_Z16wvSplitK_hf_sml_I14__hip_bfloat16Li32ELi3ELi16ELi8ELi2ELi1EEviiiiiiPKT_S3_S3_PS1_ii
; %bb.0:
	s_load_dwordx4 s[8:11], s[0:1], 0x0
	v_and_b32_e32 v4, 0x3ff, v0
	v_bfe_u32 v5, v0, 10, 10
	v_lshlrev_b32_e32 v58, 3, v4
	v_lshl_add_u32 v6, v5, 8, v58
	s_waitcnt lgkmcnt(0)
	s_min_u32 s3, s10, 0x8000
	v_cmp_gt_u32_e32 vcc, s3, v6
	s_and_saveexec_b64 s[4:5], vcc
	s_cbranch_execz .LBB164_9
; %bb.1:
	s_load_dwordx2 s[6:7], s[0:1], 0x20
	v_lshlrev_b32_e32 v0, 1, v6
	v_add_u32_e32 v1, 0x1000, v6
	v_cmp_gt_u32_e32 vcc, s3, v1
	s_waitcnt lgkmcnt(0)
	global_load_dwordx4 v[8:11], v0, s[6:7]
	s_waitcnt vmcnt(0)
	ds_write_b128 v0, v[8:11]
	s_and_saveexec_b64 s[12:13], vcc
	s_xor_b64 s[12:13], exec, s[12:13]
	s_cbranch_execz .LBB164_9
; %bb.2:
	v_mov_b32_e32 v1, 0
	v_lshl_add_u64 v[2:3], s[6:7], 0, v[0:1]
	v_add_co_u32_e32 v8, vcc, 0x2000, v2
	v_add_u32_e32 v1, 0x2000, v6
	s_nop 0
	v_addc_co_u32_e32 v9, vcc, 0, v3, vcc
	global_load_dwordx4 v[8:11], v[8:9], off
	v_cmp_gt_u32_e32 vcc, s3, v1
	s_waitcnt vmcnt(0)
	ds_write_b128 v0, v[8:11] offset:8192
	s_and_saveexec_b64 s[6:7], vcc
	s_xor_b64 s[6:7], exec, s[6:7]
	s_cbranch_execz .LBB164_9
; %bb.3:
	v_add_co_u32_e32 v8, vcc, 0x4000, v2
	v_add_u32_e32 v1, 0x3000, v6
	s_nop 0
	v_addc_co_u32_e32 v9, vcc, 0, v3, vcc
	global_load_dwordx4 v[8:11], v[8:9], off
	v_cmp_gt_u32_e32 vcc, s3, v1
	s_waitcnt vmcnt(0)
	ds_write_b128 v0, v[8:11] offset:16384
	s_and_saveexec_b64 s[6:7], vcc
	s_xor_b64 s[6:7], exec, s[6:7]
	s_cbranch_execz .LBB164_9
; %bb.4:
	;; [unrolled: 12-line block ×6, first 2 shown]
	v_add_co_u32_e32 v2, vcc, 0xe000, v2
	s_nop 1
	v_addc_co_u32_e32 v3, vcc, 0, v3, vcc
	global_load_dwordx4 v[6:9], v[2:3], off
	s_waitcnt vmcnt(0)
	ds_write_b128 v0, v[6:9] offset:57344
.LBB164_9:
	s_or_b64 exec, exec, s[4:5]
	s_load_dwordx2 s[4:5], s[0:1], 0x38
	s_waitcnt lgkmcnt(0)
	s_barrier
	v_cmp_gt_u32_e32 vcc, s4, v5
	s_and_saveexec_b64 s[6:7], vcc
	s_cbranch_execz .LBB164_36
; %bb.10:
	s_load_dword s10, s[0:1], 0x10
	s_mul_i32 s2, s2, s4
	v_add_u32_e32 v0, s2, v5
	v_lshl_add_u32 v44, v0, 1, v0
	v_cmp_gt_u32_e32 vcc, s11, v44
	s_and_b64 exec, exec, vcc
	s_cbranch_execz .LBB164_36
; %bb.11:
	s_waitcnt lgkmcnt(0)
	v_cvt_f32_u32_e32 v0, s10
	s_load_dwordx4 s[12:15], s[0:1], 0x28
	s_load_dwordx2 s[6:7], s[0:1], 0x18
	s_cmp_lg_u32 s8, 0
	s_cselect_b64 s[2:3], -1, 0
	v_rcp_iflag_f32_e32 v0, v0
	s_add_i32 s22, s8, -8
	s_add_i32 s23, s11, -1
	s_waitcnt lgkmcnt(0)
	s_cmp_lg_u64 s[12:13], 0
	v_mul_f32_e32 v0, 0x4f7ffffe, v0
	v_cvt_u32_f32_e32 v0, v0
	s_mul_i32 s24, s4, s5
	s_cselect_b64 s[4:5], -1, 0
	s_sub_i32 s18, 0, s10
	v_mul_lo_u32 v1, s18, v0
	v_mul_hi_u32 v1, v0, v1
	v_add_u32_e32 v59, v0, v1
	v_cndmask_b32_e64 v0, 0, 1, s[2:3]
	v_cmp_ne_u32_e64 s[2:3], 1, v0
	v_cndmask_b32_e64 v0, 0, 1, s[4:5]
	v_cmp_eq_u32_e64 s[0:1], 31, v4
	s_mov_b64 s[16:17], 0
	s_mul_i32 s24, s24, 3
	v_mov_b32_e32 v47, 0
	v_lshlrev_b32_e32 v60, 4, v4
	v_cmp_ne_u32_e64 s[4:5], 1, v0
	s_mov_b32 s25, 0x7f800000
	s_movk_i32 s26, 0x7fff
	s_branch .LBB164_14
.LBB164_12:                             ;   in Loop: Header=BB164_14 Depth=1
	s_or_b64 exec, exec, s[20:21]
	v_mov_b32_e32 v49, v47
	v_lshl_add_u64 v[2:3], v[48:49], 1, s[14:15]
	global_store_short_d16_hi v[2:3], v0, off
.LBB164_13:                             ;   in Loop: Header=BB164_14 Depth=1
	s_or_b64 exec, exec, s[18:19]
	v_add_u32_e32 v44, s24, v44
	v_cmp_le_u32_e32 vcc, s11, v44
	s_or_b64 s[16:17], vcc, s[16:17]
	s_andn2_b64 exec, exec, s[16:17]
	s_cbranch_execz .LBB164_36
.LBB164_14:                             ; =>This Loop Header: Depth=1
                                        ;     Child Loop BB164_18 Depth 2
	s_and_b64 vcc, exec, s[2:3]
	v_add_u32_e32 v50, 1, v44
	v_add_u32_e32 v48, 2, v44
	v_mov_b32_e32 v3, v47
	v_mov_b32_e32 v2, v47
	;; [unrolled: 1-line block ×12, first 2 shown]
	s_cbranch_vccnz .LBB164_21
; %bb.15:                               ;   in Loop: Header=BB164_14 Depth=1
	v_min_u32_e32 v0, s23, v44
	v_mul_lo_u32 v46, v0, s9
	v_min_u32_e32 v0, s23, v50
	v_min_u32_e32 v2, s23, v48
	v_mul_lo_u32 v0, v0, s9
	v_mov_b32_e32 v1, v47
	v_mul_lo_u32 v2, v2, s9
	v_mov_b32_e32 v3, v47
	v_mov_b32_e32 v8, 0
	s_mov_b32 s27, 0
	v_lshlrev_b64 v[52:53], 1, v[46:47]
	v_lshlrev_b64 v[54:55], 1, v[0:1]
	;; [unrolled: 1-line block ×3, first 2 shown]
	v_mov_b32_e32 v45, v60
	v_mov_b32_e32 v9, v8
	;; [unrolled: 1-line block ×12, first 2 shown]
	s_branch .LBB164_18
.LBB164_16:                             ;   in Loop: Header=BB164_18 Depth=2
	s_or_b64 exec, exec, s[20:21]
.LBB164_17:                             ;   in Loop: Header=BB164_18 Depth=2
	s_or_b64 exec, exec, s[18:19]
	s_waitcnt vmcnt(5) lgkmcnt(0)
	v_mfma_f32_4x4x4_16b_bf16 v[8:11], v[40:41], v[36:37], v[8:11]
	s_addk_i32 s27, 0x200
	s_waitcnt vmcnt(4)
	v_mfma_f32_4x4x4_16b_bf16 v[4:7], v[40:41], v[28:29], v[4:7]
	v_add_u32_e32 v45, 0x400, v45
	s_waitcnt vmcnt(3)
	v_mfma_f32_4x4x4_16b_bf16 v[0:3], v[40:41], v[32:33], v[0:3]
	s_cmp_ge_u32 s27, s8
	v_mfma_f32_4x4x4_16b_bf16 v[8:11], v[42:43], v[38:39], v[8:11]
	v_mfma_f32_4x4x4_16b_bf16 v[4:7], v[42:43], v[30:31], v[4:7]
	;; [unrolled: 1-line block ×3, first 2 shown]
	s_waitcnt vmcnt(2)
	v_mfma_f32_4x4x4_16b_bf16 v[8:11], v[16:17], v[24:25], v[8:11]
	s_waitcnt vmcnt(1)
	v_mfma_f32_4x4x4_16b_bf16 v[4:7], v[16:17], v[20:21], v[4:7]
	;; [unrolled: 2-line block ×3, first 2 shown]
	v_mfma_f32_4x4x4_16b_bf16 v[8:11], v[18:19], v[26:27], v[8:11]
	v_mfma_f32_4x4x4_16b_bf16 v[4:7], v[18:19], v[22:23], v[4:7]
	;; [unrolled: 1-line block ×3, first 2 shown]
	s_cbranch_scc1 .LBB164_21
.LBB164_18:                             ;   Parent Loop BB164_14 Depth=1
                                        ; =>  This Inner Loop Header: Depth=2
	v_add_u32_e32 v40, s27, v58
	v_min_u32_e32 v46, s22, v40
	v_lshl_add_u64 v[12:13], v[46:47], 1, s[6:7]
	v_add_u32_e32 v49, 0x100, v40
	v_lshl_add_u64 v[14:15], v[12:13], 0, v[52:53]
	v_min_u32_e32 v46, s22, v49
	v_lshl_add_u64 v[16:17], v[12:13], 0, v[54:55]
	global_load_dwordx4 v[36:39], v[14:15], off nt
	global_load_dwordx4 v[28:31], v[16:17], off nt
	v_lshl_add_u64 v[14:15], v[46:47], 1, s[6:7]
	v_lshl_add_u64 v[12:13], v[12:13], 0, v[56:57]
	;; [unrolled: 1-line block ×3, first 2 shown]
	global_load_dwordx4 v[32:35], v[12:13], off nt
	global_load_dwordx4 v[24:27], v[16:17], off nt
	v_lshl_add_u64 v[16:17], v[14:15], 0, v[54:55]
	v_lshl_add_u64 v[18:19], v[14:15], 0, v[56:57]
	global_load_dwordx4 v[20:23], v[16:17], off nt
	global_load_dwordx4 v[12:15], v[18:19], off nt
	v_cmp_gt_u32_e32 vcc, s8, v40
	v_mov_b32_e32 v40, 0
	v_mov_b32_e32 v41, 0
	;; [unrolled: 1-line block ×8, first 2 shown]
	s_and_saveexec_b64 s[18:19], vcc
	s_cbranch_execz .LBB164_17
; %bb.19:                               ;   in Loop: Header=BB164_18 Depth=2
	ds_read_b128 v[40:43], v45
	v_cmp_gt_u32_e32 vcc, s8, v49
	v_mov_b32_e32 v19, 0
	v_mov_b32_e32 v18, 0
	;; [unrolled: 1-line block ×4, first 2 shown]
	s_and_saveexec_b64 s[20:21], vcc
	s_cbranch_execz .LBB164_16
; %bb.20:                               ;   in Loop: Header=BB164_18 Depth=2
	ds_read_b128 v[16:19], v45 offset:512
	s_branch .LBB164_16
.LBB164_21:                             ;   in Loop: Header=BB164_14 Depth=1
	; sched_barrier mask(0x00000000)
	s_nop 1
	v_cvt_i32_f32_e32 v9, v9
	v_cvt_i32_f32_e32 v10, v10
	;; [unrolled: 1-line block ×4, first 2 shown]
	v_cvt_f32_i32_dpp v9, v9 row_shl:1 row_mask:0xf bank_mask:0xf bound_ctrl:1
	v_cvt_i32_f32_e32 v1, v1
	v_cvt_f32_i32_dpp v10, v10 row_shl:2 row_mask:0xf bank_mask:0xf bound_ctrl:1
	v_cvt_i32_f32_e32 v6, v6
	v_cvt_i32_f32_e32 v2, v2
	v_cvt_f32_i32_dpp v11, v11 row_shl:3 row_mask:0xf bank_mask:0xf bound_ctrl:1
	v_cvt_i32_f32_e32 v7, v7
	v_cvt_i32_f32_e32 v3, v3
	v_add_f32_e32 v8, v8, v9
	v_cvt_f32_i32_dpp v5, v5 row_shl:1 row_mask:0xf bank_mask:0xf bound_ctrl:1
	v_cvt_f32_i32_dpp v1, v1 row_shl:1 row_mask:0xf bank_mask:0xf bound_ctrl:1
	v_add_f32_e32 v8, v8, v10
	v_cvt_f32_i32_dpp v6, v6 row_shl:2 row_mask:0xf bank_mask:0xf bound_ctrl:1
	v_cvt_f32_i32_dpp v2, v2 row_shl:2 row_mask:0xf bank_mask:0xf bound_ctrl:1
	v_add_f32_e32 v8, v8, v11
	v_cvt_f32_i32_dpp v7, v7 row_shl:3 row_mask:0xf bank_mask:0xf bound_ctrl:1
	v_cvt_f32_i32_dpp v3, v3 row_shl:3 row_mask:0xf bank_mask:0xf bound_ctrl:1
	v_cvt_i32_f32_e32 v9, v8
	v_add_f32_e32 v4, v4, v5
	v_add_f32_e32 v0, v0, v1
	;; [unrolled: 1-line block ×6, first 2 shown]
	v_cvt_f32_i32_dpp v9, v9 row_shl:4 row_mask:0xf bank_mask:0xf bound_ctrl:1
	v_cvt_i32_f32_e32 v7, v4
	v_cvt_i32_f32_e32 v1, v0
	v_add_f32_e32 v5, v8, v9
	v_cvt_f32_i32_dpp v3, v7 row_shl:4 row_mask:0xf bank_mask:0xf bound_ctrl:1
	v_cvt_f32_i32_dpp v1, v1 row_shl:4 row_mask:0xf bank_mask:0xf bound_ctrl:1
	v_cvt_i32_f32_e32 v6, v5
	v_add_f32_e32 v3, v4, v3
	v_add_f32_e32 v0, v0, v1
	v_cvt_f32_i32_dpp v2, v6 row_shl:8 row_mask:0xf bank_mask:0xf bound_ctrl:1
	v_cvt_i32_f32_e32 v4, v3
	v_cvt_i32_f32_e32 v1, v0
	v_add_f32_e32 v2, v5, v2
	v_cvt_f32_i32_dpp v4, v4 row_shl:8 row_mask:0xf bank_mask:0xf bound_ctrl:1
	v_cvt_f32_i32_dpp v1, v1 row_shl:8 row_mask:0xf bank_mask:0xf bound_ctrl:1
	v_cvt_i32_f32_e32 v2, v2
	v_add_f32_e32 v3, v3, v4
	v_add_f32_e32 v0, v0, v1
	v_cvt_f32_i32_dpp v2, v2 row_shr:15 row_mask:0xf bank_mask:0xf bound_ctrl:1
	v_cvt_i32_f32_e32 v3, v3
	v_cvt_i32_f32_e32 v0, v0
	s_nop 0
	v_cvt_f32_i32_dpp v1, v3 row_shr:15 row_mask:0xf bank_mask:0xf bound_ctrl:1
	v_cvt_i32_f32_e32 v3, v2
	v_cvt_f32_i32_dpp v0, v0 row_shr:15 row_mask:0xf bank_mask:0xf bound_ctrl:1
	v_cvt_i32_f32_e32 v4, v1
	v_cvt_f32_i32_dpp v3, v3 row_bcast:15 row_mask:0xf bank_mask:0xf bound_ctrl:1
	v_cvt_i32_f32_e32 v6, v0
	v_cvt_f32_i32_dpp v4, v4 row_bcast:15 row_mask:0xf bank_mask:0xf bound_ctrl:1
	v_add_f32_e32 v5, v2, v3
	v_cvt_f32_i32_dpp v3, v6 row_bcast:15 row_mask:0xf bank_mask:0xf bound_ctrl:1
	v_cvt_i32_f32_e32 v6, v5
	v_add_f32_e32 v2, v1, v4
	v_cvt_i32_f32_e32 v1, v2
	v_add_f32_e32 v0, v0, v3
	v_cvt_i32_f32_e32 v4, v0
	v_mov_b32_dpp v6, v6 row_bcast:31 row_mask:0xf bank_mask:0xf bound_ctrl:1
	v_mov_b32_dpp v3, v1 row_bcast:31 row_mask:0xf bank_mask:0xf bound_ctrl:1
	;; [unrolled: 1-line block ×3, first 2 shown]
	s_and_saveexec_b64 s[18:19], s[0:1]
	s_cbranch_execz .LBB164_13
; %bb.22:                               ;   in Loop: Header=BB164_14 Depth=1
	s_and_b64 vcc, exec, s[4:5]
	v_mov_b32_e32 v8, 0
	v_mov_b32_e32 v7, 0
	;; [unrolled: 1-line block ×3, first 2 shown]
	s_cbranch_vccnz .LBB164_24
; %bb.23:                               ;   in Loop: Header=BB164_14 Depth=1
	v_mul_hi_u32 v4, v44, v59
	v_mul_lo_u32 v4, v4, s10
	v_sub_u32_e32 v4, v44, v4
	v_subrev_u32_e32 v7, s10, v4
	v_cmp_le_u32_e32 vcc, s10, v4
	s_nop 1
	v_cndmask_b32_e32 v4, v4, v7, vcc
	v_subrev_u32_e32 v7, s10, v4
	v_cmp_le_u32_e32 vcc, s10, v4
	s_nop 1
	v_cndmask_b32_e32 v46, v4, v7, vcc
	v_mul_hi_u32 v4, v50, v59
	v_mul_lo_u32 v4, v4, s10
	v_sub_u32_e32 v4, v50, v4
	v_subrev_u32_e32 v7, s10, v4
	v_cmp_le_u32_e32 vcc, s10, v4
	v_lshl_add_u64 v[10:11], v[46:47], 1, s[12:13]
	s_nop 0
	v_cndmask_b32_e32 v4, v4, v7, vcc
	v_subrev_u32_e32 v7, s10, v4
	v_cmp_le_u32_e32 vcc, s10, v4
	s_nop 1
	v_cndmask_b32_e32 v46, v4, v7, vcc
	v_mul_hi_u32 v4, v48, v59
	v_mul_lo_u32 v4, v4, s10
	v_sub_u32_e32 v4, v48, v4
	v_subrev_u32_e32 v7, s10, v4
	v_cmp_le_u32_e32 vcc, s10, v4
	v_lshl_add_u64 v[12:13], v[46:47], 1, s[12:13]
	s_nop 0
	v_cndmask_b32_e32 v4, v4, v7, vcc
	v_subrev_u32_e32 v7, s10, v4
	v_cmp_le_u32_e32 vcc, s10, v4
	s_nop 1
	v_cndmask_b32_e32 v46, v4, v7, vcc
	v_lshl_add_u64 v[14:15], v[46:47], 1, s[12:13]
	global_load_ushort v8, v[10:11], off
	global_load_ushort v7, v[12:13], off
	;; [unrolled: 1-line block ×3, first 2 shown]
.LBB164_24:                             ;   in Loop: Header=BB164_14 Depth=1
	v_cvt_f32_i32_e32 v6, v6
	v_add_f32_e32 v5, v5, v6
	s_waitcnt vmcnt(2)
	v_lshlrev_b32_e32 v6, 16, v8
	v_add_f32_e32 v6, v5, v6
	v_and_b32_e32 v5, 0x7f800000, v6
	v_cmp_ne_u32_e32 vcc, s25, v5
                                        ; implicit-def: $vgpr5
	s_and_saveexec_b64 s[20:21], vcc
	s_xor_b64 s[20:21], exec, s[20:21]
; %bb.25:                               ;   in Loop: Header=BB164_14 Depth=1
	v_bfe_u32 v5, v6, 16, 1
	v_add3_u32 v5, v6, v5, s26
                                        ; implicit-def: $vgpr6
; %bb.26:                               ;   in Loop: Header=BB164_14 Depth=1
	s_andn2_saveexec_b64 s[20:21], s[20:21]
; %bb.27:                               ;   in Loop: Header=BB164_14 Depth=1
	v_or_b32_e32 v5, 0x10000, v6
	v_cmp_eq_u32_sdwa vcc, v6, v47 src0_sel:WORD_0 src1_sel:DWORD
	s_nop 1
	v_cndmask_b32_e32 v5, v5, v6, vcc
; %bb.28:                               ;   in Loop: Header=BB164_14 Depth=1
	s_or_b64 exec, exec, s[20:21]
	v_cvt_f32_i32_e32 v3, v3
	v_mov_b32_e32 v45, v47
	v_lshl_add_u64 v[8:9], v[44:45], 1, s[14:15]
	global_store_short_d16_hi v[8:9], v5, off
	v_add_f32_e32 v2, v2, v3
	s_waitcnt vmcnt(2)
	v_lshlrev_b32_e32 v3, 16, v7
	v_add_f32_e32 v3, v2, v3
	v_and_b32_e32 v2, 0x7f800000, v3
	v_cmp_ne_u32_e32 vcc, s25, v2
                                        ; implicit-def: $vgpr2
	s_and_saveexec_b64 s[20:21], vcc
	s_xor_b64 s[20:21], exec, s[20:21]
; %bb.29:                               ;   in Loop: Header=BB164_14 Depth=1
	v_bfe_u32 v2, v3, 16, 1
	v_add3_u32 v2, v3, v2, s26
                                        ; implicit-def: $vgpr3
; %bb.30:                               ;   in Loop: Header=BB164_14 Depth=1
	s_andn2_saveexec_b64 s[20:21], s[20:21]
; %bb.31:                               ;   in Loop: Header=BB164_14 Depth=1
	v_or_b32_e32 v2, 0x10000, v3
	v_cmp_eq_u32_sdwa vcc, v3, v47 src0_sel:WORD_0 src1_sel:DWORD
	s_nop 1
	v_cndmask_b32_e32 v2, v2, v3, vcc
; %bb.32:                               ;   in Loop: Header=BB164_14 Depth=1
	s_or_b64 exec, exec, s[20:21]
	v_cvt_f32_i32_e32 v1, v1
	v_mov_b32_e32 v51, v47
	v_lshl_add_u64 v[6:7], v[50:51], 1, s[14:15]
	global_store_short_d16_hi v[6:7], v2, off
	v_add_f32_e32 v0, v0, v1
	s_waitcnt vmcnt(2)
	v_lshlrev_b32_e32 v1, 16, v4
	v_add_f32_e32 v1, v0, v1
	v_and_b32_e32 v0, 0x7f800000, v1
	v_cmp_ne_u32_e32 vcc, s25, v0
                                        ; implicit-def: $vgpr0
	s_and_saveexec_b64 s[20:21], vcc
	s_xor_b64 s[20:21], exec, s[20:21]
; %bb.33:                               ;   in Loop: Header=BB164_14 Depth=1
	v_bfe_u32 v0, v1, 16, 1
	v_add3_u32 v0, v1, v0, s26
                                        ; implicit-def: $vgpr1
; %bb.34:                               ;   in Loop: Header=BB164_14 Depth=1
	s_andn2_saveexec_b64 s[20:21], s[20:21]
	s_cbranch_execz .LBB164_12
; %bb.35:                               ;   in Loop: Header=BB164_14 Depth=1
	v_or_b32_e32 v0, 0x10000, v1
	v_cmp_eq_u32_sdwa vcc, v1, v47 src0_sel:WORD_0 src1_sel:DWORD
	s_nop 1
	v_cndmask_b32_e32 v0, v0, v1, vcc
	s_branch .LBB164_12
.LBB164_36:
	s_endpgm
	.section	.rodata,"a",@progbits
	.p2align	6, 0x0
	.amdhsa_kernel _Z16wvSplitK_hf_sml_I14__hip_bfloat16Li32ELi3ELi16ELi8ELi2ELi1EEviiiiiiPKT_S3_S3_PS1_ii
		.amdhsa_group_segment_fixed_size 65536
		.amdhsa_private_segment_fixed_size 0
		.amdhsa_kernarg_size 64
		.amdhsa_user_sgpr_count 2
		.amdhsa_user_sgpr_dispatch_ptr 0
		.amdhsa_user_sgpr_queue_ptr 0
		.amdhsa_user_sgpr_kernarg_segment_ptr 1
		.amdhsa_user_sgpr_dispatch_id 0
		.amdhsa_user_sgpr_kernarg_preload_length 0
		.amdhsa_user_sgpr_kernarg_preload_offset 0
		.amdhsa_user_sgpr_private_segment_size 0
		.amdhsa_uses_dynamic_stack 0
		.amdhsa_enable_private_segment 0
		.amdhsa_system_sgpr_workgroup_id_x 1
		.amdhsa_system_sgpr_workgroup_id_y 0
		.amdhsa_system_sgpr_workgroup_id_z 0
		.amdhsa_system_sgpr_workgroup_info 0
		.amdhsa_system_vgpr_workitem_id 1
		.amdhsa_next_free_vgpr 61
		.amdhsa_next_free_sgpr 28
		.amdhsa_accum_offset 64
		.amdhsa_reserve_vcc 1
		.amdhsa_float_round_mode_32 0
		.amdhsa_float_round_mode_16_64 0
		.amdhsa_float_denorm_mode_32 3
		.amdhsa_float_denorm_mode_16_64 3
		.amdhsa_dx10_clamp 1
		.amdhsa_ieee_mode 1
		.amdhsa_fp16_overflow 0
		.amdhsa_tg_split 0
		.amdhsa_exception_fp_ieee_invalid_op 0
		.amdhsa_exception_fp_denorm_src 0
		.amdhsa_exception_fp_ieee_div_zero 0
		.amdhsa_exception_fp_ieee_overflow 0
		.amdhsa_exception_fp_ieee_underflow 0
		.amdhsa_exception_fp_ieee_inexact 0
		.amdhsa_exception_int_div_zero 0
	.end_amdhsa_kernel
	.section	.text._Z16wvSplitK_hf_sml_I14__hip_bfloat16Li32ELi3ELi16ELi8ELi2ELi1EEviiiiiiPKT_S3_S3_PS1_ii,"axG",@progbits,_Z16wvSplitK_hf_sml_I14__hip_bfloat16Li32ELi3ELi16ELi8ELi2ELi1EEviiiiiiPKT_S3_S3_PS1_ii,comdat
.Lfunc_end164:
	.size	_Z16wvSplitK_hf_sml_I14__hip_bfloat16Li32ELi3ELi16ELi8ELi2ELi1EEviiiiiiPKT_S3_S3_PS1_ii, .Lfunc_end164-_Z16wvSplitK_hf_sml_I14__hip_bfloat16Li32ELi3ELi16ELi8ELi2ELi1EEviiiiiiPKT_S3_S3_PS1_ii
                                        ; -- End function
	.section	.AMDGPU.csdata,"",@progbits
; Kernel info:
; codeLenInByte = 2288
; NumSgprs: 34
; NumVgprs: 61
; NumAgprs: 0
; TotalNumVgprs: 61
; ScratchSize: 0
; MemoryBound: 0
; FloatMode: 240
; IeeeMode: 1
; LDSByteSize: 65536 bytes/workgroup (compile time only)
; SGPRBlocks: 4
; VGPRBlocks: 7
; NumSGPRsForWavesPerEU: 34
; NumVGPRsForWavesPerEU: 61
; AccumOffset: 64
; Occupancy: 2
; WaveLimiterHint : 0
; COMPUTE_PGM_RSRC2:SCRATCH_EN: 0
; COMPUTE_PGM_RSRC2:USER_SGPR: 2
; COMPUTE_PGM_RSRC2:TRAP_HANDLER: 0
; COMPUTE_PGM_RSRC2:TGID_X_EN: 1
; COMPUTE_PGM_RSRC2:TGID_Y_EN: 0
; COMPUTE_PGM_RSRC2:TGID_Z_EN: 0
; COMPUTE_PGM_RSRC2:TIDIG_COMP_CNT: 1
; COMPUTE_PGM_RSRC3_GFX90A:ACCUM_OFFSET: 15
; COMPUTE_PGM_RSRC3_GFX90A:TG_SPLIT: 0
	.section	.text._Z12wvSplitK_hf_I14__hip_bfloat16Li32ELi3ELi16ELi8ELi2ELi1EEviiiiiiPKT_S3_S3_PS1_ii,"axG",@progbits,_Z12wvSplitK_hf_I14__hip_bfloat16Li32ELi3ELi16ELi8ELi2ELi1EEviiiiiiPKT_S3_S3_PS1_ii,comdat
	.protected	_Z12wvSplitK_hf_I14__hip_bfloat16Li32ELi3ELi16ELi8ELi2ELi1EEviiiiiiPKT_S3_S3_PS1_ii ; -- Begin function _Z12wvSplitK_hf_I14__hip_bfloat16Li32ELi3ELi16ELi8ELi2ELi1EEviiiiiiPKT_S3_S3_PS1_ii
	.globl	_Z12wvSplitK_hf_I14__hip_bfloat16Li32ELi3ELi16ELi8ELi2ELi1EEviiiiiiPKT_S3_S3_PS1_ii
	.p2align	8
	.type	_Z12wvSplitK_hf_I14__hip_bfloat16Li32ELi3ELi16ELi8ELi2ELi1EEviiiiiiPKT_S3_S3_PS1_ii,@function
_Z12wvSplitK_hf_I14__hip_bfloat16Li32ELi3ELi16ELi8ELi2ELi1EEviiiiiiPKT_S3_S3_PS1_ii: ; @_Z12wvSplitK_hf_I14__hip_bfloat16Li32ELi3ELi16ELi8ELi2ELi1EEviiiiiiPKT_S3_S3_PS1_ii
; %bb.0:
	s_load_dwordx2 s[20:21], s[0:1], 0x38
	s_load_dwordx2 s[16:17], s[0:1], 0x20
	s_load_dwordx4 s[8:11], s[0:1], 0x0
	s_load_dword s30, s[0:1], 0x10
	v_bfe_u32 v4, v0, 10, 10
	s_waitcnt lgkmcnt(0)
	s_mul_i32 s2, s2, s20
	v_add_u32_e32 v1, s2, v4
	v_lshl_add_u32 v48, v1, 1, v1
	s_mov_b32 s4, 1
	v_add_u32_e32 v1, 3, v48
	s_mov_b32 s6, s4
	v_cmp_gt_u32_e32 vcc, s11, v48
	v_cmp_le_u32_e64 s[2:3], s11, v1
	s_mov_b32 s5, s4
	v_mov_b32_e32 v46, s6
	s_and_b64 s[12:13], vcc, s[2:3]
	v_mov_b32_e32 v45, s5
	v_mov_b32_e32 v44, s4
	s_and_saveexec_b64 s[2:3], s[12:13]
	s_cbranch_execz .LBB165_6
; %bb.1:
	s_add_i32 s7, s11, -3
	v_mov_b32_e32 v46, s6
	v_cmp_ne_u32_e32 vcc, s7, v48
	v_mov_b32_e32 v45, s5
	v_mov_b32_e32 v44, s4
	s_and_saveexec_b64 s[12:13], vcc
	s_cbranch_execz .LBB165_5
; %bb.2:
	v_subrev_u32_e32 v1, s7, v48
	v_cmp_lt_u32_e32 vcc, 1, v1
	s_mov_b64 s[14:15], 0
	s_mov_b64 s[18:19], 0
	v_cndmask_b32_e32 v2, 1, v1, vcc
	s_mov_b32 s5, s4
	s_mov_b32 s6, s4
.LBB165_3:                              ; =>This Inner Loop Header: Depth=1
	s_cmp_lg_u32 s18, 2
	s_cselect_b32 s6, s6, 0
	s_cmp_lg_u32 s18, 1
	s_cselect_b32 s5, s5, 0
	;; [unrolled: 2-line block ×3, first 2 shown]
	s_add_u32 s18, s18, 1
	s_addc_u32 s19, s19, 0
	v_cmp_eq_u32_e32 vcc, s18, v2
	v_mov_b32_e32 v46, s6
	s_or_b64 s[14:15], vcc, s[14:15]
	v_mov_b32_e32 v45, s5
	v_mov_b32_e32 v44, s4
	s_andn2_b64 exec, exec, s[14:15]
	s_cbranch_execnz .LBB165_3
; %bb.4:
	s_or_b64 exec, exec, s[14:15]
	v_mov_b32_e32 v48, s7
.LBB165_5:
	s_or_b64 exec, exec, s[12:13]
.LBB165_6:
	s_or_b64 exec, exec, s[2:3]
	v_and_b32_e32 v5, 0x3ff, v0
	v_lshlrev_b32_e32 v47, 3, v5
	v_lshl_add_u32 v6, v4, 8, v47
	s_min_u32 s4, s10, 0x8000
	v_cmp_gt_u32_e32 vcc, s4, v6
	s_and_saveexec_b64 s[2:3], vcc
	s_cbranch_execz .LBB165_15
; %bb.7:
	v_lshlrev_b32_e32 v0, 1, v6
	global_load_dwordx4 v[8:11], v0, s[16:17]
	v_add_u32_e32 v1, 0x1000, v6
	v_cmp_gt_u32_e32 vcc, s4, v1
	s_waitcnt vmcnt(0)
	ds_write_b128 v0, v[8:11]
	s_and_saveexec_b64 s[6:7], vcc
	s_xor_b64 s[6:7], exec, s[6:7]
	s_cbranch_execz .LBB165_15
; %bb.8:
	v_mov_b32_e32 v1, 0
	v_lshl_add_u64 v[2:3], s[16:17], 0, v[0:1]
	v_add_co_u32_e32 v8, vcc, 0x2000, v2
	v_add_u32_e32 v1, 0x2000, v6
	s_nop 0
	v_addc_co_u32_e32 v9, vcc, 0, v3, vcc
	global_load_dwordx4 v[8:11], v[8:9], off
	v_cmp_gt_u32_e32 vcc, s4, v1
	s_waitcnt vmcnt(0)
	ds_write_b128 v0, v[8:11] offset:8192
	s_and_saveexec_b64 s[6:7], vcc
	s_xor_b64 s[6:7], exec, s[6:7]
	s_cbranch_execz .LBB165_15
; %bb.9:
	v_add_co_u32_e32 v8, vcc, 0x4000, v2
	v_add_u32_e32 v1, 0x3000, v6
	s_nop 0
	v_addc_co_u32_e32 v9, vcc, 0, v3, vcc
	global_load_dwordx4 v[8:11], v[8:9], off
	v_cmp_gt_u32_e32 vcc, s4, v1
	s_waitcnt vmcnt(0)
	ds_write_b128 v0, v[8:11] offset:16384
	s_and_saveexec_b64 s[6:7], vcc
	s_xor_b64 s[6:7], exec, s[6:7]
	s_cbranch_execz .LBB165_15
; %bb.10:
	;; [unrolled: 12-line block ×6, first 2 shown]
	v_add_co_u32_e32 v2, vcc, 0xe000, v2
	s_nop 1
	v_addc_co_u32_e32 v3, vcc, 0, v3, vcc
	global_load_dwordx4 v[6:9], v[2:3], off
	s_waitcnt vmcnt(0)
	ds_write_b128 v0, v[6:9] offset:57344
.LBB165_15:
	s_or_b64 exec, exec, s[2:3]
	v_cmp_gt_u32_e32 vcc, s20, v4
	v_cmp_gt_u32_e64 s[2:3], s11, v48
	s_and_b64 s[2:3], vcc, s[2:3]
	s_waitcnt lgkmcnt(0)
	s_barrier
	s_and_saveexec_b64 s[4:5], s[2:3]
	s_cbranch_execz .LBB165_60
; %bb.16:
	v_cvt_f32_u32_e32 v0, s30
	s_load_dwordx4 s[12:15], s[0:1], 0x28
	s_load_dwordx2 s[18:19], s[0:1], 0x18
	s_cmp_lg_u32 s8, 0
	s_cselect_b64 s[2:3], -1, 0
	v_rcp_iflag_f32_e32 v0, v0
	s_add_i32 s10, s8, -8
	s_add_i32 s31, s11, -1
	s_waitcnt lgkmcnt(0)
	s_cmp_lg_u64 s[12:13], 0
	v_mul_f32_e32 v0, 0x4f7ffffe, v0
	v_cvt_u32_f32_e32 v0, v0
	s_cselect_b64 s[4:5], -1, 0
	s_sub_i32 s6, 0, s30
	s_mul_i32 s33, s20, s21
	v_mul_lo_u32 v1, s6, v0
	v_mul_hi_u32 v1, v0, v1
	v_add_u32_e32 v66, v0, v1
	v_cndmask_b32_e64 v0, 0, 1, s[2:3]
	v_cmp_ne_u32_e64 s[2:3], 1, v0
	v_cndmask_b32_e64 v0, 0, 1, s[4:5]
	v_cmp_eq_u32_e64 s[0:1], 31, v5
	s_mov_b64 s[20:21], 0
	s_mul_i32 s33, s33, 3
	s_add_i32 s34, s11, -3
	v_mov_b32_e32 v51, 0
	v_lshlrev_b32_e32 v67, 4, v5
	s_movk_i32 s35, 0x7fff
	s_mov_b32 s36, 0x7f800000
	v_cmp_ne_u32_e64 s[4:5], 1, v0
	s_branch .LBB165_19
.LBB165_17:                             ;   in Loop: Header=BB165_19 Depth=1
	s_or_b64 exec, exec, s[24:25]
	v_mov_b32_e32 v48, s34
.LBB165_18:                             ;   in Loop: Header=BB165_19 Depth=1
	s_or_b64 exec, exec, s[22:23]
	v_cmp_le_u32_e32 vcc, s11, v48
	s_or_b64 s[20:21], vcc, s[20:21]
	s_andn2_b64 exec, exec, s[20:21]
	s_cbranch_execz .LBB165_60
.LBB165_19:                             ; =>This Loop Header: Depth=1
                                        ;     Child Loop BB165_24 Depth 2
                                        ;     Child Loop BB165_58 Depth 2
	s_and_b64 vcc, exec, s[2:3]
	v_add_u32_e32 v54, 1, v48
	v_add_u32_e32 v52, 2, v48
	v_mov_b32_e32 v3, v51
	v_mov_b32_e32 v2, v51
	;; [unrolled: 1-line block ×4, first 2 shown]
	s_waitcnt vmcnt(1)
	v_mov_b32_e32 v7, v51
	v_mov_b32_e32 v6, v51
	;; [unrolled: 1-line block ×3, first 2 shown]
	s_waitcnt vmcnt(0)
	v_mov_b32_e32 v4, v51
	v_mov_b32_e32 v11, v51
	;; [unrolled: 1-line block ×5, first 2 shown]
	s_cbranch_vccnz .LBB165_34
; %bb.20:                               ;   in Loop: Header=BB165_19 Depth=1
	v_min_u32_e32 v0, s31, v48
	v_mul_lo_u32 v50, v0, s9
	v_min_u32_e32 v0, s31, v54
	v_min_u32_e32 v2, s31, v52
	v_mul_lo_u32 v0, v0, s9
	v_mov_b32_e32 v1, v51
	v_mul_lo_u32 v2, v2, s9
	v_mov_b32_e32 v3, v51
	v_mov_b32_e32 v8, 0
	s_mov_b32 s6, 0
	v_lshlrev_b64 v[56:57], 1, v[50:51]
	v_lshlrev_b64 v[58:59], 1, v[0:1]
	;; [unrolled: 1-line block ×3, first 2 shown]
	v_mov_b32_e32 v49, v67
	s_mov_b32 s28, 0
	v_mov_b32_e32 v9, v8
	v_mov_b32_e32 v10, v8
	;; [unrolled: 1-line block ×11, first 2 shown]
	s_branch .LBB165_24
.LBB165_21:                             ;   in Loop: Header=BB165_24 Depth=2
	s_or_b64 exec, exec, s[26:27]
.LBB165_22:                             ;   in Loop: Header=BB165_24 Depth=2
	s_or_b64 exec, exec, s[24:25]
.LBB165_23:                             ;   in Loop: Header=BB165_24 Depth=2
	s_or_b64 exec, exec, s[22:23]
	s_waitcnt vmcnt(0) lgkmcnt(0)
	v_mfma_f32_4x4x4_16b_bf16 v[8:11], v[36:37], v[32:33], v[8:11]
	s_addk_i32 s28, 0x200
	v_mfma_f32_4x4x4_16b_bf16 v[4:7], v[36:37], v[24:25], v[4:7]
	v_add_u32_e32 v49, 0x400, v49
	v_mfma_f32_4x4x4_16b_bf16 v[0:3], v[36:37], v[28:29], v[0:3]
	s_cmp_ge_u32 s28, s8
	v_mfma_f32_4x4x4_16b_bf16 v[8:11], v[38:39], v[34:35], v[8:11]
	v_mfma_f32_4x4x4_16b_bf16 v[4:7], v[38:39], v[26:27], v[4:7]
	;; [unrolled: 1-line block ×9, first 2 shown]
	s_cbranch_scc1 .LBB165_34
.LBB165_24:                             ;   Parent Loop BB165_19 Depth=1
                                        ; =>  This Inner Loop Header: Depth=2
	v_add_u32_e32 v64, s28, v47
	v_min_u32_e32 v50, s10, v64
	v_lshl_add_u64 v[12:13], v[50:51], 1, s[18:19]
	v_add_u32_e32 v62, 0x100, v64
	v_lshl_add_u64 v[14:15], v[12:13], 0, v[56:57]
	v_min_u32_e32 v50, s10, v62
	v_lshl_add_u64 v[16:17], v[12:13], 0, v[58:59]
	global_load_dwordx4 v[32:35], v[14:15], off nt
	global_load_dwordx4 v[24:27], v[16:17], off nt
	v_lshl_add_u64 v[14:15], v[50:51], 1, s[18:19]
	v_lshl_add_u64 v[12:13], v[12:13], 0, v[60:61]
	;; [unrolled: 1-line block ×4, first 2 shown]
	global_load_dwordx4 v[28:31], v[12:13], off nt
	global_load_dwordx4 v[20:23], v[16:17], off nt
	v_lshl_add_u64 v[38:39], v[14:15], 0, v[60:61]
	global_load_dwordx4 v[16:19], v[36:37], off nt
	global_load_dwordx4 v[12:15], v[38:39], off nt
	s_mov_b32 s7, s6
	v_cmp_gt_u32_e32 vcc, s8, v64
	v_mov_b64_e32 v[38:39], s[6:7]
	v_mov_b32_e32 v43, 0
	v_mov_b32_e32 v42, 0
	;; [unrolled: 1-line block ×4, first 2 shown]
	v_mov_b64_e32 v[36:37], s[6:7]
	s_and_saveexec_b64 s[22:23], vcc
	s_cbranch_execz .LBB165_23
; %bb.25:                               ;   in Loop: Header=BB165_24 Depth=2
	v_cmp_lt_u32_e32 vcc, s35, v64
                                        ; implicit-def: $vgpr38_vgpr39
	s_and_saveexec_b64 s[24:25], vcc
	s_xor_b64 s[24:25], exec, s[24:25]
	s_cbranch_execz .LBB165_27
; %bb.26:                               ;   in Loop: Header=BB165_24 Depth=2
	v_mov_b32_e32 v65, v51
	v_lshl_add_u64 v[36:37], v[64:65], 1, s[16:17]
	global_load_dwordx4 v[36:39], v[36:37], off
.LBB165_27:                             ;   in Loop: Header=BB165_24 Depth=2
	s_andn2_saveexec_b64 s[24:25], s[24:25]
	s_cbranch_execz .LBB165_29
; %bb.28:                               ;   in Loop: Header=BB165_24 Depth=2
	s_waitcnt vmcnt(0)
	ds_read_b128 v[36:39], v49
.LBB165_29:                             ;   in Loop: Header=BB165_24 Depth=2
	s_or_b64 exec, exec, s[24:25]
	v_cmp_gt_u32_e32 vcc, s8, v62
	v_mov_b32_e32 v43, 0
	v_mov_b32_e32 v42, 0
	;; [unrolled: 1-line block ×4, first 2 shown]
	s_and_saveexec_b64 s[24:25], vcc
	s_cbranch_execz .LBB165_22
; %bb.30:                               ;   in Loop: Header=BB165_24 Depth=2
	v_cmp_lt_u32_e32 vcc, s35, v62
                                        ; implicit-def: $vgpr43
	s_and_saveexec_b64 s[26:27], vcc
	s_xor_b64 s[26:27], exec, s[26:27]
	s_cbranch_execz .LBB165_32
; %bb.31:                               ;   in Loop: Header=BB165_24 Depth=2
	v_mov_b32_e32 v63, v51
	v_lshl_add_u64 v[40:41], v[62:63], 1, s[16:17]
	global_load_dwordx4 v[40:43], v[40:41], off
.LBB165_32:                             ;   in Loop: Header=BB165_24 Depth=2
	s_andn2_saveexec_b64 s[26:27], s[26:27]
	s_cbranch_execz .LBB165_21
; %bb.33:                               ;   in Loop: Header=BB165_24 Depth=2
	s_waitcnt vmcnt(0)
	ds_read_b128 v[40:43], v49 offset:512
	s_branch .LBB165_21
.LBB165_34:                             ;   in Loop: Header=BB165_19 Depth=1
	s_nop 1
	v_cvt_i32_f32_e32 v9, v9
	v_cvt_i32_f32_e32 v10, v10
	;; [unrolled: 1-line block ×4, first 2 shown]
	v_cvt_f32_i32_dpp v9, v9 row_shl:1 row_mask:0xf bank_mask:0xf bound_ctrl:1
	v_cvt_i32_f32_e32 v1, v1
	v_cvt_f32_i32_dpp v10, v10 row_shl:2 row_mask:0xf bank_mask:0xf bound_ctrl:1
	v_cvt_i32_f32_e32 v6, v6
	v_cvt_i32_f32_e32 v2, v2
	v_cvt_f32_i32_dpp v11, v11 row_shl:3 row_mask:0xf bank_mask:0xf bound_ctrl:1
	v_cvt_i32_f32_e32 v7, v7
	v_cvt_i32_f32_e32 v3, v3
	v_add_f32_e32 v8, v8, v9
	v_cvt_f32_i32_dpp v5, v5 row_shl:1 row_mask:0xf bank_mask:0xf bound_ctrl:1
	v_cvt_f32_i32_dpp v1, v1 row_shl:1 row_mask:0xf bank_mask:0xf bound_ctrl:1
	v_add_f32_e32 v8, v8, v10
	v_cvt_f32_i32_dpp v6, v6 row_shl:2 row_mask:0xf bank_mask:0xf bound_ctrl:1
	v_cvt_f32_i32_dpp v2, v2 row_shl:2 row_mask:0xf bank_mask:0xf bound_ctrl:1
	;; [unrolled: 3-line block ×3, first 2 shown]
	v_cvt_i32_f32_e32 v9, v8
	v_add_f32_e32 v4, v4, v5
	v_add_f32_e32 v0, v0, v1
	;; [unrolled: 1-line block ×6, first 2 shown]
	v_cvt_f32_i32_dpp v9, v9 row_shl:4 row_mask:0xf bank_mask:0xf bound_ctrl:1
	v_cvt_i32_f32_e32 v7, v4
	v_cvt_i32_f32_e32 v1, v0
	v_add_f32_e32 v5, v8, v9
	v_cvt_f32_i32_dpp v3, v7 row_shl:4 row_mask:0xf bank_mask:0xf bound_ctrl:1
	v_cvt_f32_i32_dpp v1, v1 row_shl:4 row_mask:0xf bank_mask:0xf bound_ctrl:1
	v_cvt_i32_f32_e32 v6, v5
	v_add_f32_e32 v3, v4, v3
	v_add_f32_e32 v0, v0, v1
	v_cvt_f32_i32_dpp v2, v6 row_shl:8 row_mask:0xf bank_mask:0xf bound_ctrl:1
	v_cvt_i32_f32_e32 v4, v3
	v_cvt_i32_f32_e32 v1, v0
	v_add_f32_e32 v2, v5, v2
	v_cvt_f32_i32_dpp v4, v4 row_shl:8 row_mask:0xf bank_mask:0xf bound_ctrl:1
	v_cvt_f32_i32_dpp v1, v1 row_shl:8 row_mask:0xf bank_mask:0xf bound_ctrl:1
	v_cvt_i32_f32_e32 v2, v2
	v_add_f32_e32 v3, v3, v4
	v_add_f32_e32 v0, v0, v1
	v_cvt_f32_i32_dpp v2, v2 row_shr:15 row_mask:0xf bank_mask:0xf bound_ctrl:1
	v_cvt_i32_f32_e32 v3, v3
	v_cvt_i32_f32_e32 v0, v0
	s_nop 0
	v_cvt_f32_i32_dpp v1, v3 row_shr:15 row_mask:0xf bank_mask:0xf bound_ctrl:1
	v_cvt_i32_f32_e32 v3, v2
	v_cvt_f32_i32_dpp v0, v0 row_shr:15 row_mask:0xf bank_mask:0xf bound_ctrl:1
	v_cvt_i32_f32_e32 v4, v1
	v_cvt_f32_i32_dpp v3, v3 row_bcast:15 row_mask:0xf bank_mask:0xf bound_ctrl:1
	v_cvt_i32_f32_e32 v6, v0
	v_cvt_f32_i32_dpp v4, v4 row_bcast:15 row_mask:0xf bank_mask:0xf bound_ctrl:1
	v_add_f32_e32 v5, v2, v3
	v_cvt_f32_i32_dpp v3, v6 row_bcast:15 row_mask:0xf bank_mask:0xf bound_ctrl:1
	v_cvt_i32_f32_e32 v6, v5
	v_add_f32_e32 v2, v1, v4
	v_cvt_i32_f32_e32 v1, v2
	v_add_f32_e32 v0, v0, v3
	v_cvt_i32_f32_e32 v4, v0
	v_mov_b32_dpp v6, v6 row_bcast:31 row_mask:0xf bank_mask:0xf bound_ctrl:1
	v_mov_b32_dpp v3, v1 row_bcast:31 row_mask:0xf bank_mask:0xf bound_ctrl:1
	;; [unrolled: 1-line block ×3, first 2 shown]
	s_and_saveexec_b64 s[6:7], s[0:1]
	s_cbranch_execz .LBB165_55
; %bb.35:                               ;   in Loop: Header=BB165_19 Depth=1
	s_and_b64 vcc, exec, s[4:5]
	v_mov_b32_e32 v8, 0
	v_mov_b32_e32 v7, 0
	;; [unrolled: 1-line block ×3, first 2 shown]
	s_cbranch_vccnz .LBB165_37
; %bb.36:                               ;   in Loop: Header=BB165_19 Depth=1
	v_mul_hi_u32 v4, v48, v66
	v_mul_lo_u32 v4, v4, s30
	v_sub_u32_e32 v4, v48, v4
	v_subrev_u32_e32 v7, s30, v4
	v_cmp_le_u32_e32 vcc, s30, v4
	s_nop 1
	v_cndmask_b32_e32 v4, v4, v7, vcc
	v_subrev_u32_e32 v7, s30, v4
	v_cmp_le_u32_e32 vcc, s30, v4
	s_nop 1
	v_cndmask_b32_e32 v50, v4, v7, vcc
	v_mul_hi_u32 v4, v54, v66
	v_mul_lo_u32 v4, v4, s30
	v_sub_u32_e32 v4, v54, v4
	v_subrev_u32_e32 v7, s30, v4
	v_cmp_le_u32_e32 vcc, s30, v4
	v_lshl_add_u64 v[10:11], v[50:51], 1, s[12:13]
	s_nop 0
	v_cndmask_b32_e32 v4, v4, v7, vcc
	v_subrev_u32_e32 v7, s30, v4
	v_cmp_le_u32_e32 vcc, s30, v4
	s_nop 1
	v_cndmask_b32_e32 v50, v4, v7, vcc
	v_mul_hi_u32 v4, v52, v66
	v_mul_lo_u32 v4, v4, s30
	v_sub_u32_e32 v4, v52, v4
	v_subrev_u32_e32 v7, s30, v4
	v_cmp_le_u32_e32 vcc, s30, v4
	v_lshl_add_u64 v[12:13], v[50:51], 1, s[12:13]
	s_nop 0
	v_cndmask_b32_e32 v4, v4, v7, vcc
	v_subrev_u32_e32 v7, s30, v4
	v_cmp_le_u32_e32 vcc, s30, v4
	s_nop 1
	v_cndmask_b32_e32 v50, v4, v7, vcc
	v_lshl_add_u64 v[14:15], v[50:51], 1, s[12:13]
	global_load_ushort v8, v[10:11], off
	global_load_ushort v7, v[12:13], off
	;; [unrolled: 1-line block ×3, first 2 shown]
.LBB165_37:                             ;   in Loop: Header=BB165_19 Depth=1
	v_cmp_ne_u32_e32 vcc, 0, v44
	s_and_saveexec_b64 s[22:23], vcc
	s_cbranch_execnz .LBB165_40
; %bb.38:                               ;   in Loop: Header=BB165_19 Depth=1
	s_or_b64 exec, exec, s[22:23]
	v_cmp_ne_u32_e32 vcc, 0, v45
	s_and_saveexec_b64 s[22:23], vcc
	s_cbranch_execnz .LBB165_45
.LBB165_39:                             ;   in Loop: Header=BB165_19 Depth=1
	s_or_b64 exec, exec, s[22:23]
	v_cmp_ne_u32_e32 vcc, 0, v46
	s_and_b64 exec, exec, vcc
	s_cbranch_execnz .LBB165_50
	s_branch .LBB165_55
.LBB165_40:                             ;   in Loop: Header=BB165_19 Depth=1
	v_cvt_f32_i32_e32 v6, v6
	v_add_f32_e32 v5, v5, v6
	s_waitcnt vmcnt(2)
	v_lshlrev_b32_e32 v6, 16, v8
	v_add_f32_e32 v6, v5, v6
	v_and_b32_e32 v5, 0x7f800000, v6
	v_cmp_ne_u32_e32 vcc, s36, v5
                                        ; implicit-def: $vgpr5
	s_and_saveexec_b64 s[24:25], vcc
	s_xor_b64 s[24:25], exec, s[24:25]
; %bb.41:                               ;   in Loop: Header=BB165_19 Depth=1
	v_bfe_u32 v5, v6, 16, 1
	v_add3_u32 v5, v6, v5, s35
                                        ; implicit-def: $vgpr6
; %bb.42:                               ;   in Loop: Header=BB165_19 Depth=1
	s_andn2_saveexec_b64 s[24:25], s[24:25]
; %bb.43:                               ;   in Loop: Header=BB165_19 Depth=1
	v_or_b32_e32 v5, 0x10000, v6
	v_cmp_eq_u32_sdwa vcc, v6, v51 src0_sel:WORD_0 src1_sel:DWORD
	s_nop 1
	v_cndmask_b32_e32 v5, v5, v6, vcc
; %bb.44:                               ;   in Loop: Header=BB165_19 Depth=1
	s_or_b64 exec, exec, s[24:25]
	v_mov_b32_e32 v49, v51
	v_lshl_add_u64 v[8:9], v[48:49], 1, s[14:15]
	global_store_short_d16_hi v[8:9], v5, off
	s_or_b64 exec, exec, s[22:23]
	v_cmp_ne_u32_e32 vcc, 0, v45
	s_and_saveexec_b64 s[22:23], vcc
	s_cbranch_execz .LBB165_39
.LBB165_45:                             ;   in Loop: Header=BB165_19 Depth=1
	v_cvt_f32_i32_e32 v3, v3
	v_add_f32_e32 v2, v2, v3
	s_waitcnt vmcnt(1)
	v_lshlrev_b32_e32 v3, 16, v7
	v_add_f32_e32 v3, v2, v3
	v_and_b32_e32 v2, 0x7f800000, v3
	v_cmp_ne_u32_e32 vcc, s36, v2
                                        ; implicit-def: $vgpr2
	s_and_saveexec_b64 s[24:25], vcc
	s_xor_b64 s[24:25], exec, s[24:25]
; %bb.46:                               ;   in Loop: Header=BB165_19 Depth=1
	v_bfe_u32 v2, v3, 16, 1
	v_add3_u32 v2, v3, v2, s35
                                        ; implicit-def: $vgpr3
; %bb.47:                               ;   in Loop: Header=BB165_19 Depth=1
	s_andn2_saveexec_b64 s[24:25], s[24:25]
; %bb.48:                               ;   in Loop: Header=BB165_19 Depth=1
	v_or_b32_e32 v2, 0x10000, v3
	v_cmp_eq_u32_sdwa vcc, v3, v51 src0_sel:WORD_0 src1_sel:DWORD
	s_nop 1
	v_cndmask_b32_e32 v2, v2, v3, vcc
; %bb.49:                               ;   in Loop: Header=BB165_19 Depth=1
	s_or_b64 exec, exec, s[24:25]
	v_mov_b32_e32 v55, v51
	v_lshl_add_u64 v[6:7], v[54:55], 1, s[14:15]
	global_store_short_d16_hi v[6:7], v2, off
	s_or_b64 exec, exec, s[22:23]
	v_cmp_ne_u32_e32 vcc, 0, v46
	s_and_b64 exec, exec, vcc
	s_cbranch_execz .LBB165_55
.LBB165_50:                             ;   in Loop: Header=BB165_19 Depth=1
	v_cvt_f32_i32_e32 v1, v1
	v_add_f32_e32 v0, v0, v1
	s_waitcnt vmcnt(0)
	v_lshlrev_b32_e32 v1, 16, v4
	v_add_f32_e32 v1, v0, v1
	v_and_b32_e32 v0, 0x7f800000, v1
	v_cmp_ne_u32_e32 vcc, s36, v0
                                        ; implicit-def: $vgpr0
	s_and_saveexec_b64 s[22:23], vcc
	s_xor_b64 s[22:23], exec, s[22:23]
; %bb.51:                               ;   in Loop: Header=BB165_19 Depth=1
	v_bfe_u32 v0, v1, 16, 1
	v_add3_u32 v0, v1, v0, s35
                                        ; implicit-def: $vgpr1
; %bb.52:                               ;   in Loop: Header=BB165_19 Depth=1
	s_andn2_saveexec_b64 s[22:23], s[22:23]
; %bb.53:                               ;   in Loop: Header=BB165_19 Depth=1
	v_or_b32_e32 v0, 0x10000, v1
	v_cmp_eq_u32_sdwa vcc, v1, v51 src0_sel:WORD_0 src1_sel:DWORD
	s_nop 1
	v_cndmask_b32_e32 v0, v0, v1, vcc
; %bb.54:                               ;   in Loop: Header=BB165_19 Depth=1
	s_or_b64 exec, exec, s[22:23]
	v_mov_b32_e32 v53, v51
	v_lshl_add_u64 v[2:3], v[52:53], 1, s[14:15]
	global_store_short_d16_hi v[2:3], v0, off
.LBB165_55:                             ;   in Loop: Header=BB165_19 Depth=1
	s_or_b64 exec, exec, s[6:7]
	v_add_u32_e32 v48, s33, v48
	v_add_u32_e32 v0, 3, v48
	v_cmp_gt_u32_e32 vcc, s11, v48
	v_cmp_le_u32_e64 s[6:7], s11, v0
	s_and_b64 s[6:7], vcc, s[6:7]
	s_and_saveexec_b64 s[22:23], s[6:7]
	s_cbranch_execz .LBB165_18
; %bb.56:                               ;   in Loop: Header=BB165_19 Depth=1
	v_cmp_ne_u32_e32 vcc, s34, v48
	s_and_saveexec_b64 s[24:25], vcc
	s_cbranch_execz .LBB165_17
; %bb.57:                               ;   in Loop: Header=BB165_19 Depth=1
	v_subrev_u32_e32 v0, s34, v48
	v_cmp_lt_u32_e32 vcc, 1, v0
	s_mov_b64 s[26:27], 0
	s_mov_b64 s[28:29], 0
	v_cndmask_b32_e32 v0, 1, v0, vcc
.LBB165_58:                             ;   Parent Loop BB165_19 Depth=1
                                        ; =>  This Inner Loop Header: Depth=2
	s_cmp_lg_u32 s28, 2
	s_cselect_b64 vcc, -1, 0
	s_cmp_lg_u32 s28, 1
	v_cndmask_b32_e32 v46, 0, v46, vcc
	s_cselect_b64 vcc, -1, 0
	s_cmp_lg_u32 s28, 0
	v_cndmask_b32_e32 v45, 0, v45, vcc
	s_cselect_b64 vcc, -1, 0
	s_add_u32 s28, s28, 1
	s_addc_u32 s29, s29, 0
	v_cmp_eq_u32_e64 s[6:7], s28, v0
	s_or_b64 s[26:27], s[6:7], s[26:27]
	v_cndmask_b32_e32 v44, 0, v44, vcc
	s_andn2_b64 exec, exec, s[26:27]
	s_cbranch_execnz .LBB165_58
; %bb.59:                               ;   in Loop: Header=BB165_19 Depth=1
	s_or_b64 exec, exec, s[26:27]
	s_branch .LBB165_17
.LBB165_60:
	s_endpgm
	.section	.rodata,"a",@progbits
	.p2align	6, 0x0
	.amdhsa_kernel _Z12wvSplitK_hf_I14__hip_bfloat16Li32ELi3ELi16ELi8ELi2ELi1EEviiiiiiPKT_S3_S3_PS1_ii
		.amdhsa_group_segment_fixed_size 65536
		.amdhsa_private_segment_fixed_size 0
		.amdhsa_kernarg_size 64
		.amdhsa_user_sgpr_count 2
		.amdhsa_user_sgpr_dispatch_ptr 0
		.amdhsa_user_sgpr_queue_ptr 0
		.amdhsa_user_sgpr_kernarg_segment_ptr 1
		.amdhsa_user_sgpr_dispatch_id 0
		.amdhsa_user_sgpr_kernarg_preload_length 0
		.amdhsa_user_sgpr_kernarg_preload_offset 0
		.amdhsa_user_sgpr_private_segment_size 0
		.amdhsa_uses_dynamic_stack 0
		.amdhsa_enable_private_segment 0
		.amdhsa_system_sgpr_workgroup_id_x 1
		.amdhsa_system_sgpr_workgroup_id_y 0
		.amdhsa_system_sgpr_workgroup_id_z 0
		.amdhsa_system_sgpr_workgroup_info 0
		.amdhsa_system_vgpr_workitem_id 1
		.amdhsa_next_free_vgpr 68
		.amdhsa_next_free_sgpr 37
		.amdhsa_accum_offset 68
		.amdhsa_reserve_vcc 1
		.amdhsa_float_round_mode_32 0
		.amdhsa_float_round_mode_16_64 0
		.amdhsa_float_denorm_mode_32 3
		.amdhsa_float_denorm_mode_16_64 3
		.amdhsa_dx10_clamp 1
		.amdhsa_ieee_mode 1
		.amdhsa_fp16_overflow 0
		.amdhsa_tg_split 0
		.amdhsa_exception_fp_ieee_invalid_op 0
		.amdhsa_exception_fp_denorm_src 0
		.amdhsa_exception_fp_ieee_div_zero 0
		.amdhsa_exception_fp_ieee_overflow 0
		.amdhsa_exception_fp_ieee_underflow 0
		.amdhsa_exception_fp_ieee_inexact 0
		.amdhsa_exception_int_div_zero 0
	.end_amdhsa_kernel
	.section	.text._Z12wvSplitK_hf_I14__hip_bfloat16Li32ELi3ELi16ELi8ELi2ELi1EEviiiiiiPKT_S3_S3_PS1_ii,"axG",@progbits,_Z12wvSplitK_hf_I14__hip_bfloat16Li32ELi3ELi16ELi8ELi2ELi1EEviiiiiiPKT_S3_S3_PS1_ii,comdat
.Lfunc_end165:
	.size	_Z12wvSplitK_hf_I14__hip_bfloat16Li32ELi3ELi16ELi8ELi2ELi1EEviiiiiiPKT_S3_S3_PS1_ii, .Lfunc_end165-_Z12wvSplitK_hf_I14__hip_bfloat16Li32ELi3ELi16ELi8ELi2ELi1EEviiiiiiPKT_S3_S3_PS1_ii
                                        ; -- End function
	.section	.AMDGPU.csdata,"",@progbits
; Kernel info:
; codeLenInByte = 2776
; NumSgprs: 43
; NumVgprs: 68
; NumAgprs: 0
; TotalNumVgprs: 68
; ScratchSize: 0
; MemoryBound: 1
; FloatMode: 240
; IeeeMode: 1
; LDSByteSize: 65536 bytes/workgroup (compile time only)
; SGPRBlocks: 5
; VGPRBlocks: 8
; NumSGPRsForWavesPerEU: 43
; NumVGPRsForWavesPerEU: 68
; AccumOffset: 68
; Occupancy: 2
; WaveLimiterHint : 0
; COMPUTE_PGM_RSRC2:SCRATCH_EN: 0
; COMPUTE_PGM_RSRC2:USER_SGPR: 2
; COMPUTE_PGM_RSRC2:TRAP_HANDLER: 0
; COMPUTE_PGM_RSRC2:TGID_X_EN: 1
; COMPUTE_PGM_RSRC2:TGID_Y_EN: 0
; COMPUTE_PGM_RSRC2:TGID_Z_EN: 0
; COMPUTE_PGM_RSRC2:TIDIG_COMP_CNT: 1
; COMPUTE_PGM_RSRC3_GFX90A:ACCUM_OFFSET: 16
; COMPUTE_PGM_RSRC3_GFX90A:TG_SPLIT: 0
	.section	.text._Z16wvSplitK_hf_big_I14__hip_bfloat16Li32ELi3ELi16ELi8ELi2ELi1EEviiiiiiPKT_S3_S3_PS1_ii,"axG",@progbits,_Z16wvSplitK_hf_big_I14__hip_bfloat16Li32ELi3ELi16ELi8ELi2ELi1EEviiiiiiPKT_S3_S3_PS1_ii,comdat
	.protected	_Z16wvSplitK_hf_big_I14__hip_bfloat16Li32ELi3ELi16ELi8ELi2ELi1EEviiiiiiPKT_S3_S3_PS1_ii ; -- Begin function _Z16wvSplitK_hf_big_I14__hip_bfloat16Li32ELi3ELi16ELi8ELi2ELi1EEviiiiiiPKT_S3_S3_PS1_ii
	.globl	_Z16wvSplitK_hf_big_I14__hip_bfloat16Li32ELi3ELi16ELi8ELi2ELi1EEviiiiiiPKT_S3_S3_PS1_ii
	.p2align	8
	.type	_Z16wvSplitK_hf_big_I14__hip_bfloat16Li32ELi3ELi16ELi8ELi2ELi1EEviiiiiiPKT_S3_S3_PS1_ii,@function
_Z16wvSplitK_hf_big_I14__hip_bfloat16Li32ELi3ELi16ELi8ELi2ELi1EEviiiiiiPKT_S3_S3_PS1_ii: ; @_Z16wvSplitK_hf_big_I14__hip_bfloat16Li32ELi3ELi16ELi8ELi2ELi1EEviiiiiiPKT_S3_S3_PS1_ii
; %bb.0:
	s_load_dwordx2 s[8:9], s[0:1], 0x38
	v_bfe_u32 v1, v0, 10, 10
	s_waitcnt lgkmcnt(0)
	v_cmp_gt_u32_e32 vcc, s8, v1
	s_and_saveexec_b64 s[4:5], vcc
	s_cbranch_execz .LBB166_58
; %bb.1:
	s_load_dwordx4 s[20:23], s[0:1], 0x0
	s_mul_i32 s2, s2, s8
	v_add_u32_e32 v2, s2, v1
	v_lshl_add_u32 v48, v2, 1, v2
	s_mov_b32 s4, 1
	v_add_u32_e32 v2, 3, v48
	s_mov_b32 s6, s4
	s_waitcnt lgkmcnt(0)
	v_cmp_gt_u32_e32 vcc, s23, v48
	v_cmp_le_u32_e64 s[2:3], s23, v2
	s_mov_b32 s5, s4
	v_mov_b32_e32 v46, s6
	s_and_b64 s[10:11], vcc, s[2:3]
	v_mov_b32_e32 v45, s5
	v_mov_b32_e32 v44, s4
	s_and_saveexec_b64 s[2:3], s[10:11]
	s_cbranch_execz .LBB166_7
; %bb.2:
	s_add_i32 s7, s23, -3
	v_mov_b32_e32 v46, s6
	v_cmp_ne_u32_e32 vcc, s7, v48
	v_mov_b32_e32 v45, s5
	v_mov_b32_e32 v44, s4
	s_and_saveexec_b64 s[10:11], vcc
	s_cbranch_execz .LBB166_6
; %bb.3:
	v_subrev_u32_e32 v2, s7, v48
	v_cmp_lt_u32_e32 vcc, 1, v2
	s_mov_b64 s[12:13], 0
	s_mov_b64 s[14:15], 0
	v_cndmask_b32_e32 v2, 1, v2, vcc
	s_mov_b32 s5, s4
	s_mov_b32 s6, s4
.LBB166_4:                              ; =>This Inner Loop Header: Depth=1
	s_cmp_lg_u32 s14, 2
	s_cselect_b32 s6, s6, 0
	s_cmp_lg_u32 s14, 1
	s_cselect_b32 s5, s5, 0
	;; [unrolled: 2-line block ×3, first 2 shown]
	s_add_u32 s14, s14, 1
	s_addc_u32 s15, s15, 0
	v_cmp_eq_u32_e32 vcc, s14, v2
	v_mov_b32_e32 v46, s6
	s_or_b64 s[12:13], vcc, s[12:13]
	v_mov_b32_e32 v45, s5
	v_mov_b32_e32 v44, s4
	s_andn2_b64 exec, exec, s[12:13]
	s_cbranch_execnz .LBB166_4
; %bb.5:
	s_or_b64 exec, exec, s[12:13]
	v_mov_b32_e32 v48, s7
.LBB166_6:
	s_or_b64 exec, exec, s[10:11]
.LBB166_7:
	s_or_b64 exec, exec, s[2:3]
	s_mul_i32 s43, s8, 3
	s_abs_i32 s2, s43
	v_cvt_f32_u32_e32 v2, s2
	s_sub_i32 s5, 0, s2
	s_abs_i32 s4, s23
	s_ashr_i32 s3, s23, 31
	v_rcp_iflag_f32_e32 v2, v2
	s_nop 0
	v_mul_f32_e32 v2, 0x4f7ffffe, v2
	v_cvt_u32_f32_e32 v2, v2
	s_nop 0
	v_readfirstlane_b32 s6, v2
	s_mul_i32 s5, s5, s6
	s_mul_hi_u32 s5, s6, s5
	s_add_i32 s6, s6, s5
	s_mul_hi_u32 s5, s4, s6
	s_mul_i32 s5, s5, s2
	s_sub_i32 s4, s4, s5
	s_sub_i32 s5, s4, s2
	s_cmp_ge_u32 s4, s2
	s_cselect_b32 s4, s5, s4
	s_sub_i32 s5, s4, s2
	s_cmp_ge_u32 s4, s2
	s_cselect_b32 s2, s5, s4
	s_xor_b32 s2, s2, s3
	s_sub_i32 s2, s2, s3
	s_add_i32 s3, s43, s23
	s_sub_i32 s3, s3, s2
	s_cmp_eq_u32 s2, 0
	s_cselect_b32 s33, s23, s3
	v_cmp_gt_u32_e32 vcc, s33, v48
	s_and_b64 exec, exec, vcc
	s_cbranch_execz .LBB166_58
; %bb.8:
	s_load_dwordx8 s[12:19], s[0:1], 0x18
	s_load_dword s38, s[0:1], 0x10
	s_min_u32 s39, s22, 0x8000
	s_cmp_lg_u32 s20, 0
	s_cselect_b64 s[2:3], -1, 0
	s_cmp_lg_u32 s22, 0
	s_waitcnt lgkmcnt(0)
	v_cvt_f32_u32_e32 v2, s38
	s_cselect_b64 s[4:5], -1, 0
	v_and_b32_e32 v0, 0x3ff, v0
	s_lshl_b32 s40, s8, 8
	v_rcp_iflag_f32_e32 v2, v2
	s_add_i32 s41, s20, -8
	s_add_i32 s42, s23, -1
	v_lshlrev_b32_e32 v47, 3, v0
	v_mul_f32_e32 v2, 0x4f7ffffe, v2
	v_cvt_u32_f32_e32 v2, v2
	v_cmp_eq_u32_e64 s[0:1], 31, v0
	s_cmp_lg_u64 s[16:17], 0
	v_lshlrev_b32_e32 v0, 4, v0
	s_mul_i32 s43, s43, s9
	s_cselect_b64 s[6:7], -1, 0
	s_sub_i32 s9, 0, s38
	v_lshl_add_u32 v59, v1, 9, v0
	v_cndmask_b32_e64 v0, 0, 1, s[2:3]
	s_add_i32 s44, s23, -3
	v_mul_lo_u32 v3, s9, v2
	v_cmp_ne_u32_e64 s[2:3], 1, v0
	v_cndmask_b32_e64 v0, 0, 1, s[4:5]
	v_mul_hi_u32 v3, v2, v3
	s_add_u32 s26, s18, 2
	v_cmp_ne_u32_e64 s[4:5], 1, v0
	v_cndmask_b32_e64 v0, 0, 1, s[6:7]
	s_mov_b64 s[24:25], 0
	v_add_u32_e32 v58, v2, v3
	v_mov_b32_e32 v51, 0
	s_addc_u32 s27, s19, 0
	s_lshl_b32 s45, s8, 9
	v_lshl_add_u32 v60, v1, 8, v47
	v_cmp_ne_u32_e64 s[6:7], 1, v0
	s_mov_b32 s46, 0x7f800000
	s_movk_i32 s47, 0x7fff
	s_branch .LBB166_12
.LBB166_9:                              ;   in Loop: Header=BB166_12 Depth=1
	s_or_b64 exec, exec, s[30:31]
	v_mov_b32_e32 v48, s44
.LBB166_10:                             ;   in Loop: Header=BB166_12 Depth=1
	s_or_b64 exec, exec, s[28:29]
.LBB166_11:                             ;   in Loop: Header=BB166_12 Depth=1
	s_or_b64 exec, exec, s[10:11]
	v_cmp_le_u32_e32 vcc, s33, v48
	s_or_b64 s[24:25], vcc, s[24:25]
	s_andn2_b64 exec, exec, s[24:25]
	s_cbranch_execz .LBB166_58
.LBB166_12:                             ; =>This Loop Header: Depth=1
                                        ;     Child Loop BB166_17 Depth 2
                                        ;       Child Loop BB166_22 Depth 3
                                        ;     Child Loop BB166_56 Depth 2
	s_and_b64 vcc, exec, s[2:3]
	v_mov_b32_e32 v3, v51
	v_mov_b32_e32 v2, v51
	;; [unrolled: 1-line block ×4, first 2 shown]
	s_waitcnt vmcnt(1)
	v_mov_b32_e32 v7, v51
	v_mov_b32_e32 v6, v51
	;; [unrolled: 1-line block ×3, first 2 shown]
	s_waitcnt vmcnt(0)
	v_mov_b32_e32 v4, v51
	v_mov_b32_e32 v11, v51
	;; [unrolled: 1-line block ×5, first 2 shown]
	s_cbranch_vccnz .LBB166_29
; %bb.13:                               ;   in Loop: Header=BB166_12 Depth=1
	v_min_u32_e32 v0, s42, v48
	v_mul_lo_u32 v50, v0, s21
	v_add_u32_e32 v0, 1, v48
	v_add_u32_e32 v2, 2, v48
	v_min_u32_e32 v0, s42, v0
	v_min_u32_e32 v2, s42, v2
	v_mul_lo_u32 v0, v0, s21
	v_mov_b32_e32 v1, v51
	v_mul_lo_u32 v2, v2, s21
	v_mov_b32_e32 v3, v51
	v_mov_b32_e32 v8, 0
	v_cmp_gt_u32_e64 s[8:9], s23, v48
	s_mov_b32 s34, 0
	v_lshlrev_b64 v[52:53], 1, v[50:51]
	v_lshlrev_b64 v[54:55], 1, v[0:1]
	;; [unrolled: 1-line block ×3, first 2 shown]
	s_mov_b32 s35, 0
	v_mov_b32_e32 v9, v8
	v_mov_b32_e32 v10, v8
	;; [unrolled: 1-line block ×11, first 2 shown]
	s_branch .LBB166_17
.LBB166_14:                             ;   in Loop: Header=BB166_17 Depth=2
	s_or_b64 exec, exec, s[30:31]
.LBB166_15:                             ;   in Loop: Header=BB166_17 Depth=2
	s_or_b64 exec, exec, s[28:29]
	s_waitcnt vmcnt(5) lgkmcnt(0)
	v_mfma_f32_4x4x4_16b_bf16 v[8:11], v[40:41], v[36:37], v[8:11]
	s_waitcnt vmcnt(4)
	v_mfma_f32_4x4x4_16b_bf16 v[4:7], v[40:41], v[28:29], v[4:7]
	s_waitcnt vmcnt(3)
	v_mfma_f32_4x4x4_16b_bf16 v[0:3], v[40:41], v[32:33], v[0:3]
	v_mfma_f32_4x4x4_16b_bf16 v[8:11], v[42:43], v[38:39], v[8:11]
	;; [unrolled: 1-line block ×4, first 2 shown]
	s_waitcnt vmcnt(2)
	v_mfma_f32_4x4x4_16b_bf16 v[8:11], v[24:25], v[20:21], v[8:11]
	s_waitcnt vmcnt(1)
	v_mfma_f32_4x4x4_16b_bf16 v[4:7], v[24:25], v[16:17], v[4:7]
	;; [unrolled: 2-line block ×3, first 2 shown]
	v_mfma_f32_4x4x4_16b_bf16 v[8:11], v[26:27], v[22:23], v[8:11]
	v_mfma_f32_4x4x4_16b_bf16 v[4:7], v[26:27], v[18:19], v[4:7]
	;; [unrolled: 1-line block ×3, first 2 shown]
.LBB166_16:                             ;   in Loop: Header=BB166_17 Depth=2
	s_or_b64 exec, exec, s[10:11]
	s_addk_i32 s35, 0x200
	s_cmp_ge_u32 s35, s20
	s_cbranch_scc1 .LBB166_29
.LBB166_17:                             ;   Parent Loop BB166_12 Depth=1
                                        ; =>  This Loop Header: Depth=2
                                        ;       Child Loop BB166_22 Depth 3
	s_cmp_eq_u32 s35, 0
	s_cselect_b64 s[10:11], -1, 0
	s_add_i32 s28, s34, s39
	s_cmp_eq_u32 s35, s28
	s_cselect_b64 s[30:31], -1, 0
	s_or_b64 s[30:31], s[10:11], s[30:31]
	s_andn2_b64 vcc, exec, s[30:31]
	s_cbranch_vccz .LBB166_19
; %bb.18:                               ;   in Loop: Header=BB166_17 Depth=2
	s_and_saveexec_b64 s[10:11], s[8:9]
	s_cbranch_execz .LBB166_16
	s_branch .LBB166_26
.LBB166_19:                             ;   in Loop: Header=BB166_17 Depth=2
	s_and_b64 s[10:11], s[10:11], exec
	s_cselect_b32 s34, s34, s28
	s_and_b64 vcc, exec, s[4:5]
	s_barrier
	s_cbranch_vccnz .LBB166_25
; %bb.20:                               ;   in Loop: Header=BB166_17 Depth=2
	v_add_u32_e32 v12, s34, v60
	s_mov_b32 s36, 0
	s_mov_b64 s[28:29], 0
	v_mov_b32_e32 v13, v59
                                        ; implicit-def: $sgpr30_sgpr31
	s_branch .LBB166_22
.LBB166_21:                             ;   in Loop: Header=BB166_22 Depth=3
	s_or_b64 exec, exec, s[10:11]
	s_and_b64 s[10:11], exec, s[30:31]
	s_or_b64 s[28:29], s[10:11], s[28:29]
	s_andn2_b64 exec, exec, s[28:29]
	s_cbranch_execz .LBB166_24
.LBB166_22:                             ;   Parent Loop BB166_12 Depth=1
                                        ;     Parent Loop BB166_17 Depth=2
                                        ; =>    This Inner Loop Header: Depth=3
	v_add_u32_e32 v14, s36, v60
	v_add_u32_e32 v50, s36, v12
	v_cmp_gt_u32_e32 vcc, s22, v50
	v_cmp_gt_u32_e64 s[10:11], s39, v14
	s_and_b64 s[48:49], s[10:11], vcc
	s_or_b64 s[30:31], s[30:31], exec
	s_and_saveexec_b64 s[10:11], s[48:49]
	s_cbranch_execz .LBB166_21
; %bb.23:                               ;   in Loop: Header=BB166_22 Depth=3
	v_lshl_add_u64 v[14:15], v[50:51], 1, s[14:15]
	global_load_dwordx4 v[14:17], v[14:15], off
	s_add_i32 s36, s36, s40
	s_cmp_ge_u32 s36, s39
	s_cselect_b64 s[48:49], -1, 0
	s_andn2_b64 s[30:31], s[30:31], exec
	s_and_b64 s[48:49], s[48:49], exec
	s_or_b64 s[30:31], s[30:31], s[48:49]
	s_waitcnt vmcnt(0)
	ds_write_b128 v13, v[14:17]
	v_add_u32_e32 v13, s45, v13
	s_branch .LBB166_21
.LBB166_24:                             ;   in Loop: Header=BB166_17 Depth=2
	s_or_b64 exec, exec, s[28:29]
.LBB166_25:                             ;   in Loop: Header=BB166_17 Depth=2
	s_waitcnt lgkmcnt(0)
	s_barrier
	s_and_saveexec_b64 s[10:11], s[8:9]
	s_cbranch_execz .LBB166_16
.LBB166_26:                             ;   in Loop: Header=BB166_17 Depth=2
	v_add_u32_e32 v49, s35, v47
	v_min_u32_e32 v50, s41, v49
	v_lshl_add_u64 v[12:13], v[50:51], 1, s[12:13]
	v_add_u32_e32 v61, 0x100, v49
	v_lshl_add_u64 v[14:15], v[12:13], 0, v[52:53]
	v_min_u32_e32 v50, s41, v61
	v_lshl_add_u64 v[16:17], v[12:13], 0, v[54:55]
	global_load_dwordx4 v[36:39], v[14:15], off nt
	global_load_dwordx4 v[28:31], v[16:17], off nt
	v_lshl_add_u64 v[14:15], v[50:51], 1, s[12:13]
	v_lshl_add_u64 v[12:13], v[12:13], 0, v[56:57]
	;; [unrolled: 1-line block ×4, first 2 shown]
	global_load_dwordx4 v[32:35], v[12:13], off nt
	global_load_dwordx4 v[20:23], v[16:17], off nt
	v_lshl_add_u64 v[26:27], v[14:15], 0, v[56:57]
	global_load_dwordx4 v[16:19], v[24:25], off nt
	global_load_dwordx4 v[12:15], v[26:27], off nt
	v_cmp_gt_u32_e32 vcc, s20, v49
	v_mov_b32_e32 v40, 0
	v_mov_b32_e32 v41, 0
	;; [unrolled: 1-line block ×8, first 2 shown]
	s_and_saveexec_b64 s[28:29], vcc
	s_cbranch_execz .LBB166_15
; %bb.27:                               ;   in Loop: Header=BB166_17 Depth=2
	v_subrev_u32_e32 v24, s34, v49
	v_lshlrev_b32_e32 v49, 1, v24
	ds_read_b128 v[40:43], v49
	v_cmp_gt_u32_e32 vcc, s20, v61
	v_mov_b32_e32 v27, 0
	v_mov_b32_e32 v26, 0
	;; [unrolled: 1-line block ×4, first 2 shown]
	s_and_saveexec_b64 s[30:31], vcc
	s_cbranch_execz .LBB166_14
; %bb.28:                               ;   in Loop: Header=BB166_17 Depth=2
	ds_read_b128 v[24:27], v49 offset:512
	s_branch .LBB166_14
.LBB166_29:                             ;   in Loop: Header=BB166_12 Depth=1
	v_cmp_le_u32_e32 vcc, s23, v48
	s_and_saveexec_b64 s[8:9], vcc
	s_xor_b64 s[8:9], exec, s[8:9]
; %bb.30:                               ;   in Loop: Header=BB166_12 Depth=1
	v_add_u32_e32 v48, s43, v48
                                        ; implicit-def: $vgpr3
                                        ; implicit-def: $vgpr7
                                        ; implicit-def: $vgpr11
; %bb.31:                               ;   in Loop: Header=BB166_12 Depth=1
	s_andn2_saveexec_b64 s[10:11], s[8:9]
	s_cbranch_execz .LBB166_11
; %bb.32:                               ;   in Loop: Header=BB166_12 Depth=1
	v_cvt_i32_f32_e32 v9, v9
	v_cvt_i32_f32_e32 v10, v10
	;; [unrolled: 1-line block ×4, first 2 shown]
	v_cvt_f32_i32_dpp v9, v9 row_shl:1 row_mask:0xf bank_mask:0xf bound_ctrl:1
	v_cvt_i32_f32_e32 v1, v1
	v_cvt_f32_i32_dpp v10, v10 row_shl:2 row_mask:0xf bank_mask:0xf bound_ctrl:1
	v_cvt_i32_f32_e32 v6, v6
	v_cvt_i32_f32_e32 v2, v2
	v_cvt_f32_i32_dpp v11, v11 row_shl:3 row_mask:0xf bank_mask:0xf bound_ctrl:1
	v_cvt_i32_f32_e32 v7, v7
	v_cvt_i32_f32_e32 v3, v3
	v_add_f32_e32 v8, v8, v9
	v_cvt_f32_i32_dpp v5, v5 row_shl:1 row_mask:0xf bank_mask:0xf bound_ctrl:1
	v_cvt_f32_i32_dpp v1, v1 row_shl:1 row_mask:0xf bank_mask:0xf bound_ctrl:1
	v_add_f32_e32 v8, v8, v10
	v_cvt_f32_i32_dpp v6, v6 row_shl:2 row_mask:0xf bank_mask:0xf bound_ctrl:1
	v_cvt_f32_i32_dpp v2, v2 row_shl:2 row_mask:0xf bank_mask:0xf bound_ctrl:1
	;; [unrolled: 3-line block ×3, first 2 shown]
	v_cvt_i32_f32_e32 v9, v8
	v_add_f32_e32 v4, v4, v5
	v_add_f32_e32 v0, v0, v1
	;; [unrolled: 1-line block ×6, first 2 shown]
	v_cvt_f32_i32_dpp v9, v9 row_shl:4 row_mask:0xf bank_mask:0xf bound_ctrl:1
	v_cvt_i32_f32_e32 v7, v4
	v_cvt_i32_f32_e32 v1, v0
	v_add_f32_e32 v5, v8, v9
	v_cvt_f32_i32_dpp v3, v7 row_shl:4 row_mask:0xf bank_mask:0xf bound_ctrl:1
	v_cvt_f32_i32_dpp v1, v1 row_shl:4 row_mask:0xf bank_mask:0xf bound_ctrl:1
	v_cvt_i32_f32_e32 v6, v5
	v_add_f32_e32 v3, v4, v3
	v_add_f32_e32 v0, v0, v1
	v_cvt_f32_i32_dpp v2, v6 row_shl:8 row_mask:0xf bank_mask:0xf bound_ctrl:1
	v_cvt_i32_f32_e32 v4, v3
	v_cvt_i32_f32_e32 v1, v0
	v_add_f32_e32 v2, v5, v2
	v_cvt_f32_i32_dpp v4, v4 row_shl:8 row_mask:0xf bank_mask:0xf bound_ctrl:1
	v_cvt_f32_i32_dpp v1, v1 row_shl:8 row_mask:0xf bank_mask:0xf bound_ctrl:1
	v_cvt_i32_f32_e32 v2, v2
	v_add_f32_e32 v3, v3, v4
	v_add_f32_e32 v0, v0, v1
	v_cvt_f32_i32_dpp v2, v2 row_shr:15 row_mask:0xf bank_mask:0xf bound_ctrl:1
	v_cvt_i32_f32_e32 v3, v3
	v_cvt_i32_f32_e32 v0, v0
	s_nop 0
	v_cvt_f32_i32_dpp v1, v3 row_shr:15 row_mask:0xf bank_mask:0xf bound_ctrl:1
	v_cvt_i32_f32_e32 v3, v2
	v_cvt_f32_i32_dpp v0, v0 row_shr:15 row_mask:0xf bank_mask:0xf bound_ctrl:1
	v_cvt_i32_f32_e32 v4, v1
	v_cvt_f32_i32_dpp v3, v3 row_bcast:15 row_mask:0xf bank_mask:0xf bound_ctrl:1
	v_cvt_i32_f32_e32 v6, v0
	v_cvt_f32_i32_dpp v4, v4 row_bcast:15 row_mask:0xf bank_mask:0xf bound_ctrl:1
	v_add_f32_e32 v5, v2, v3
	v_cvt_f32_i32_dpp v3, v6 row_bcast:15 row_mask:0xf bank_mask:0xf bound_ctrl:1
	v_cvt_i32_f32_e32 v6, v5
	v_add_f32_e32 v2, v1, v4
	v_cvt_i32_f32_e32 v1, v2
	v_add_f32_e32 v0, v0, v3
	v_cvt_i32_f32_e32 v4, v0
	v_mov_b32_dpp v6, v6 row_bcast:31 row_mask:0xf bank_mask:0xf bound_ctrl:1
	v_mov_b32_dpp v3, v1 row_bcast:31 row_mask:0xf bank_mask:0xf bound_ctrl:1
	;; [unrolled: 1-line block ×3, first 2 shown]
	s_and_saveexec_b64 s[8:9], s[0:1]
	s_cbranch_execz .LBB166_53
; %bb.33:                               ;   in Loop: Header=BB166_12 Depth=1
	s_and_b64 vcc, exec, s[6:7]
	v_mov_b32_e32 v8, 0
	v_add_u32_e32 v50, 2, v48
	v_mov_b32_e32 v7, 0
	v_mov_b32_e32 v4, 0
	s_cbranch_vccnz .LBB166_35
; %bb.34:                               ;   in Loop: Header=BB166_12 Depth=1
	v_mul_hi_u32 v4, v48, v58
	v_mul_lo_u32 v4, v4, s38
	v_sub_u32_e32 v4, v48, v4
	v_subrev_u32_e32 v7, s38, v4
	v_cmp_le_u32_e32 vcc, s38, v4
	v_mov_b32_e32 v9, v51
	s_nop 0
	v_cndmask_b32_e32 v4, v4, v7, vcc
	v_subrev_u32_e32 v7, s38, v4
	v_cmp_le_u32_e32 vcc, s38, v4
	s_nop 1
	v_cndmask_b32_e32 v8, v4, v7, vcc
	v_add_u32_e32 v4, 1, v48
	v_mul_hi_u32 v7, v4, v58
	v_mul_lo_u32 v7, v7, s38
	v_sub_u32_e32 v4, v4, v7
	v_subrev_u32_e32 v7, s38, v4
	v_cmp_le_u32_e32 vcc, s38, v4
	v_lshl_add_u64 v[10:11], v[8:9], 1, s[16:17]
	s_nop 0
	v_cndmask_b32_e32 v4, v4, v7, vcc
	v_subrev_u32_e32 v7, s38, v4
	v_cmp_le_u32_e32 vcc, s38, v4
	s_nop 1
	v_cndmask_b32_e32 v8, v4, v7, vcc
	v_mul_hi_u32 v4, v50, v58
	v_mul_lo_u32 v4, v4, s38
	v_sub_u32_e32 v4, v50, v4
	v_subrev_u32_e32 v7, s38, v4
	v_cmp_le_u32_e32 vcc, s38, v4
	v_lshl_add_u64 v[12:13], v[8:9], 1, s[16:17]
	s_nop 0
	v_cndmask_b32_e32 v4, v4, v7, vcc
	v_subrev_u32_e32 v7, s38, v4
	v_cmp_le_u32_e32 vcc, s38, v4
	s_nop 1
	v_cndmask_b32_e32 v8, v4, v7, vcc
	v_lshl_add_u64 v[14:15], v[8:9], 1, s[16:17]
	global_load_ushort v8, v[10:11], off
	global_load_ushort v7, v[12:13], off
	;; [unrolled: 1-line block ×3, first 2 shown]
.LBB166_35:                             ;   in Loop: Header=BB166_12 Depth=1
	v_cmp_ne_u32_e32 vcc, 0, v44
	s_and_saveexec_b64 s[28:29], vcc
	s_cbranch_execnz .LBB166_38
; %bb.36:                               ;   in Loop: Header=BB166_12 Depth=1
	s_or_b64 exec, exec, s[28:29]
	v_cmp_ne_u32_e32 vcc, 0, v45
	s_and_saveexec_b64 s[28:29], vcc
	s_cbranch_execnz .LBB166_43
.LBB166_37:                             ;   in Loop: Header=BB166_12 Depth=1
	s_or_b64 exec, exec, s[28:29]
	v_cmp_ne_u32_e32 vcc, 0, v46
	s_and_b64 exec, exec, vcc
	s_cbranch_execnz .LBB166_48
	s_branch .LBB166_53
.LBB166_38:                             ;   in Loop: Header=BB166_12 Depth=1
	v_cvt_f32_i32_e32 v6, v6
	v_add_f32_e32 v5, v5, v6
	s_waitcnt vmcnt(2)
	v_lshlrev_b32_e32 v6, 16, v8
	v_add_f32_e32 v6, v5, v6
	v_and_b32_e32 v5, 0x7f800000, v6
	v_cmp_ne_u32_e32 vcc, s46, v5
                                        ; implicit-def: $vgpr5
	s_and_saveexec_b64 s[30:31], vcc
	s_xor_b64 s[30:31], exec, s[30:31]
; %bb.39:                               ;   in Loop: Header=BB166_12 Depth=1
	v_bfe_u32 v5, v6, 16, 1
	v_add3_u32 v5, v6, v5, s47
                                        ; implicit-def: $vgpr6
; %bb.40:                               ;   in Loop: Header=BB166_12 Depth=1
	s_andn2_saveexec_b64 s[30:31], s[30:31]
; %bb.41:                               ;   in Loop: Header=BB166_12 Depth=1
	v_or_b32_e32 v5, 0x10000, v6
	v_cmp_eq_u32_sdwa vcc, v6, v51 src0_sel:WORD_0 src1_sel:DWORD
	s_nop 1
	v_cndmask_b32_e32 v5, v5, v6, vcc
; %bb.42:                               ;   in Loop: Header=BB166_12 Depth=1
	s_or_b64 exec, exec, s[30:31]
	v_mov_b32_e32 v49, v51
	v_lshl_add_u64 v[8:9], v[48:49], 1, s[18:19]
	global_store_short_d16_hi v[8:9], v5, off
	s_or_b64 exec, exec, s[28:29]
	v_cmp_ne_u32_e32 vcc, 0, v45
	s_and_saveexec_b64 s[28:29], vcc
	s_cbranch_execz .LBB166_37
.LBB166_43:                             ;   in Loop: Header=BB166_12 Depth=1
	v_cvt_f32_i32_e32 v3, v3
	v_add_f32_e32 v2, v2, v3
	s_waitcnt vmcnt(1)
	v_lshlrev_b32_e32 v3, 16, v7
	v_add_f32_e32 v3, v2, v3
	v_and_b32_e32 v2, 0x7f800000, v3
	v_cmp_ne_u32_e32 vcc, s46, v2
                                        ; implicit-def: $vgpr2
	s_and_saveexec_b64 s[30:31], vcc
	s_xor_b64 s[30:31], exec, s[30:31]
; %bb.44:                               ;   in Loop: Header=BB166_12 Depth=1
	v_bfe_u32 v2, v3, 16, 1
	v_add3_u32 v2, v3, v2, s47
                                        ; implicit-def: $vgpr3
; %bb.45:                               ;   in Loop: Header=BB166_12 Depth=1
	s_andn2_saveexec_b64 s[30:31], s[30:31]
; %bb.46:                               ;   in Loop: Header=BB166_12 Depth=1
	v_or_b32_e32 v2, 0x10000, v3
	v_cmp_eq_u32_sdwa vcc, v3, v51 src0_sel:WORD_0 src1_sel:DWORD
	s_nop 1
	v_cndmask_b32_e32 v2, v2, v3, vcc
; %bb.47:                               ;   in Loop: Header=BB166_12 Depth=1
	s_or_b64 exec, exec, s[30:31]
	v_mov_b32_e32 v49, v51
	v_lshl_add_u64 v[6:7], v[48:49], 1, s[26:27]
	global_store_short_d16_hi v[6:7], v2, off
	s_or_b64 exec, exec, s[28:29]
	v_cmp_ne_u32_e32 vcc, 0, v46
	s_and_b64 exec, exec, vcc
	s_cbranch_execz .LBB166_53
.LBB166_48:                             ;   in Loop: Header=BB166_12 Depth=1
	v_cvt_f32_i32_e32 v1, v1
	v_add_f32_e32 v0, v0, v1
	s_waitcnt vmcnt(0)
	v_lshlrev_b32_e32 v1, 16, v4
	v_add_f32_e32 v1, v0, v1
	v_and_b32_e32 v0, 0x7f800000, v1
	v_cmp_ne_u32_e32 vcc, s46, v0
                                        ; implicit-def: $vgpr0
	s_and_saveexec_b64 s[28:29], vcc
	s_xor_b64 s[28:29], exec, s[28:29]
; %bb.49:                               ;   in Loop: Header=BB166_12 Depth=1
	v_bfe_u32 v0, v1, 16, 1
	v_add3_u32 v0, v1, v0, s47
                                        ; implicit-def: $vgpr1
; %bb.50:                               ;   in Loop: Header=BB166_12 Depth=1
	s_andn2_saveexec_b64 s[28:29], s[28:29]
; %bb.51:                               ;   in Loop: Header=BB166_12 Depth=1
	v_or_b32_e32 v0, 0x10000, v1
	v_cmp_eq_u32_sdwa vcc, v1, v51 src0_sel:WORD_0 src1_sel:DWORD
	s_nop 1
	v_cndmask_b32_e32 v0, v0, v1, vcc
; %bb.52:                               ;   in Loop: Header=BB166_12 Depth=1
	s_or_b64 exec, exec, s[28:29]
	v_lshl_add_u64 v[2:3], v[50:51], 1, s[18:19]
	global_store_short_d16_hi v[2:3], v0, off
.LBB166_53:                             ;   in Loop: Header=BB166_12 Depth=1
	s_or_b64 exec, exec, s[8:9]
	v_add_u32_e32 v48, s43, v48
	v_add_u32_e32 v0, 3, v48
	v_cmp_gt_u32_e32 vcc, s23, v48
	v_cmp_le_u32_e64 s[8:9], s23, v0
	s_and_b64 s[8:9], vcc, s[8:9]
	s_and_saveexec_b64 s[28:29], s[8:9]
	s_cbranch_execz .LBB166_10
; %bb.54:                               ;   in Loop: Header=BB166_12 Depth=1
	v_cmp_ne_u32_e32 vcc, s44, v48
	s_and_saveexec_b64 s[30:31], vcc
	s_cbranch_execz .LBB166_9
; %bb.55:                               ;   in Loop: Header=BB166_12 Depth=1
	v_subrev_u32_e32 v0, s44, v48
	v_cmp_lt_u32_e32 vcc, 1, v0
	s_mov_b64 s[34:35], 0
	s_mov_b64 s[36:37], 0
	v_cndmask_b32_e32 v0, 1, v0, vcc
.LBB166_56:                             ;   Parent Loop BB166_12 Depth=1
                                        ; =>  This Inner Loop Header: Depth=2
	s_cmp_lg_u32 s36, 2
	s_cselect_b64 vcc, -1, 0
	s_cmp_lg_u32 s36, 1
	v_cndmask_b32_e32 v46, 0, v46, vcc
	s_cselect_b64 vcc, -1, 0
	s_cmp_lg_u32 s36, 0
	v_cndmask_b32_e32 v45, 0, v45, vcc
	s_cselect_b64 vcc, -1, 0
	s_add_u32 s36, s36, 1
	s_addc_u32 s37, s37, 0
	v_cmp_eq_u32_e64 s[8:9], s36, v0
	s_or_b64 s[34:35], s[8:9], s[34:35]
	v_cndmask_b32_e32 v44, 0, v44, vcc
	s_andn2_b64 exec, exec, s[34:35]
	s_cbranch_execnz .LBB166_56
; %bb.57:                               ;   in Loop: Header=BB166_12 Depth=1
	s_or_b64 exec, exec, s[34:35]
	s_branch .LBB166_9
.LBB166_58:
	s_endpgm
	.section	.rodata,"a",@progbits
	.p2align	6, 0x0
	.amdhsa_kernel _Z16wvSplitK_hf_big_I14__hip_bfloat16Li32ELi3ELi16ELi8ELi2ELi1EEviiiiiiPKT_S3_S3_PS1_ii
		.amdhsa_group_segment_fixed_size 65536
		.amdhsa_private_segment_fixed_size 0
		.amdhsa_kernarg_size 64
		.amdhsa_user_sgpr_count 2
		.amdhsa_user_sgpr_dispatch_ptr 0
		.amdhsa_user_sgpr_queue_ptr 0
		.amdhsa_user_sgpr_kernarg_segment_ptr 1
		.amdhsa_user_sgpr_dispatch_id 0
		.amdhsa_user_sgpr_kernarg_preload_length 0
		.amdhsa_user_sgpr_kernarg_preload_offset 0
		.amdhsa_user_sgpr_private_segment_size 0
		.amdhsa_uses_dynamic_stack 0
		.amdhsa_enable_private_segment 0
		.amdhsa_system_sgpr_workgroup_id_x 1
		.amdhsa_system_sgpr_workgroup_id_y 0
		.amdhsa_system_sgpr_workgroup_id_z 0
		.amdhsa_system_sgpr_workgroup_info 0
		.amdhsa_system_vgpr_workitem_id 1
		.amdhsa_next_free_vgpr 62
		.amdhsa_next_free_sgpr 50
		.amdhsa_accum_offset 64
		.amdhsa_reserve_vcc 1
		.amdhsa_float_round_mode_32 0
		.amdhsa_float_round_mode_16_64 0
		.amdhsa_float_denorm_mode_32 3
		.amdhsa_float_denorm_mode_16_64 3
		.amdhsa_dx10_clamp 1
		.amdhsa_ieee_mode 1
		.amdhsa_fp16_overflow 0
		.amdhsa_tg_split 0
		.amdhsa_exception_fp_ieee_invalid_op 0
		.amdhsa_exception_fp_denorm_src 0
		.amdhsa_exception_fp_ieee_div_zero 0
		.amdhsa_exception_fp_ieee_overflow 0
		.amdhsa_exception_fp_ieee_underflow 0
		.amdhsa_exception_fp_ieee_inexact 0
		.amdhsa_exception_int_div_zero 0
	.end_amdhsa_kernel
	.section	.text._Z16wvSplitK_hf_big_I14__hip_bfloat16Li32ELi3ELi16ELi8ELi2ELi1EEviiiiiiPKT_S3_S3_PS1_ii,"axG",@progbits,_Z16wvSplitK_hf_big_I14__hip_bfloat16Li32ELi3ELi16ELi8ELi2ELi1EEviiiiiiPKT_S3_S3_PS1_ii,comdat
.Lfunc_end166:
	.size	_Z16wvSplitK_hf_big_I14__hip_bfloat16Li32ELi3ELi16ELi8ELi2ELi1EEviiiiiiPKT_S3_S3_PS1_ii, .Lfunc_end166-_Z16wvSplitK_hf_big_I14__hip_bfloat16Li32ELi3ELi16ELi8ELi2ELi1EEviiiiiiPKT_S3_S3_PS1_ii
                                        ; -- End function
	.section	.AMDGPU.csdata,"",@progbits
; Kernel info:
; codeLenInByte = 2632
; NumSgprs: 56
; NumVgprs: 62
; NumAgprs: 0
; TotalNumVgprs: 62
; ScratchSize: 0
; MemoryBound: 0
; FloatMode: 240
; IeeeMode: 1
; LDSByteSize: 65536 bytes/workgroup (compile time only)
; SGPRBlocks: 6
; VGPRBlocks: 7
; NumSGPRsForWavesPerEU: 56
; NumVGPRsForWavesPerEU: 62
; AccumOffset: 64
; Occupancy: 2
; WaveLimiterHint : 0
; COMPUTE_PGM_RSRC2:SCRATCH_EN: 0
; COMPUTE_PGM_RSRC2:USER_SGPR: 2
; COMPUTE_PGM_RSRC2:TRAP_HANDLER: 0
; COMPUTE_PGM_RSRC2:TGID_X_EN: 1
; COMPUTE_PGM_RSRC2:TGID_Y_EN: 0
; COMPUTE_PGM_RSRC2:TGID_Z_EN: 0
; COMPUTE_PGM_RSRC2:TIDIG_COMP_CNT: 1
; COMPUTE_PGM_RSRC3_GFX90A:ACCUM_OFFSET: 15
; COMPUTE_PGM_RSRC3_GFX90A:TG_SPLIT: 0
	.section	.text._Z16wvSplitK_hf_sml_I14__hip_bfloat16Li32ELi4ELi16ELi8ELi1ELi1EEviiiiiiPKT_S3_S3_PS1_ii,"axG",@progbits,_Z16wvSplitK_hf_sml_I14__hip_bfloat16Li32ELi4ELi16ELi8ELi1ELi1EEviiiiiiPKT_S3_S3_PS1_ii,comdat
	.protected	_Z16wvSplitK_hf_sml_I14__hip_bfloat16Li32ELi4ELi16ELi8ELi1ELi1EEviiiiiiPKT_S3_S3_PS1_ii ; -- Begin function _Z16wvSplitK_hf_sml_I14__hip_bfloat16Li32ELi4ELi16ELi8ELi1ELi1EEviiiiiiPKT_S3_S3_PS1_ii
	.globl	_Z16wvSplitK_hf_sml_I14__hip_bfloat16Li32ELi4ELi16ELi8ELi1ELi1EEviiiiiiPKT_S3_S3_PS1_ii
	.p2align	8
	.type	_Z16wvSplitK_hf_sml_I14__hip_bfloat16Li32ELi4ELi16ELi8ELi1ELi1EEviiiiiiPKT_S3_S3_PS1_ii,@function
_Z16wvSplitK_hf_sml_I14__hip_bfloat16Li32ELi4ELi16ELi8ELi1ELi1EEviiiiiiPKT_S3_S3_PS1_ii: ; @_Z16wvSplitK_hf_sml_I14__hip_bfloat16Li32ELi4ELi16ELi8ELi1ELi1EEviiiiiiPKT_S3_S3_PS1_ii
; %bb.0:
	s_load_dwordx4 s[8:11], s[0:1], 0x0
	v_and_b32_e32 v4, 0x3ff, v0
	v_bfe_u32 v5, v0, 10, 10
	v_lshlrev_b32_e32 v48, 3, v4
	v_lshl_add_u32 v6, v5, 8, v48
	s_waitcnt lgkmcnt(0)
	s_min_u32 s3, s10, 0x8000
	v_cmp_gt_u32_e32 vcc, s3, v6
	s_and_saveexec_b64 s[4:5], vcc
	s_cbranch_execz .LBB167_9
; %bb.1:
	s_load_dwordx2 s[6:7], s[0:1], 0x20
	v_lshlrev_b32_e32 v0, 1, v6
	v_add_u32_e32 v1, 0x1000, v6
	v_cmp_gt_u32_e32 vcc, s3, v1
	s_waitcnt lgkmcnt(0)
	global_load_dwordx4 v[8:11], v0, s[6:7]
	s_waitcnt vmcnt(0)
	ds_write_b128 v0, v[8:11]
	s_and_saveexec_b64 s[12:13], vcc
	s_xor_b64 s[12:13], exec, s[12:13]
	s_cbranch_execz .LBB167_9
; %bb.2:
	v_mov_b32_e32 v1, 0
	v_lshl_add_u64 v[2:3], s[6:7], 0, v[0:1]
	v_add_co_u32_e32 v8, vcc, 0x2000, v2
	v_add_u32_e32 v1, 0x2000, v6
	s_nop 0
	v_addc_co_u32_e32 v9, vcc, 0, v3, vcc
	global_load_dwordx4 v[8:11], v[8:9], off
	v_cmp_gt_u32_e32 vcc, s3, v1
	s_waitcnt vmcnt(0)
	ds_write_b128 v0, v[8:11] offset:8192
	s_and_saveexec_b64 s[6:7], vcc
	s_xor_b64 s[6:7], exec, s[6:7]
	s_cbranch_execz .LBB167_9
; %bb.3:
	v_add_co_u32_e32 v8, vcc, 0x4000, v2
	v_add_u32_e32 v1, 0x3000, v6
	s_nop 0
	v_addc_co_u32_e32 v9, vcc, 0, v3, vcc
	global_load_dwordx4 v[8:11], v[8:9], off
	v_cmp_gt_u32_e32 vcc, s3, v1
	s_waitcnt vmcnt(0)
	ds_write_b128 v0, v[8:11] offset:16384
	s_and_saveexec_b64 s[6:7], vcc
	s_xor_b64 s[6:7], exec, s[6:7]
	s_cbranch_execz .LBB167_9
; %bb.4:
	;; [unrolled: 12-line block ×6, first 2 shown]
	v_add_co_u32_e32 v2, vcc, 0xe000, v2
	s_nop 1
	v_addc_co_u32_e32 v3, vcc, 0, v3, vcc
	global_load_dwordx4 v[6:9], v[2:3], off
	s_waitcnt vmcnt(0)
	ds_write_b128 v0, v[6:9] offset:57344
.LBB167_9:
	s_or_b64 exec, exec, s[4:5]
	s_load_dwordx2 s[4:5], s[0:1], 0x38
	s_waitcnt lgkmcnt(0)
	s_barrier
	v_cmp_gt_u32_e32 vcc, s4, v5
	s_and_saveexec_b64 s[6:7], vcc
	s_cbranch_execz .LBB167_38
; %bb.10:
	s_load_dword s10, s[0:1], 0x10
	s_mul_i32 s2, s2, s4
	v_add_lshl_u32 v36, s2, v5, 2
	v_cmp_gt_u32_e32 vcc, s11, v36
	s_and_b64 exec, exec, vcc
	s_cbranch_execz .LBB167_38
; %bb.11:
	s_waitcnt lgkmcnt(0)
	v_cvt_f32_u32_e32 v0, s10
	s_load_dwordx4 s[12:15], s[0:1], 0x28
	s_load_dwordx2 s[6:7], s[0:1], 0x18
	s_cmp_lg_u32 s8, 0
	s_cselect_b64 s[2:3], -1, 0
	v_rcp_iflag_f32_e32 v0, v0
	s_add_i32 s22, s8, -8
	s_add_i32 s23, s11, -1
	s_mul_i32 s18, s4, s5
	v_mul_f32_e32 v0, 0x4f7ffffe, v0
	v_cvt_u32_f32_e32 v0, v0
	s_waitcnt lgkmcnt(0)
	s_cmp_lg_u64 s[12:13], 0
	s_cselect_b64 s[4:5], -1, 0
	s_lshl_b32 s24, s18, 2
	s_sub_i32 s18, 0, s10
	v_mul_lo_u32 v1, s18, v0
	v_mul_hi_u32 v1, v0, v1
	v_add_u32_e32 v49, v0, v1
	v_cndmask_b32_e64 v0, 0, 1, s[2:3]
	v_cmp_ne_u32_e64 s[2:3], 1, v0
	v_cndmask_b32_e64 v0, 0, 1, s[4:5]
	v_cmp_eq_u32_e64 s[0:1], 31, v4
	s_mov_b64 s[16:17], 0
	v_mov_b32_e32 v39, 0
	v_lshlrev_b32_e32 v50, 4, v4
	v_cmp_ne_u32_e64 s[4:5], 1, v0
	s_mov_b32 s25, 0x7f800000
	s_movk_i32 s26, 0x7fff
	s_branch .LBB167_14
.LBB167_12:                             ;   in Loop: Header=BB167_14 Depth=1
	s_or_b64 exec, exec, s[20:21]
	global_store_short_d16_hi v[0:1], v3, off offset:6
.LBB167_13:                             ;   in Loop: Header=BB167_14 Depth=1
	s_or_b64 exec, exec, s[18:19]
	v_add_u32_e32 v36, s24, v36
	v_cmp_le_u32_e32 vcc, s11, v36
	s_or_b64 s[16:17], vcc, s[16:17]
	s_andn2_b64 exec, exec, s[16:17]
	s_cbranch_execz .LBB167_38
.LBB167_14:                             ; =>This Loop Header: Depth=1
                                        ;     Child Loop BB167_17 Depth 2
	s_and_b64 vcc, exec, s[2:3]
	v_mov_b32_e32 v3, v39
	v_mov_b32_e32 v2, v39
	;; [unrolled: 1-line block ×16, first 2 shown]
	s_cbranch_vccnz .LBB167_19
; %bb.15:                               ;   in Loop: Header=BB167_14 Depth=1
	v_min_u32_e32 v0, s23, v36
	v_mul_lo_u32 v40, v0, s9
	v_or_b32_e32 v0, 1, v36
	v_min_u32_e32 v0, s23, v0
	v_mul_lo_u32 v42, v0, s9
	v_or_b32_e32 v0, 2, v36
	;; [unrolled: 3-line block ×3, first 2 shown]
	v_min_u32_e32 v0, s23, v0
	v_mov_b32_e32 v12, 0
	v_mov_b32_e32 v41, v39
	;; [unrolled: 1-line block ×4, first 2 shown]
	v_mul_lo_u32 v46, v0, s9
	v_mov_b32_e32 v47, v39
	s_mov_b32 s20, 0
	v_mov_b32_e32 v37, v50
	v_mov_b32_e32 v13, v12
	;; [unrolled: 1-line block ×16, first 2 shown]
	s_branch .LBB167_17
.LBB167_16:                             ;   in Loop: Header=BB167_17 Depth=2
	s_or_b64 exec, exec, s[18:19]
	s_waitcnt vmcnt(3) lgkmcnt(0)
	v_mfma_f32_4x4x4_16b_bf16 v[12:15], v[20:21], v[32:33], v[12:15]
	s_addk_i32 s20, 0x100
	s_waitcnt vmcnt(2)
	v_mfma_f32_4x4x4_16b_bf16 v[8:11], v[20:21], v[28:29], v[8:11]
	v_add_u32_e32 v37, 0x200, v37
	s_waitcnt vmcnt(1)
	v_mfma_f32_4x4x4_16b_bf16 v[4:7], v[20:21], v[24:25], v[4:7]
	s_cmp_ge_u32 s20, s8
	s_waitcnt vmcnt(0)
	v_mfma_f32_4x4x4_16b_bf16 v[0:3], v[20:21], v[16:17], v[0:3]
	v_mfma_f32_4x4x4_16b_bf16 v[12:15], v[22:23], v[34:35], v[12:15]
	;; [unrolled: 1-line block ×5, first 2 shown]
	s_cbranch_scc1 .LBB167_19
.LBB167_17:                             ;   Parent Loop BB167_14 Depth=1
                                        ; =>  This Inner Loop Header: Depth=2
	v_add_u32_e32 v51, s20, v48
	v_min_u32_e32 v38, s22, v51
	v_lshl_add_u64 v[16:17], v[38:39], 1, s[6:7]
	v_lshl_add_u64 v[18:19], v[40:41], 1, v[16:17]
	v_lshl_add_u64 v[20:21], v[42:43], 1, v[16:17]
	global_load_dwordx4 v[32:35], v[18:19], off nt
	global_load_dwordx4 v[28:31], v[20:21], off nt
	v_lshl_add_u64 v[20:21], v[44:45], 1, v[16:17]
	v_lshl_add_u64 v[22:23], v[46:47], 1, v[16:17]
	global_load_dwordx4 v[24:27], v[20:21], off nt
	global_load_dwordx4 v[16:19], v[22:23], off nt
	v_cmp_gt_u32_e32 vcc, s8, v51
	v_mov_b32_e32 v22, 0
	v_mov_b32_e32 v23, 0
	;; [unrolled: 1-line block ×4, first 2 shown]
	s_and_saveexec_b64 s[18:19], vcc
	s_cbranch_execz .LBB167_16
; %bb.18:                               ;   in Loop: Header=BB167_17 Depth=2
	ds_read_b128 v[20:23], v37
	s_branch .LBB167_16
.LBB167_19:                             ;   in Loop: Header=BB167_14 Depth=1
	; sched_barrier mask(0x00000000)
	s_nop 0
	v_cvt_i32_f32_e32 v13, v13
	v_cvt_i32_f32_e32 v14, v14
	v_cvt_i32_f32_e32 v15, v15
	v_cvt_i32_f32_e32 v9, v9
	v_cvt_f32_i32_dpp v13, v13 row_shl:1 row_mask:0xf bank_mask:0xf bound_ctrl:1
	v_cvt_f32_i32_dpp v14, v14 row_shl:2 row_mask:0xf bank_mask:0xf bound_ctrl:1
	v_cvt_i32_f32_e32 v10, v10
	v_cvt_f32_i32_dpp v15, v15 row_shl:3 row_mask:0xf bank_mask:0xf bound_ctrl:1
	v_cvt_i32_f32_e32 v11, v11
	v_cvt_i32_f32_e32 v5, v5
	v_add_f32_e32 v12, v12, v13
	v_cvt_f32_i32_dpp v9, v9 row_shl:1 row_mask:0xf bank_mask:0xf bound_ctrl:1
	v_cvt_i32_f32_e32 v1, v1
	v_add_f32_e32 v12, v12, v14
	v_cvt_f32_i32_dpp v10, v10 row_shl:2 row_mask:0xf bank_mask:0xf bound_ctrl:1
	v_cvt_i32_f32_e32 v6, v6
	v_cvt_i32_f32_e32 v2, v2
	v_add_f32_e32 v12, v12, v15
	v_cvt_f32_i32_dpp v11, v11 row_shl:3 row_mask:0xf bank_mask:0xf bound_ctrl:1
	v_cvt_f32_i32_dpp v5, v5 row_shl:1 row_mask:0xf bank_mask:0xf bound_ctrl:1
	v_cvt_i32_f32_e32 v7, v7
	v_cvt_i32_f32_e32 v3, v3
	v_cvt_i32_f32_e32 v13, v12
	v_add_f32_e32 v8, v8, v9
	v_cvt_f32_i32_dpp v1, v1 row_shl:1 row_mask:0xf bank_mask:0xf bound_ctrl:1
	v_add_f32_e32 v8, v8, v10
	v_cvt_f32_i32_dpp v6, v6 row_shl:2 row_mask:0xf bank_mask:0xf bound_ctrl:1
	v_cvt_f32_i32_dpp v2, v2 row_shl:2 row_mask:0xf bank_mask:0xf bound_ctrl:1
	v_add_f32_e32 v8, v8, v11
	v_add_f32_e32 v4, v4, v5
	v_cvt_f32_i32_dpp v5, v7 row_shl:3 row_mask:0xf bank_mask:0xf bound_ctrl:1
	v_cvt_f32_i32_dpp v3, v3 row_shl:3 row_mask:0xf bank_mask:0xf bound_ctrl:1
	;; [unrolled: 1-line block ×3, first 2 shown]
	v_cvt_i32_f32_e32 v10, v8
	v_add_f32_e32 v0, v0, v1
	v_add_f32_e32 v4, v4, v6
	;; [unrolled: 1-line block ×6, first 2 shown]
	v_cvt_f32_i32_dpp v10, v10 row_shl:4 row_mask:0xf bank_mask:0xf bound_ctrl:1
	v_cvt_i32_f32_e32 v5, v4
	v_cvt_i32_f32_e32 v1, v0
	;; [unrolled: 1-line block ×3, first 2 shown]
	v_add_f32_e32 v8, v8, v10
	v_cvt_f32_i32_dpp v3, v5 row_shl:4 row_mask:0xf bank_mask:0xf bound_ctrl:1
	v_cvt_f32_i32_dpp v1, v1 row_shl:4 row_mask:0xf bank_mask:0xf bound_ctrl:1
	;; [unrolled: 1-line block ×3, first 2 shown]
	v_cvt_i32_f32_e32 v10, v8
	v_add_f32_e32 v3, v4, v3
	v_add_f32_e32 v0, v0, v1
	;; [unrolled: 1-line block ×3, first 2 shown]
	v_cvt_f32_i32_dpp v2, v10 row_shl:8 row_mask:0xf bank_mask:0xf bound_ctrl:1
	v_cvt_i32_f32_e32 v4, v3
	v_cvt_i32_f32_e32 v1, v0
	;; [unrolled: 1-line block ×3, first 2 shown]
	v_add_f32_e32 v2, v8, v2
	v_cvt_f32_i32_dpp v4, v4 row_shl:8 row_mask:0xf bank_mask:0xf bound_ctrl:1
	v_cvt_f32_i32_dpp v1, v1 row_shl:8 row_mask:0xf bank_mask:0xf bound_ctrl:1
	v_cvt_f32_i32_dpp v5, v9 row_shr:15 row_mask:0xf bank_mask:0xf bound_ctrl:1
	v_cvt_i32_f32_e32 v2, v2
	v_add_f32_e32 v3, v3, v4
	v_add_f32_e32 v0, v0, v1
	v_cvt_i32_f32_e32 v6, v5
	v_cvt_f32_i32_dpp v2, v2 row_shr:15 row_mask:0xf bank_mask:0xf bound_ctrl:1
	v_cvt_i32_f32_e32 v3, v3
	v_cvt_i32_f32_e32 v0, v0
	v_cvt_f32_i32_dpp v1, v6 row_bcast:15 row_mask:0xf bank_mask:0xf bound_ctrl:1
	v_cvt_i32_f32_e32 v4, v2
	v_cvt_f32_i32_dpp v3, v3 row_shr:15 row_mask:0xf bank_mask:0xf bound_ctrl:1
	v_cvt_f32_i32_dpp v0, v0 row_shr:15 row_mask:0xf bank_mask:0xf bound_ctrl:1
	v_add_f32_e32 v1, v5, v1
	v_cvt_f32_i32_dpp v4, v4 row_bcast:15 row_mask:0xf bank_mask:0xf bound_ctrl:1
	v_cvt_i32_f32_e32 v5, v3
	v_cvt_i32_f32_e32 v7, v0
	;; [unrolled: 1-line block ×3, first 2 shown]
	v_add_f32_e32 v6, v2, v4
	v_cvt_f32_i32_dpp v5, v5 row_bcast:15 row_mask:0xf bank_mask:0xf bound_ctrl:1
	v_cvt_f32_i32_dpp v2, v7 row_bcast:15 row_mask:0xf bank_mask:0xf bound_ctrl:1
	v_cvt_i32_f32_e32 v7, v6
	v_mov_b32_dpp v9, v8 row_bcast:31 row_mask:0xf bank_mask:0xf bound_ctrl:1
	v_add_f32_e32 v4, v3, v5
	v_add_f32_e32 v2, v0, v2
	v_cvt_i32_f32_e32 v3, v4
	v_cvt_i32_f32_e32 v10, v2
	v_mov_b32_dpp v0, v7 row_bcast:31 row_mask:0xf bank_mask:0xf bound_ctrl:1
	v_mov_b32_dpp v5, v3 row_bcast:31 row_mask:0xf bank_mask:0xf bound_ctrl:1
	;; [unrolled: 1-line block ×3, first 2 shown]
	s_and_saveexec_b64 s[18:19], s[0:1]
	s_cbranch_execz .LBB167_13
; %bb.20:                               ;   in Loop: Header=BB167_14 Depth=1
	s_and_b64 vcc, exec, s[4:5]
	v_mov_b32_e32 v7, 0
	v_mov_b32_e32 v8, 0
	;; [unrolled: 1-line block ×4, first 2 shown]
	s_cbranch_vccnz .LBB167_22
; %bb.21:                               ;   in Loop: Header=BB167_14 Depth=1
	v_mul_hi_u32 v7, v36, v49
	v_mul_lo_u32 v7, v7, s10
	v_sub_u32_e32 v7, v36, v7
	v_subrev_u32_e32 v8, s10, v7
	v_cmp_le_u32_e32 vcc, s10, v7
	s_nop 1
	v_cndmask_b32_e32 v7, v7, v8, vcc
	v_subrev_u32_e32 v8, s10, v7
	v_cmp_le_u32_e32 vcc, s10, v7
	s_nop 1
	v_cndmask_b32_e32 v38, v7, v8, vcc
	v_or_b32_e32 v7, 1, v36
	v_mul_hi_u32 v8, v7, v49
	v_mul_lo_u32 v8, v8, s10
	v_sub_u32_e32 v7, v7, v8
	v_subrev_u32_e32 v8, s10, v7
	v_cmp_le_u32_e32 vcc, s10, v7
	v_lshl_add_u64 v[12:13], v[38:39], 1, s[12:13]
	s_nop 0
	v_cndmask_b32_e32 v7, v7, v8, vcc
	v_subrev_u32_e32 v8, s10, v7
	v_cmp_le_u32_e32 vcc, s10, v7
	s_nop 1
	v_cndmask_b32_e32 v38, v7, v8, vcc
	v_or_b32_e32 v7, 2, v36
	v_mul_hi_u32 v8, v7, v49
	v_mul_lo_u32 v8, v8, s10
	v_sub_u32_e32 v7, v7, v8
	v_subrev_u32_e32 v8, s10, v7
	v_cmp_le_u32_e32 vcc, s10, v7
	v_lshl_add_u64 v[14:15], v[38:39], 1, s[12:13]
	;; [unrolled: 13-line block ×3, first 2 shown]
	s_nop 0
	v_cndmask_b32_e32 v7, v7, v8, vcc
	v_subrev_u32_e32 v8, s10, v7
	v_cmp_le_u32_e32 vcc, s10, v7
	s_nop 1
	v_cndmask_b32_e32 v38, v7, v8, vcc
	v_lshl_add_u64 v[18:19], v[38:39], 1, s[12:13]
	global_load_ushort v11, v[12:13], off
	global_load_ushort v10, v[14:15], off
	;; [unrolled: 1-line block ×4, first 2 shown]
.LBB167_22:                             ;   in Loop: Header=BB167_14 Depth=1
	v_cvt_f32_i32_e32 v9, v9
	v_add_f32_e32 v1, v1, v9
	s_waitcnt vmcnt(3)
	v_lshlrev_b32_e32 v9, 16, v11
	v_add_f32_e32 v1, v1, v9
	v_and_b32_e32 v9, 0x7f800000, v1
	v_cmp_ne_u32_e32 vcc, s25, v9
                                        ; implicit-def: $vgpr9
	s_and_saveexec_b64 s[20:21], vcc
	s_xor_b64 s[20:21], exec, s[20:21]
; %bb.23:                               ;   in Loop: Header=BB167_14 Depth=1
	v_bfe_u32 v9, v1, 16, 1
	v_add3_u32 v9, v1, v9, s26
                                        ; implicit-def: $vgpr1
; %bb.24:                               ;   in Loop: Header=BB167_14 Depth=1
	s_andn2_saveexec_b64 s[20:21], s[20:21]
; %bb.25:                               ;   in Loop: Header=BB167_14 Depth=1
	v_or_b32_e32 v9, 0x10000, v1
	v_cmp_eq_u32_sdwa vcc, v1, v39 src0_sel:WORD_0 src1_sel:DWORD
	s_nop 1
	v_cndmask_b32_e32 v9, v9, v1, vcc
; %bb.26:                               ;   in Loop: Header=BB167_14 Depth=1
	s_or_b64 exec, exec, s[20:21]
	v_cvt_f32_i32_e32 v11, v0
	v_mov_b32_e32 v37, v39
	v_lshl_add_u64 v[0:1], v[36:37], 1, s[14:15]
	global_store_short_d16_hi v[0:1], v9, off
	v_add_f32_e32 v6, v6, v11
	s_waitcnt vmcnt(3)
	v_lshlrev_b32_e32 v9, 16, v10
	v_add_f32_e32 v6, v6, v9
	v_and_b32_e32 v9, 0x7f800000, v6
	v_cmp_ne_u32_e32 vcc, s25, v9
                                        ; implicit-def: $vgpr9
	s_and_saveexec_b64 s[20:21], vcc
	s_xor_b64 s[20:21], exec, s[20:21]
; %bb.27:                               ;   in Loop: Header=BB167_14 Depth=1
	v_bfe_u32 v9, v6, 16, 1
	v_add3_u32 v9, v6, v9, s26
                                        ; implicit-def: $vgpr6
; %bb.28:                               ;   in Loop: Header=BB167_14 Depth=1
	s_andn2_saveexec_b64 s[20:21], s[20:21]
; %bb.29:                               ;   in Loop: Header=BB167_14 Depth=1
	v_or_b32_e32 v9, 0x10000, v6
	v_cmp_eq_u32_sdwa vcc, v6, v39 src0_sel:WORD_0 src1_sel:DWORD
	s_nop 1
	v_cndmask_b32_e32 v9, v9, v6, vcc
; %bb.30:                               ;   in Loop: Header=BB167_14 Depth=1
	s_or_b64 exec, exec, s[20:21]
	v_cvt_f32_i32_e32 v5, v5
	global_store_short_d16_hi v[0:1], v9, off offset:2
	v_add_f32_e32 v4, v4, v5
	s_waitcnt vmcnt(3)
	v_lshlrev_b32_e32 v5, 16, v8
	v_add_f32_e32 v4, v4, v5
	v_and_b32_e32 v5, 0x7f800000, v4
	v_cmp_ne_u32_e32 vcc, s25, v5
                                        ; implicit-def: $vgpr5
	s_and_saveexec_b64 s[20:21], vcc
	s_xor_b64 s[20:21], exec, s[20:21]
; %bb.31:                               ;   in Loop: Header=BB167_14 Depth=1
	v_bfe_u32 v5, v4, 16, 1
	v_add3_u32 v5, v4, v5, s26
                                        ; implicit-def: $vgpr4
; %bb.32:                               ;   in Loop: Header=BB167_14 Depth=1
	s_andn2_saveexec_b64 s[20:21], s[20:21]
; %bb.33:                               ;   in Loop: Header=BB167_14 Depth=1
	v_or_b32_e32 v5, 0x10000, v4
	v_cmp_eq_u32_sdwa vcc, v4, v39 src0_sel:WORD_0 src1_sel:DWORD
	s_nop 1
	v_cndmask_b32_e32 v5, v5, v4, vcc
; %bb.34:                               ;   in Loop: Header=BB167_14 Depth=1
	s_or_b64 exec, exec, s[20:21]
	v_cvt_f32_i32_e32 v3, v3
	global_store_short_d16_hi v[0:1], v5, off offset:4
	v_add_f32_e32 v2, v2, v3
	s_waitcnt vmcnt(3)
	v_lshlrev_b32_e32 v3, 16, v7
	v_add_f32_e32 v2, v2, v3
	v_and_b32_e32 v3, 0x7f800000, v2
	v_cmp_ne_u32_e32 vcc, s25, v3
                                        ; implicit-def: $vgpr3
	s_and_saveexec_b64 s[20:21], vcc
	s_xor_b64 s[20:21], exec, s[20:21]
; %bb.35:                               ;   in Loop: Header=BB167_14 Depth=1
	v_bfe_u32 v3, v2, 16, 1
	v_add3_u32 v3, v2, v3, s26
                                        ; implicit-def: $vgpr2
; %bb.36:                               ;   in Loop: Header=BB167_14 Depth=1
	s_andn2_saveexec_b64 s[20:21], s[20:21]
	s_cbranch_execz .LBB167_12
; %bb.37:                               ;   in Loop: Header=BB167_14 Depth=1
	v_or_b32_e32 v3, 0x10000, v2
	v_cmp_eq_u32_sdwa vcc, v2, v39 src0_sel:WORD_0 src1_sel:DWORD
	s_nop 1
	v_cndmask_b32_e32 v3, v3, v2, vcc
	s_branch .LBB167_12
.LBB167_38:
	s_endpgm
	.section	.rodata,"a",@progbits
	.p2align	6, 0x0
	.amdhsa_kernel _Z16wvSplitK_hf_sml_I14__hip_bfloat16Li32ELi4ELi16ELi8ELi1ELi1EEviiiiiiPKT_S3_S3_PS1_ii
		.amdhsa_group_segment_fixed_size 65536
		.amdhsa_private_segment_fixed_size 0
		.amdhsa_kernarg_size 64
		.amdhsa_user_sgpr_count 2
		.amdhsa_user_sgpr_dispatch_ptr 0
		.amdhsa_user_sgpr_queue_ptr 0
		.amdhsa_user_sgpr_kernarg_segment_ptr 1
		.amdhsa_user_sgpr_dispatch_id 0
		.amdhsa_user_sgpr_kernarg_preload_length 0
		.amdhsa_user_sgpr_kernarg_preload_offset 0
		.amdhsa_user_sgpr_private_segment_size 0
		.amdhsa_uses_dynamic_stack 0
		.amdhsa_enable_private_segment 0
		.amdhsa_system_sgpr_workgroup_id_x 1
		.amdhsa_system_sgpr_workgroup_id_y 0
		.amdhsa_system_sgpr_workgroup_id_z 0
		.amdhsa_system_sgpr_workgroup_info 0
		.amdhsa_system_vgpr_workitem_id 1
		.amdhsa_next_free_vgpr 52
		.amdhsa_next_free_sgpr 27
		.amdhsa_accum_offset 52
		.amdhsa_reserve_vcc 1
		.amdhsa_float_round_mode_32 0
		.amdhsa_float_round_mode_16_64 0
		.amdhsa_float_denorm_mode_32 3
		.amdhsa_float_denorm_mode_16_64 3
		.amdhsa_dx10_clamp 1
		.amdhsa_ieee_mode 1
		.amdhsa_fp16_overflow 0
		.amdhsa_tg_split 0
		.amdhsa_exception_fp_ieee_invalid_op 0
		.amdhsa_exception_fp_denorm_src 0
		.amdhsa_exception_fp_ieee_div_zero 0
		.amdhsa_exception_fp_ieee_overflow 0
		.amdhsa_exception_fp_ieee_underflow 0
		.amdhsa_exception_fp_ieee_inexact 0
		.amdhsa_exception_int_div_zero 0
	.end_amdhsa_kernel
	.section	.text._Z16wvSplitK_hf_sml_I14__hip_bfloat16Li32ELi4ELi16ELi8ELi1ELi1EEviiiiiiPKT_S3_S3_PS1_ii,"axG",@progbits,_Z16wvSplitK_hf_sml_I14__hip_bfloat16Li32ELi4ELi16ELi8ELi1ELi1EEviiiiiiPKT_S3_S3_PS1_ii,comdat
.Lfunc_end167:
	.size	_Z16wvSplitK_hf_sml_I14__hip_bfloat16Li32ELi4ELi16ELi8ELi1ELi1EEviiiiiiPKT_S3_S3_PS1_ii, .Lfunc_end167-_Z16wvSplitK_hf_sml_I14__hip_bfloat16Li32ELi4ELi16ELi8ELi1ELi1EEviiiiiiPKT_S3_S3_PS1_ii
                                        ; -- End function
	.section	.AMDGPU.csdata,"",@progbits
; Kernel info:
; codeLenInByte = 2440
; NumSgprs: 33
; NumVgprs: 52
; NumAgprs: 0
; TotalNumVgprs: 52
; ScratchSize: 0
; MemoryBound: 0
; FloatMode: 240
; IeeeMode: 1
; LDSByteSize: 65536 bytes/workgroup (compile time only)
; SGPRBlocks: 4
; VGPRBlocks: 6
; NumSGPRsForWavesPerEU: 33
; NumVGPRsForWavesPerEU: 52
; AccumOffset: 52
; Occupancy: 2
; WaveLimiterHint : 0
; COMPUTE_PGM_RSRC2:SCRATCH_EN: 0
; COMPUTE_PGM_RSRC2:USER_SGPR: 2
; COMPUTE_PGM_RSRC2:TRAP_HANDLER: 0
; COMPUTE_PGM_RSRC2:TGID_X_EN: 1
; COMPUTE_PGM_RSRC2:TGID_Y_EN: 0
; COMPUTE_PGM_RSRC2:TGID_Z_EN: 0
; COMPUTE_PGM_RSRC2:TIDIG_COMP_CNT: 1
; COMPUTE_PGM_RSRC3_GFX90A:ACCUM_OFFSET: 12
; COMPUTE_PGM_RSRC3_GFX90A:TG_SPLIT: 0
	.section	.text._Z12wvSplitK_hf_I14__hip_bfloat16Li32ELi4ELi16ELi8ELi1ELi1EEviiiiiiPKT_S3_S3_PS1_ii,"axG",@progbits,_Z12wvSplitK_hf_I14__hip_bfloat16Li32ELi4ELi16ELi8ELi1ELi1EEviiiiiiPKT_S3_S3_PS1_ii,comdat
	.protected	_Z12wvSplitK_hf_I14__hip_bfloat16Li32ELi4ELi16ELi8ELi1ELi1EEviiiiiiPKT_S3_S3_PS1_ii ; -- Begin function _Z12wvSplitK_hf_I14__hip_bfloat16Li32ELi4ELi16ELi8ELi1ELi1EEviiiiiiPKT_S3_S3_PS1_ii
	.globl	_Z12wvSplitK_hf_I14__hip_bfloat16Li32ELi4ELi16ELi8ELi1ELi1EEviiiiiiPKT_S3_S3_PS1_ii
	.p2align	8
	.type	_Z12wvSplitK_hf_I14__hip_bfloat16Li32ELi4ELi16ELi8ELi1ELi1EEviiiiiiPKT_S3_S3_PS1_ii,@function
_Z12wvSplitK_hf_I14__hip_bfloat16Li32ELi4ELi16ELi8ELi1ELi1EEviiiiiiPKT_S3_S3_PS1_ii: ; @_Z12wvSplitK_hf_I14__hip_bfloat16Li32ELi4ELi16ELi8ELi1ELi1EEviiiiiiPKT_S3_S3_PS1_ii
; %bb.0:
	s_load_dwordx2 s[20:21], s[0:1], 0x38
	s_load_dwordx2 s[16:17], s[0:1], 0x20
	s_load_dwordx4 s[8:11], s[0:1], 0x0
	s_load_dword s30, s[0:1], 0x10
	v_bfe_u32 v8, v0, 10, 10
	s_waitcnt lgkmcnt(0)
	s_mul_i32 s2, s2, s20
	v_add_lshl_u32 v42, s2, v8, 2
	s_mov_b32 s4, 1
	v_add_u32_e32 v1, 4, v42
	s_mov_b32 s5, s4
	v_cmp_gt_u32_e32 vcc, s11, v42
	v_cmp_le_u32_e64 s[2:3], s11, v1
	s_mov_b32 s6, s4
	s_mov_b32 s7, s4
	v_mov_b64_e32 v[2:3], s[4:5]
	s_and_b64 s[12:13], vcc, s[2:3]
	v_mov_b64_e32 v[4:5], s[6:7]
	s_and_saveexec_b64 s[2:3], s[12:13]
	s_cbranch_execz .LBB168_6
; %bb.1:
	s_add_i32 s22, s11, -4
	v_mov_b64_e32 v[2:3], s[4:5]
	v_cmp_ne_u32_e32 vcc, s22, v42
	v_mov_b64_e32 v[4:5], s[6:7]
	s_and_saveexec_b64 s[12:13], vcc
	s_cbranch_execz .LBB168_5
; %bb.2:
	v_subrev_u32_e32 v1, s22, v42
	v_cmp_lt_u32_e32 vcc, 1, v1
	s_mov_b64 s[14:15], 0
	s_mov_b64 s[18:19], 0
	v_cndmask_b32_e32 v6, 1, v1, vcc
	s_mov_b32 s5, s4
	s_mov_b32 s6, s4
	;; [unrolled: 1-line block ×3, first 2 shown]
.LBB168_3:                              ; =>This Inner Loop Header: Depth=1
	s_cmp_lg_u32 s18, 3
	s_cselect_b32 s7, s7, 0
	s_cmp_lg_u32 s18, 2
	s_cselect_b32 s6, s6, 0
	;; [unrolled: 2-line block ×4, first 2 shown]
	s_add_u32 s18, s18, 1
	s_addc_u32 s19, s19, 0
	v_cmp_eq_u32_e32 vcc, s18, v6
	v_mov_b64_e32 v[2:3], s[4:5]
	s_or_b64 s[14:15], vcc, s[14:15]
	v_mov_b64_e32 v[4:5], s[6:7]
	s_andn2_b64 exec, exec, s[14:15]
	s_cbranch_execnz .LBB168_3
; %bb.4:
	s_or_b64 exec, exec, s[14:15]
	v_mov_b32_e32 v42, s22
.LBB168_5:
	s_or_b64 exec, exec, s[12:13]
.LBB168_6:
	s_or_b64 exec, exec, s[2:3]
	v_and_b32_e32 v9, 0x3ff, v0
	v_lshlrev_b32_e32 v60, 3, v9
	v_lshl_add_u32 v10, v8, 8, v60
	s_min_u32 s4, s10, 0x8000
	v_cmp_gt_u32_e32 vcc, s4, v10
	s_and_saveexec_b64 s[2:3], vcc
	s_cbranch_execz .LBB168_15
; %bb.7:
	v_lshlrev_b32_e32 v0, 1, v10
	global_load_dwordx4 v[12:15], v0, s[16:17]
	v_add_u32_e32 v1, 0x1000, v10
	v_cmp_gt_u32_e32 vcc, s4, v1
	s_waitcnt vmcnt(0)
	ds_write_b128 v0, v[12:15]
	s_and_saveexec_b64 s[6:7], vcc
	s_xor_b64 s[6:7], exec, s[6:7]
	s_cbranch_execz .LBB168_15
; %bb.8:
	v_mov_b32_e32 v1, 0
	v_lshl_add_u64 v[6:7], s[16:17], 0, v[0:1]
	v_add_co_u32_e32 v12, vcc, 0x2000, v6
	v_add_u32_e32 v1, 0x2000, v10
	s_nop 0
	v_addc_co_u32_e32 v13, vcc, 0, v7, vcc
	global_load_dwordx4 v[12:15], v[12:13], off
	v_cmp_gt_u32_e32 vcc, s4, v1
	s_waitcnt vmcnt(0)
	ds_write_b128 v0, v[12:15] offset:8192
	s_and_saveexec_b64 s[6:7], vcc
	s_xor_b64 s[6:7], exec, s[6:7]
	s_cbranch_execz .LBB168_15
; %bb.9:
	v_add_co_u32_e32 v12, vcc, 0x4000, v6
	v_add_u32_e32 v1, 0x3000, v10
	s_nop 0
	v_addc_co_u32_e32 v13, vcc, 0, v7, vcc
	global_load_dwordx4 v[12:15], v[12:13], off
	v_cmp_gt_u32_e32 vcc, s4, v1
	s_waitcnt vmcnt(0)
	ds_write_b128 v0, v[12:15] offset:16384
	s_and_saveexec_b64 s[6:7], vcc
	s_xor_b64 s[6:7], exec, s[6:7]
	s_cbranch_execz .LBB168_15
; %bb.10:
	;; [unrolled: 12-line block ×6, first 2 shown]
	v_add_co_u32_e32 v6, vcc, 0xe000, v6
	s_nop 1
	v_addc_co_u32_e32 v7, vcc, 0, v7, vcc
	global_load_dwordx4 v[10:13], v[6:7], off
	s_waitcnt vmcnt(0)
	ds_write_b128 v0, v[10:13] offset:57344
.LBB168_15:
	s_or_b64 exec, exec, s[2:3]
	v_cmp_gt_u32_e32 vcc, s20, v8
	v_cmp_gt_u32_e64 s[2:3], s11, v42
	s_and_b64 s[2:3], vcc, s[2:3]
	s_waitcnt lgkmcnt(0)
	s_barrier
	s_and_saveexec_b64 s[4:5], s[2:3]
	s_cbranch_execz .LBB168_60
; %bb.16:
	v_cvt_f32_u32_e32 v0, s30
	s_load_dwordx4 s[12:15], s[0:1], 0x28
	s_load_dwordx2 s[18:19], s[0:1], 0x18
	s_cmp_lg_u32 s8, 0
	s_cselect_b64 s[2:3], -1, 0
	v_rcp_iflag_f32_e32 v0, v0
	s_add_i32 s10, s8, -8
	s_add_i32 s31, s11, -1
	s_mul_i32 s6, s20, s21
	v_mul_f32_e32 v0, 0x4f7ffffe, v0
	v_cvt_u32_f32_e32 v0, v0
	s_waitcnt lgkmcnt(0)
	s_cmp_lg_u64 s[12:13], 0
	s_cselect_b64 s[4:5], -1, 0
	s_lshl_b32 s33, s6, 2
	s_sub_i32 s6, 0, s30
	v_mul_lo_u32 v1, s6, v0
	v_mul_hi_u32 v1, v0, v1
	v_add_u32_e32 v61, v0, v1
	v_cndmask_b32_e64 v0, 0, 1, s[2:3]
	v_cmp_ne_u32_e64 s[2:3], 1, v0
	v_cndmask_b32_e64 v0, 0, 1, s[4:5]
	v_cmp_eq_u32_e64 s[0:1], 31, v9
	s_mov_b64 s[20:21], 0
	s_add_i32 s34, s11, -4
	v_mov_b32_e32 v1, 0
	v_lshlrev_b32_e32 v62, 4, v9
	s_movk_i32 s35, 0x7fff
	v_cmp_ne_u32_e64 s[4:5], 1, v0
	s_mov_b32 s36, 0x7f800000
	s_branch .LBB168_19
.LBB168_17:                             ;   in Loop: Header=BB168_19 Depth=1
	s_or_b64 exec, exec, s[24:25]
	v_mov_b32_e32 v42, s34
.LBB168_18:                             ;   in Loop: Header=BB168_19 Depth=1
	s_or_b64 exec, exec, s[22:23]
	v_cmp_le_u32_e32 vcc, s11, v42
	s_or_b64 s[20:21], vcc, s[20:21]
	s_andn2_b64 exec, exec, s[20:21]
	s_cbranch_execz .LBB168_60
.LBB168_19:                             ; =>This Loop Header: Depth=1
                                        ;     Child Loop BB168_23 Depth 2
                                        ;     Child Loop BB168_58 Depth 2
	s_and_b64 vcc, exec, s[2:3]
	v_add_u32_e32 v48, 1, v42
	v_add_u32_e32 v46, 2, v42
	;; [unrolled: 1-line block ×3, first 2 shown]
	v_mov_b32_e32 v9, v1
	v_mov_b32_e32 v8, v1
	;; [unrolled: 1-line block ×16, first 2 shown]
	s_cbranch_vccnz .LBB168_28
; %bb.20:                               ;   in Loop: Header=BB168_19 Depth=1
	v_min_u32_e32 v0, s31, v42
	v_mul_lo_u32 v50, v0, s9
	v_min_u32_e32 v0, s31, v48
	v_mul_lo_u32 v52, v0, s9
	;; [unrolled: 2-line block ×3, first 2 shown]
	v_min_u32_e32 v0, s31, v44
	v_mov_b32_e32 v18, 0
	v_mov_b32_e32 v51, v1
	;; [unrolled: 1-line block ×4, first 2 shown]
	v_mul_lo_u32 v56, v0, s9
	v_mov_b32_e32 v57, v1
	s_mov_b32 s24, 0
	v_mov_b32_e32 v43, v62
	v_mov_b32_e32 v19, v18
	;; [unrolled: 1-line block ×16, first 2 shown]
	s_branch .LBB168_23
.LBB168_21:                             ;   in Loop: Header=BB168_23 Depth=2
	s_or_b64 exec, exec, s[22:23]
.LBB168_22:                             ;   in Loop: Header=BB168_23 Depth=2
	s_or_b64 exec, exec, s[6:7]
	s_waitcnt vmcnt(0) lgkmcnt(0)
	v_mfma_f32_4x4x4_16b_bf16 v[18:21], v[26:27], v[38:39], v[18:21]
	s_addk_i32 s24, 0x100
	v_mfma_f32_4x4x4_16b_bf16 v[14:17], v[26:27], v[34:35], v[14:17]
	v_add_u32_e32 v43, 0x200, v43
	v_mfma_f32_4x4x4_16b_bf16 v[10:13], v[26:27], v[30:31], v[10:13]
	s_cmp_ge_u32 s24, s8
	v_mfma_f32_4x4x4_16b_bf16 v[6:9], v[26:27], v[22:23], v[6:9]
	v_mfma_f32_4x4x4_16b_bf16 v[18:21], v[28:29], v[40:41], v[18:21]
	;; [unrolled: 1-line block ×5, first 2 shown]
	s_cbranch_scc1 .LBB168_28
.LBB168_23:                             ;   Parent Loop BB168_19 Depth=1
                                        ; =>  This Inner Loop Header: Depth=2
	v_add_u32_e32 v58, s24, v60
	v_min_u32_e32 v0, s10, v58
	v_lshl_add_u64 v[22:23], v[0:1], 1, s[18:19]
	v_lshl_add_u64 v[24:25], v[50:51], 1, v[22:23]
	;; [unrolled: 1-line block ×3, first 2 shown]
	global_load_dwordx4 v[38:41], v[24:25], off nt
	global_load_dwordx4 v[34:37], v[26:27], off nt
	v_lshl_add_u64 v[26:27], v[54:55], 1, v[22:23]
	v_lshl_add_u64 v[28:29], v[56:57], 1, v[22:23]
	global_load_dwordx4 v[30:33], v[26:27], off nt
	global_load_dwordx4 v[22:25], v[28:29], off nt
	v_cmp_gt_u32_e32 vcc, s8, v58
	v_mov_b32_e32 v28, 0
	v_mov_b32_e32 v29, 0
	;; [unrolled: 1-line block ×4, first 2 shown]
	s_and_saveexec_b64 s[6:7], vcc
	s_cbranch_execz .LBB168_22
; %bb.24:                               ;   in Loop: Header=BB168_23 Depth=2
	v_cmp_lt_u32_e32 vcc, s35, v58
                                        ; implicit-def: $vgpr27
	s_and_saveexec_b64 s[22:23], vcc
	s_xor_b64 s[22:23], exec, s[22:23]
	s_cbranch_execz .LBB168_26
; %bb.25:                               ;   in Loop: Header=BB168_23 Depth=2
	v_mov_b32_e32 v59, v1
	v_lshl_add_u64 v[26:27], v[58:59], 1, s[16:17]
	global_load_dwordx4 v[26:29], v[26:27], off
.LBB168_26:                             ;   in Loop: Header=BB168_23 Depth=2
	s_andn2_saveexec_b64 s[22:23], s[22:23]
	s_cbranch_execz .LBB168_21
; %bb.27:                               ;   in Loop: Header=BB168_23 Depth=2
	s_waitcnt vmcnt(0)
	ds_read_b128 v[26:29], v43
	s_branch .LBB168_21
.LBB168_28:                             ;   in Loop: Header=BB168_19 Depth=1
	s_nop 0
	v_cvt_i32_f32_e32 v0, v19
	v_cvt_i32_f32_e32 v19, v20
	;; [unrolled: 1-line block ×4, first 2 shown]
	v_cvt_f32_i32_dpp v0, v0 row_shl:1 row_mask:0xf bank_mask:0xf bound_ctrl:1
	v_cvt_f32_i32_dpp v19, v19 row_shl:2 row_mask:0xf bank_mask:0xf bound_ctrl:1
	v_cvt_i32_f32_e32 v16, v16
	v_cvt_f32_i32_dpp v20, v20 row_shl:3 row_mask:0xf bank_mask:0xf bound_ctrl:1
	v_cvt_i32_f32_e32 v17, v17
	v_cvt_i32_f32_e32 v11, v11
	v_add_f32_e32 v0, v18, v0
	v_cvt_f32_i32_dpp v15, v15 row_shl:1 row_mask:0xf bank_mask:0xf bound_ctrl:1
	v_cvt_i32_f32_e32 v7, v7
	v_add_f32_e32 v0, v0, v19
	v_cvt_f32_i32_dpp v16, v16 row_shl:2 row_mask:0xf bank_mask:0xf bound_ctrl:1
	v_cvt_i32_f32_e32 v12, v12
	v_cvt_i32_f32_e32 v8, v8
	v_add_f32_e32 v0, v0, v20
	v_cvt_f32_i32_dpp v17, v17 row_shl:3 row_mask:0xf bank_mask:0xf bound_ctrl:1
	v_cvt_f32_i32_dpp v11, v11 row_shl:1 row_mask:0xf bank_mask:0xf bound_ctrl:1
	v_cvt_i32_f32_e32 v13, v13
	v_cvt_i32_f32_e32 v9, v9
	;; [unrolled: 1-line block ×3, first 2 shown]
	v_add_f32_e32 v14, v14, v15
	v_cvt_f32_i32_dpp v7, v7 row_shl:1 row_mask:0xf bank_mask:0xf bound_ctrl:1
	v_add_f32_e32 v14, v14, v16
	v_cvt_f32_i32_dpp v12, v12 row_shl:2 row_mask:0xf bank_mask:0xf bound_ctrl:1
	v_cvt_f32_i32_dpp v8, v8 row_shl:2 row_mask:0xf bank_mask:0xf bound_ctrl:1
	v_add_f32_e32 v14, v14, v17
	v_add_f32_e32 v10, v10, v11
	v_cvt_f32_i32_dpp v11, v13 row_shl:3 row_mask:0xf bank_mask:0xf bound_ctrl:1
	v_cvt_f32_i32_dpp v9, v9 row_shl:3 row_mask:0xf bank_mask:0xf bound_ctrl:1
	;; [unrolled: 1-line block ×3, first 2 shown]
	v_cvt_i32_f32_e32 v15, v14
	v_add_f32_e32 v6, v6, v7
	v_add_f32_e32 v10, v10, v12
	;; [unrolled: 1-line block ×6, first 2 shown]
	v_cvt_f32_i32_dpp v15, v15 row_shl:4 row_mask:0xf bank_mask:0xf bound_ctrl:1
	v_cvt_i32_f32_e32 v11, v10
	v_cvt_i32_f32_e32 v7, v6
	;; [unrolled: 1-line block ×3, first 2 shown]
	v_add_f32_e32 v14, v14, v15
	v_cvt_f32_i32_dpp v9, v11 row_shl:4 row_mask:0xf bank_mask:0xf bound_ctrl:1
	v_cvt_f32_i32_dpp v7, v7 row_shl:4 row_mask:0xf bank_mask:0xf bound_ctrl:1
	;; [unrolled: 1-line block ×3, first 2 shown]
	v_cvt_i32_f32_e32 v15, v14
	v_add_f32_e32 v9, v10, v9
	v_add_f32_e32 v6, v6, v7
	;; [unrolled: 1-line block ×3, first 2 shown]
	v_cvt_f32_i32_dpp v8, v15 row_shl:8 row_mask:0xf bank_mask:0xf bound_ctrl:1
	v_cvt_i32_f32_e32 v10, v9
	v_cvt_i32_f32_e32 v7, v6
	;; [unrolled: 1-line block ×3, first 2 shown]
	v_add_f32_e32 v8, v14, v8
	v_cvt_f32_i32_dpp v10, v10 row_shl:8 row_mask:0xf bank_mask:0xf bound_ctrl:1
	v_cvt_f32_i32_dpp v7, v7 row_shl:8 row_mask:0xf bank_mask:0xf bound_ctrl:1
	v_cvt_f32_i32_dpp v0, v0 row_shr:15 row_mask:0xf bank_mask:0xf bound_ctrl:1
	v_cvt_i32_f32_e32 v8, v8
	v_add_f32_e32 v9, v9, v10
	v_add_f32_e32 v6, v6, v7
	v_cvt_i32_f32_e32 v11, v0
	v_cvt_f32_i32_dpp v8, v8 row_shr:15 row_mask:0xf bank_mask:0xf bound_ctrl:1
	v_cvt_i32_f32_e32 v9, v9
	v_cvt_i32_f32_e32 v6, v6
	v_cvt_f32_i32_dpp v7, v11 row_bcast:15 row_mask:0xf bank_mask:0xf bound_ctrl:1
	v_cvt_i32_f32_e32 v10, v8
	v_cvt_f32_i32_dpp v9, v9 row_shr:15 row_mask:0xf bank_mask:0xf bound_ctrl:1
	v_cvt_f32_i32_dpp v6, v6 row_shr:15 row_mask:0xf bank_mask:0xf bound_ctrl:1
	v_add_f32_e32 v13, v0, v7
	v_cvt_f32_i32_dpp v7, v10 row_bcast:15 row_mask:0xf bank_mask:0xf bound_ctrl:1
	v_cvt_i32_f32_e32 v0, v9
	v_cvt_i32_f32_e32 v11, v6
	;; [unrolled: 1-line block ×3, first 2 shown]
	v_add_f32_e32 v10, v8, v7
	v_cvt_f32_i32_dpp v0, v0 row_bcast:15 row_mask:0xf bank_mask:0xf bound_ctrl:1
	v_cvt_f32_i32_dpp v7, v11 row_bcast:15 row_mask:0xf bank_mask:0xf bound_ctrl:1
	v_cvt_i32_f32_e32 v11, v10
	v_mov_b32_dpp v14, v12 row_bcast:31 row_mask:0xf bank_mask:0xf bound_ctrl:1
	v_add_f32_e32 v8, v9, v0
	v_add_f32_e32 v6, v6, v7
	v_cvt_i32_f32_e32 v0, v8
	v_cvt_i32_f32_e32 v7, v6
	v_mov_b32_dpp v11, v11 row_bcast:31 row_mask:0xf bank_mask:0xf bound_ctrl:1
	v_mov_b32_dpp v9, v0 row_bcast:31 row_mask:0xf bank_mask:0xf bound_ctrl:1
	;; [unrolled: 1-line block ×3, first 2 shown]
	s_and_saveexec_b64 s[6:7], s[0:1]
	s_cbranch_execz .LBB168_55
; %bb.29:                               ;   in Loop: Header=BB168_19 Depth=1
	s_and_b64 vcc, exec, s[4:5]
	v_mov_b32_e32 v0, 0
	v_mov_b32_e32 v12, 0
	v_mov_b32_e32 v15, 0
	v_mov_b32_e32 v16, 0
	s_cbranch_vccnz .LBB168_31
; %bb.30:                               ;   in Loop: Header=BB168_19 Depth=1
	v_mul_hi_u32 v0, v42, v61
	v_mul_lo_u32 v0, v0, s30
	v_sub_u32_e32 v0, v42, v0
	v_subrev_u32_e32 v12, s30, v0
	v_cmp_le_u32_e32 vcc, s30, v0
	s_nop 1
	v_cndmask_b32_e32 v0, v0, v12, vcc
	v_subrev_u32_e32 v12, s30, v0
	v_cmp_le_u32_e32 vcc, s30, v0
	s_nop 1
	v_cndmask_b32_e32 v0, v0, v12, vcc
	v_lshl_add_u64 v[18:19], v[0:1], 1, s[12:13]
	v_mul_hi_u32 v0, v48, v61
	v_mul_lo_u32 v0, v0, s30
	v_sub_u32_e32 v0, v48, v0
	v_subrev_u32_e32 v12, s30, v0
	v_cmp_le_u32_e32 vcc, s30, v0
	s_nop 1
	v_cndmask_b32_e32 v0, v0, v12, vcc
	v_subrev_u32_e32 v12, s30, v0
	v_cmp_le_u32_e32 vcc, s30, v0
	s_nop 1
	v_cndmask_b32_e32 v0, v0, v12, vcc
	v_lshl_add_u64 v[20:21], v[0:1], 1, s[12:13]
	;; [unrolled: 12-line block ×4, first 2 shown]
	global_load_ushort v16, v[18:19], off
	global_load_ushort v15, v[20:21], off
	;; [unrolled: 1-line block ×4, first 2 shown]
.LBB168_31:                             ;   in Loop: Header=BB168_19 Depth=1
	v_cmp_ne_u32_e32 vcc, 0, v2
	s_and_saveexec_b64 s[22:23], vcc
	s_cbranch_execnz .LBB168_35
; %bb.32:                               ;   in Loop: Header=BB168_19 Depth=1
	s_or_b64 exec, exec, s[22:23]
	v_cmp_ne_u32_e32 vcc, 0, v3
	s_and_saveexec_b64 s[22:23], vcc
	s_cbranch_execnz .LBB168_40
.LBB168_33:                             ;   in Loop: Header=BB168_19 Depth=1
	s_or_b64 exec, exec, s[22:23]
	v_cmp_ne_u32_e32 vcc, 0, v4
	s_and_saveexec_b64 s[22:23], vcc
	s_cbranch_execnz .LBB168_45
.LBB168_34:                             ;   in Loop: Header=BB168_19 Depth=1
	s_or_b64 exec, exec, s[22:23]
	v_cmp_ne_u32_e32 vcc, 0, v5
	s_and_b64 exec, exec, vcc
	s_cbranch_execnz .LBB168_50
	s_branch .LBB168_55
.LBB168_35:                             ;   in Loop: Header=BB168_19 Depth=1
	v_cvt_f32_i32_e32 v14, v14
	v_add_f32_e32 v13, v13, v14
	s_waitcnt vmcnt(3)
	v_lshlrev_b32_e32 v14, 16, v16
	v_add_f32_e32 v14, v13, v14
	v_and_b32_e32 v13, 0x7f800000, v14
	v_cmp_ne_u32_e32 vcc, s36, v13
                                        ; implicit-def: $vgpr13
	s_and_saveexec_b64 s[24:25], vcc
	s_xor_b64 s[24:25], exec, s[24:25]
; %bb.36:                               ;   in Loop: Header=BB168_19 Depth=1
	v_bfe_u32 v13, v14, 16, 1
	v_add3_u32 v13, v14, v13, s35
                                        ; implicit-def: $vgpr14
; %bb.37:                               ;   in Loop: Header=BB168_19 Depth=1
	s_andn2_saveexec_b64 s[24:25], s[24:25]
; %bb.38:                               ;   in Loop: Header=BB168_19 Depth=1
	v_or_b32_e32 v13, 0x10000, v14
	v_cmp_eq_u32_sdwa vcc, v14, v1 src0_sel:WORD_0 src1_sel:DWORD
	s_nop 1
	v_cndmask_b32_e32 v13, v13, v14, vcc
; %bb.39:                               ;   in Loop: Header=BB168_19 Depth=1
	s_or_b64 exec, exec, s[24:25]
	v_mov_b32_e32 v43, v1
	v_lshl_add_u64 v[16:17], v[42:43], 1, s[14:15]
	global_store_short_d16_hi v[16:17], v13, off
	s_or_b64 exec, exec, s[22:23]
	v_cmp_ne_u32_e32 vcc, 0, v3
	s_and_saveexec_b64 s[22:23], vcc
	s_cbranch_execz .LBB168_33
.LBB168_40:                             ;   in Loop: Header=BB168_19 Depth=1
	v_cvt_f32_i32_e32 v11, v11
	v_add_f32_e32 v10, v10, v11
	s_waitcnt vmcnt(2)
	v_lshlrev_b32_e32 v11, 16, v15
	v_add_f32_e32 v11, v10, v11
	v_and_b32_e32 v10, 0x7f800000, v11
	v_cmp_ne_u32_e32 vcc, s36, v10
                                        ; implicit-def: $vgpr10
	s_and_saveexec_b64 s[24:25], vcc
	s_xor_b64 s[24:25], exec, s[24:25]
; %bb.41:                               ;   in Loop: Header=BB168_19 Depth=1
	v_bfe_u32 v10, v11, 16, 1
	v_add3_u32 v10, v11, v10, s35
                                        ; implicit-def: $vgpr11
; %bb.42:                               ;   in Loop: Header=BB168_19 Depth=1
	s_andn2_saveexec_b64 s[24:25], s[24:25]
; %bb.43:                               ;   in Loop: Header=BB168_19 Depth=1
	v_or_b32_e32 v10, 0x10000, v11
	v_cmp_eq_u32_sdwa vcc, v11, v1 src0_sel:WORD_0 src1_sel:DWORD
	s_nop 1
	v_cndmask_b32_e32 v10, v10, v11, vcc
; %bb.44:                               ;   in Loop: Header=BB168_19 Depth=1
	s_or_b64 exec, exec, s[24:25]
	v_mov_b32_e32 v49, v1
	v_lshl_add_u64 v[14:15], v[48:49], 1, s[14:15]
	global_store_short_d16_hi v[14:15], v10, off
	s_or_b64 exec, exec, s[22:23]
	v_cmp_ne_u32_e32 vcc, 0, v4
	s_and_saveexec_b64 s[22:23], vcc
	s_cbranch_execz .LBB168_34
.LBB168_45:                             ;   in Loop: Header=BB168_19 Depth=1
	v_cvt_f32_i32_e32 v9, v9
	v_add_f32_e32 v8, v8, v9
	s_waitcnt vmcnt(1)
	v_lshlrev_b32_e32 v9, 16, v12
	v_add_f32_e32 v9, v8, v9
	v_and_b32_e32 v8, 0x7f800000, v9
	v_cmp_ne_u32_e32 vcc, s36, v8
                                        ; implicit-def: $vgpr8
	s_and_saveexec_b64 s[24:25], vcc
	s_xor_b64 s[24:25], exec, s[24:25]
; %bb.46:                               ;   in Loop: Header=BB168_19 Depth=1
	v_bfe_u32 v8, v9, 16, 1
	v_add3_u32 v8, v9, v8, s35
                                        ; implicit-def: $vgpr9
; %bb.47:                               ;   in Loop: Header=BB168_19 Depth=1
	s_andn2_saveexec_b64 s[24:25], s[24:25]
; %bb.48:                               ;   in Loop: Header=BB168_19 Depth=1
	v_or_b32_e32 v8, 0x10000, v9
	v_cmp_eq_u32_sdwa vcc, v9, v1 src0_sel:WORD_0 src1_sel:DWORD
	s_nop 1
	v_cndmask_b32_e32 v8, v8, v9, vcc
; %bb.49:                               ;   in Loop: Header=BB168_19 Depth=1
	s_or_b64 exec, exec, s[24:25]
	v_mov_b32_e32 v47, v1
	v_lshl_add_u64 v[10:11], v[46:47], 1, s[14:15]
	global_store_short_d16_hi v[10:11], v8, off
	s_or_b64 exec, exec, s[22:23]
	v_cmp_ne_u32_e32 vcc, 0, v5
	s_and_b64 exec, exec, vcc
	s_cbranch_execz .LBB168_55
.LBB168_50:                             ;   in Loop: Header=BB168_19 Depth=1
	v_cvt_f32_i32_e32 v7, v7
	s_waitcnt vmcnt(0)
	v_lshlrev_b32_e32 v0, 16, v0
	v_add_f32_e32 v6, v6, v7
	v_add_f32_e32 v6, v6, v0
	v_and_b32_e32 v0, 0x7f800000, v6
	v_cmp_ne_u32_e32 vcc, s36, v0
                                        ; implicit-def: $vgpr0
	s_and_saveexec_b64 s[22:23], vcc
	s_xor_b64 s[22:23], exec, s[22:23]
; %bb.51:                               ;   in Loop: Header=BB168_19 Depth=1
	v_bfe_u32 v0, v6, 16, 1
	v_add3_u32 v0, v6, v0, s35
                                        ; implicit-def: $vgpr6
; %bb.52:                               ;   in Loop: Header=BB168_19 Depth=1
	s_andn2_saveexec_b64 s[22:23], s[22:23]
; %bb.53:                               ;   in Loop: Header=BB168_19 Depth=1
	v_or_b32_e32 v0, 0x10000, v6
	v_cmp_eq_u32_sdwa vcc, v6, v1 src0_sel:WORD_0 src1_sel:DWORD
	s_nop 1
	v_cndmask_b32_e32 v0, v0, v6, vcc
; %bb.54:                               ;   in Loop: Header=BB168_19 Depth=1
	s_or_b64 exec, exec, s[22:23]
	v_mov_b32_e32 v45, v1
	v_lshl_add_u64 v[6:7], v[44:45], 1, s[14:15]
	global_store_short_d16_hi v[6:7], v0, off
.LBB168_55:                             ;   in Loop: Header=BB168_19 Depth=1
	s_or_b64 exec, exec, s[6:7]
	v_add_u32_e32 v42, s33, v42
	s_waitcnt vmcnt(0)
	v_add_u32_e32 v0, 4, v42
	v_cmp_gt_u32_e32 vcc, s11, v42
	v_cmp_le_u32_e64 s[6:7], s11, v0
	s_and_b64 s[6:7], vcc, s[6:7]
	s_and_saveexec_b64 s[22:23], s[6:7]
	s_cbranch_execz .LBB168_18
; %bb.56:                               ;   in Loop: Header=BB168_19 Depth=1
	v_cmp_ne_u32_e32 vcc, s34, v42
	s_and_saveexec_b64 s[24:25], vcc
	s_cbranch_execz .LBB168_17
; %bb.57:                               ;   in Loop: Header=BB168_19 Depth=1
	v_subrev_u32_e32 v0, s34, v42
	v_cmp_lt_u32_e32 vcc, 1, v0
	s_mov_b64 s[26:27], 0
	s_mov_b64 s[28:29], 0
	v_cndmask_b32_e32 v0, 1, v0, vcc
.LBB168_58:                             ;   Parent Loop BB168_19 Depth=1
                                        ; =>  This Inner Loop Header: Depth=2
	s_cmp_lg_u32 s28, 3
	s_cselect_b64 vcc, -1, 0
	s_cmp_lg_u32 s28, 2
	v_cndmask_b32_e32 v5, 0, v5, vcc
	s_cselect_b64 vcc, -1, 0
	s_cmp_lg_u32 s28, 1
	v_cndmask_b32_e32 v4, 0, v4, vcc
	;; [unrolled: 3-line block ×3, first 2 shown]
	s_cselect_b64 vcc, -1, 0
	s_add_u32 s28, s28, 1
	s_addc_u32 s29, s29, 0
	v_cmp_eq_u32_e64 s[6:7], s28, v0
	s_or_b64 s[26:27], s[6:7], s[26:27]
	v_cndmask_b32_e32 v2, 0, v2, vcc
	s_andn2_b64 exec, exec, s[26:27]
	s_cbranch_execnz .LBB168_58
; %bb.59:                               ;   in Loop: Header=BB168_19 Depth=1
	s_or_b64 exec, exec, s[26:27]
	s_branch .LBB168_17
.LBB168_60:
	s_endpgm
	.section	.rodata,"a",@progbits
	.p2align	6, 0x0
	.amdhsa_kernel _Z12wvSplitK_hf_I14__hip_bfloat16Li32ELi4ELi16ELi8ELi1ELi1EEviiiiiiPKT_S3_S3_PS1_ii
		.amdhsa_group_segment_fixed_size 65536
		.amdhsa_private_segment_fixed_size 0
		.amdhsa_kernarg_size 64
		.amdhsa_user_sgpr_count 2
		.amdhsa_user_sgpr_dispatch_ptr 0
		.amdhsa_user_sgpr_queue_ptr 0
		.amdhsa_user_sgpr_kernarg_segment_ptr 1
		.amdhsa_user_sgpr_dispatch_id 0
		.amdhsa_user_sgpr_kernarg_preload_length 0
		.amdhsa_user_sgpr_kernarg_preload_offset 0
		.amdhsa_user_sgpr_private_segment_size 0
		.amdhsa_uses_dynamic_stack 0
		.amdhsa_enable_private_segment 0
		.amdhsa_system_sgpr_workgroup_id_x 1
		.amdhsa_system_sgpr_workgroup_id_y 0
		.amdhsa_system_sgpr_workgroup_id_z 0
		.amdhsa_system_sgpr_workgroup_info 0
		.amdhsa_system_vgpr_workitem_id 1
		.amdhsa_next_free_vgpr 63
		.amdhsa_next_free_sgpr 37
		.amdhsa_accum_offset 64
		.amdhsa_reserve_vcc 1
		.amdhsa_float_round_mode_32 0
		.amdhsa_float_round_mode_16_64 0
		.amdhsa_float_denorm_mode_32 3
		.amdhsa_float_denorm_mode_16_64 3
		.amdhsa_dx10_clamp 1
		.amdhsa_ieee_mode 1
		.amdhsa_fp16_overflow 0
		.amdhsa_tg_split 0
		.amdhsa_exception_fp_ieee_invalid_op 0
		.amdhsa_exception_fp_denorm_src 0
		.amdhsa_exception_fp_ieee_div_zero 0
		.amdhsa_exception_fp_ieee_overflow 0
		.amdhsa_exception_fp_ieee_underflow 0
		.amdhsa_exception_fp_ieee_inexact 0
		.amdhsa_exception_int_div_zero 0
	.end_amdhsa_kernel
	.section	.text._Z12wvSplitK_hf_I14__hip_bfloat16Li32ELi4ELi16ELi8ELi1ELi1EEviiiiiiPKT_S3_S3_PS1_ii,"axG",@progbits,_Z12wvSplitK_hf_I14__hip_bfloat16Li32ELi4ELi16ELi8ELi1ELi1EEviiiiiiPKT_S3_S3_PS1_ii,comdat
.Lfunc_end168:
	.size	_Z12wvSplitK_hf_I14__hip_bfloat16Li32ELi4ELi16ELi8ELi1ELi1EEviiiiiiPKT_S3_S3_PS1_ii, .Lfunc_end168-_Z12wvSplitK_hf_I14__hip_bfloat16Li32ELi4ELi16ELi8ELi1ELi1EEviiiiiiPKT_S3_S3_PS1_ii
                                        ; -- End function
	.section	.AMDGPU.csdata,"",@progbits
; Kernel info:
; codeLenInByte = 2952
; NumSgprs: 43
; NumVgprs: 63
; NumAgprs: 0
; TotalNumVgprs: 63
; ScratchSize: 0
; MemoryBound: 0
; FloatMode: 240
; IeeeMode: 1
; LDSByteSize: 65536 bytes/workgroup (compile time only)
; SGPRBlocks: 5
; VGPRBlocks: 7
; NumSGPRsForWavesPerEU: 43
; NumVGPRsForWavesPerEU: 63
; AccumOffset: 64
; Occupancy: 2
; WaveLimiterHint : 0
; COMPUTE_PGM_RSRC2:SCRATCH_EN: 0
; COMPUTE_PGM_RSRC2:USER_SGPR: 2
; COMPUTE_PGM_RSRC2:TRAP_HANDLER: 0
; COMPUTE_PGM_RSRC2:TGID_X_EN: 1
; COMPUTE_PGM_RSRC2:TGID_Y_EN: 0
; COMPUTE_PGM_RSRC2:TGID_Z_EN: 0
; COMPUTE_PGM_RSRC2:TIDIG_COMP_CNT: 1
; COMPUTE_PGM_RSRC3_GFX90A:ACCUM_OFFSET: 15
; COMPUTE_PGM_RSRC3_GFX90A:TG_SPLIT: 0
	.section	.text._Z16wvSplitK_hf_big_I14__hip_bfloat16Li32ELi4ELi16ELi8ELi1ELi1EEviiiiiiPKT_S3_S3_PS1_ii,"axG",@progbits,_Z16wvSplitK_hf_big_I14__hip_bfloat16Li32ELi4ELi16ELi8ELi1ELi1EEviiiiiiPKT_S3_S3_PS1_ii,comdat
	.protected	_Z16wvSplitK_hf_big_I14__hip_bfloat16Li32ELi4ELi16ELi8ELi1ELi1EEviiiiiiPKT_S3_S3_PS1_ii ; -- Begin function _Z16wvSplitK_hf_big_I14__hip_bfloat16Li32ELi4ELi16ELi8ELi1ELi1EEviiiiiiPKT_S3_S3_PS1_ii
	.globl	_Z16wvSplitK_hf_big_I14__hip_bfloat16Li32ELi4ELi16ELi8ELi1ELi1EEviiiiiiPKT_S3_S3_PS1_ii
	.p2align	8
	.type	_Z16wvSplitK_hf_big_I14__hip_bfloat16Li32ELi4ELi16ELi8ELi1ELi1EEviiiiiiPKT_S3_S3_PS1_ii,@function
_Z16wvSplitK_hf_big_I14__hip_bfloat16Li32ELi4ELi16ELi8ELi1ELi1EEviiiiiiPKT_S3_S3_PS1_ii: ; @_Z16wvSplitK_hf_big_I14__hip_bfloat16Li32ELi4ELi16ELi8ELi1ELi1EEviiiiiiPKT_S3_S3_PS1_ii
; %bb.0:
	s_load_dwordx2 s[8:9], s[0:1], 0x38
	v_bfe_u32 v7, v0, 10, 10
	s_waitcnt lgkmcnt(0)
	v_cmp_gt_u32_e32 vcc, s8, v7
	s_and_saveexec_b64 s[4:5], vcc
	s_cbranch_execz .LBB169_62
; %bb.1:
	s_load_dwordx4 s[20:23], s[0:1], 0x0
	s_mul_i32 s2, s2, s8
	v_add_lshl_u32 v42, s2, v7, 2
	s_mov_b32 s4, 1
	v_add_u32_e32 v1, 4, v42
	s_mov_b32 s5, s4
	s_waitcnt lgkmcnt(0)
	v_cmp_gt_u32_e32 vcc, s23, v42
	v_cmp_le_u32_e64 s[2:3], s23, v1
	s_mov_b32 s6, s4
	s_mov_b32 s7, s4
	v_mov_b64_e32 v[2:3], s[4:5]
	s_and_b64 s[10:11], vcc, s[2:3]
	v_mov_b64_e32 v[4:5], s[6:7]
	s_and_saveexec_b64 s[2:3], s[10:11]
	s_cbranch_execz .LBB169_7
; %bb.2:
	s_add_i32 s16, s23, -4
	v_mov_b64_e32 v[2:3], s[4:5]
	v_cmp_ne_u32_e32 vcc, s16, v42
	v_mov_b64_e32 v[4:5], s[6:7]
	s_and_saveexec_b64 s[10:11], vcc
	s_cbranch_execz .LBB169_6
; %bb.3:
	v_subrev_u32_e32 v1, s16, v42
	v_cmp_lt_u32_e32 vcc, 1, v1
	s_mov_b64 s[12:13], 0
	s_mov_b64 s[14:15], 0
	v_cndmask_b32_e32 v6, 1, v1, vcc
	s_mov_b32 s5, s4
	s_mov_b32 s6, s4
	s_mov_b32 s7, s4
.LBB169_4:                              ; =>This Inner Loop Header: Depth=1
	s_cmp_lg_u32 s14, 3
	s_cselect_b32 s7, s7, 0
	s_cmp_lg_u32 s14, 2
	s_cselect_b32 s6, s6, 0
	;; [unrolled: 2-line block ×4, first 2 shown]
	s_add_u32 s14, s14, 1
	s_addc_u32 s15, s15, 0
	v_cmp_eq_u32_e32 vcc, s14, v6
	v_mov_b64_e32 v[2:3], s[4:5]
	s_or_b64 s[12:13], vcc, s[12:13]
	v_mov_b64_e32 v[4:5], s[6:7]
	s_andn2_b64 exec, exec, s[12:13]
	s_cbranch_execnz .LBB169_4
; %bb.5:
	s_or_b64 exec, exec, s[12:13]
	v_mov_b32_e32 v42, s16
.LBB169_6:
	s_or_b64 exec, exec, s[10:11]
.LBB169_7:
	s_or_b64 exec, exec, s[2:3]
	s_lshl_b32 s2, s8, 2
	s_abs_i32 s3, s2
	v_cvt_f32_u32_e32 v1, s3
	s_sub_i32 s6, 0, s3
	s_abs_i32 s5, s23
	s_ashr_i32 s4, s23, 31
	v_rcp_iflag_f32_e32 v1, v1
	s_nop 0
	v_mul_f32_e32 v1, 0x4f7ffffe, v1
	v_cvt_u32_f32_e32 v1, v1
	s_nop 0
	v_readfirstlane_b32 s7, v1
	s_mul_i32 s6, s6, s7
	s_mul_hi_u32 s6, s7, s6
	s_add_i32 s7, s7, s6
	s_mul_hi_u32 s6, s5, s7
	s_mul_i32 s6, s6, s3
	s_sub_i32 s5, s5, s6
	s_sub_i32 s6, s5, s3
	s_cmp_ge_u32 s5, s3
	s_cselect_b32 s5, s6, s5
	s_sub_i32 s6, s5, s3
	s_cmp_ge_u32 s5, s3
	s_cselect_b32 s3, s6, s5
	s_xor_b32 s3, s3, s4
	s_sub_i32 s3, s3, s4
	s_add_i32 s2, s2, s23
	s_sub_i32 s2, s2, s3
	s_cmp_eq_u32 s3, 0
	s_cselect_b32 s33, s23, s2
	v_cmp_gt_u32_e32 vcc, s33, v42
	s_and_b64 exec, exec, vcc
	s_cbranch_execz .LBB169_62
; %bb.8:
	s_load_dwordx8 s[12:19], s[0:1], 0x18
	s_load_dword s38, s[0:1], 0x10
	s_min_u32 s39, s22, 0x8000
	s_cmp_lg_u32 s20, 0
	s_cselect_b64 s[2:3], -1, 0
	s_cmp_lg_u32 s22, 0
	s_waitcnt lgkmcnt(0)
	v_cvt_f32_u32_e32 v1, s38
	s_mul_i32 s0, s9, s8
	s_cselect_b64 s[4:5], -1, 0
	v_and_b32_e32 v0, 0x3ff, v0
	v_rcp_iflag_f32_e32 v1, v1
	s_lshl_b32 s40, s8, 8
	s_add_i32 s41, s20, -8
	s_add_i32 s42, s23, -1
	v_mul_f32_e32 v1, 0x4f7ffffe, v1
	v_cvt_u32_f32_e32 v1, v1
	s_lshl_b32 s43, s0, 2
	v_lshlrev_b32_e32 v52, 3, v0
	v_cmp_eq_u32_e64 s[0:1], 31, v0
	s_cmp_lg_u64 s[16:17], 0
	v_lshlrev_b32_e32 v0, 4, v0
	s_cselect_b64 s[6:7], -1, 0
	s_sub_i32 s9, 0, s38
	v_lshl_add_u32 v54, v7, 9, v0
	v_cndmask_b32_e64 v0, 0, 1, s[2:3]
	s_add_i32 s44, s23, -4
	v_mul_lo_u32 v6, s9, v1
	v_cmp_ne_u32_e64 s[2:3], 1, v0
	v_cndmask_b32_e64 v0, 0, 1, s[4:5]
	v_mul_hi_u32 v6, v1, v6
	s_add_u32 s26, s18, 2
	v_cmp_ne_u32_e64 s[4:5], 1, v0
	v_cndmask_b32_e64 v0, 0, 1, s[6:7]
	s_mov_b64 s[24:25], 0
	v_add_u32_e32 v53, v1, v6
	v_mov_b32_e32 v1, 0
	s_addc_u32 s27, s19, 0
	s_lshl_b32 s45, s8, 9
	v_lshl_add_u32 v55, v7, 8, v52
	v_cmp_ne_u32_e64 s[6:7], 1, v0
	s_mov_b32 s46, 0x7f800000
	s_movk_i32 s47, 0x7fff
	s_branch .LBB169_12
.LBB169_9:                              ;   in Loop: Header=BB169_12 Depth=1
	s_or_b64 exec, exec, s[30:31]
	v_mov_b32_e32 v42, s44
.LBB169_10:                             ;   in Loop: Header=BB169_12 Depth=1
	s_or_b64 exec, exec, s[28:29]
.LBB169_11:                             ;   in Loop: Header=BB169_12 Depth=1
	s_or_b64 exec, exec, s[10:11]
	v_cmp_le_u32_e32 vcc, s33, v42
	s_or_b64 s[24:25], vcc, s[24:25]
	s_andn2_b64 exec, exec, s[24:25]
	s_cbranch_execz .LBB169_62
.LBB169_12:                             ; =>This Loop Header: Depth=1
                                        ;     Child Loop BB169_16 Depth 2
                                        ;       Child Loop BB169_21 Depth 3
                                        ;     Child Loop BB169_60 Depth 2
	s_and_b64 vcc, exec, s[2:3]
	v_mov_b32_e32 v9, v1
	v_mov_b32_e32 v8, v1
	;; [unrolled: 1-line block ×6, first 2 shown]
	s_waitcnt vmcnt(0)
	v_mov_b32_e32 v11, v1
	v_mov_b32_e32 v10, v1
	;; [unrolled: 1-line block ×10, first 2 shown]
	s_cbranch_vccnz .LBB169_27
; %bb.13:                               ;   in Loop: Header=BB169_12 Depth=1
	v_min_u32_e32 v0, s42, v42
	v_mul_lo_u32 v44, v0, s21
	v_add_u32_e32 v0, 1, v42
	v_min_u32_e32 v0, s42, v0
	v_mul_lo_u32 v46, v0, s21
	v_add_u32_e32 v0, 2, v42
	;; [unrolled: 3-line block ×3, first 2 shown]
	v_min_u32_e32 v0, s42, v0
	v_mov_b32_e32 v18, 0
	v_cmp_gt_u32_e64 s[8:9], s23, v42
	v_mov_b32_e32 v45, v1
	v_mov_b32_e32 v47, v1
	;; [unrolled: 1-line block ×3, first 2 shown]
	v_mul_lo_u32 v50, v0, s21
	v_mov_b32_e32 v51, v1
	s_mov_b32 s34, 0
	s_mov_b32 s35, 0
	v_mov_b32_e32 v19, v18
	v_mov_b32_e32 v20, v18
	;; [unrolled: 1-line block ×15, first 2 shown]
	s_branch .LBB169_16
.LBB169_14:                             ;   in Loop: Header=BB169_16 Depth=2
	s_or_b64 exec, exec, s[28:29]
	s_waitcnt vmcnt(3) lgkmcnt(0)
	v_mfma_f32_4x4x4_16b_bf16 v[18:21], v[26:27], v[38:39], v[18:21]
	s_waitcnt vmcnt(2)
	v_mfma_f32_4x4x4_16b_bf16 v[14:17], v[26:27], v[34:35], v[14:17]
	s_waitcnt vmcnt(1)
	v_mfma_f32_4x4x4_16b_bf16 v[10:13], v[26:27], v[30:31], v[10:13]
	s_waitcnt vmcnt(0)
	v_mfma_f32_4x4x4_16b_bf16 v[6:9], v[26:27], v[22:23], v[6:9]
	v_mfma_f32_4x4x4_16b_bf16 v[18:21], v[28:29], v[40:41], v[18:21]
	;; [unrolled: 1-line block ×5, first 2 shown]
.LBB169_15:                             ;   in Loop: Header=BB169_16 Depth=2
	s_or_b64 exec, exec, s[10:11]
	s_addk_i32 s35, 0x100
	s_cmp_ge_u32 s35, s20
	s_cbranch_scc1 .LBB169_27
.LBB169_16:                             ;   Parent Loop BB169_12 Depth=1
                                        ; =>  This Loop Header: Depth=2
                                        ;       Child Loop BB169_21 Depth 3
	s_cmp_eq_u32 s35, 0
	s_cselect_b64 s[10:11], -1, 0
	s_add_i32 s28, s34, s39
	s_cmp_eq_u32 s35, s28
	s_cselect_b64 s[30:31], -1, 0
	s_or_b64 s[30:31], s[10:11], s[30:31]
	s_andn2_b64 vcc, exec, s[30:31]
	s_cbranch_vccz .LBB169_18
; %bb.17:                               ;   in Loop: Header=BB169_16 Depth=2
	s_and_saveexec_b64 s[10:11], s[8:9]
	s_cbranch_execz .LBB169_15
	s_branch .LBB169_25
.LBB169_18:                             ;   in Loop: Header=BB169_16 Depth=2
	s_and_b64 s[10:11], s[10:11], exec
	s_cselect_b32 s34, s34, s28
	s_and_b64 vcc, exec, s[4:5]
	s_barrier
	s_cbranch_vccnz .LBB169_24
; %bb.19:                               ;   in Loop: Header=BB169_16 Depth=2
	v_add_u32_e32 v22, s34, v55
	s_mov_b32 s36, 0
	s_mov_b64 s[28:29], 0
	v_mov_b32_e32 v23, v54
                                        ; implicit-def: $sgpr30_sgpr31
	s_branch .LBB169_21
.LBB169_20:                             ;   in Loop: Header=BB169_21 Depth=3
	s_or_b64 exec, exec, s[10:11]
	s_and_b64 s[10:11], exec, s[30:31]
	s_or_b64 s[28:29], s[10:11], s[28:29]
	s_andn2_b64 exec, exec, s[28:29]
	s_cbranch_execz .LBB169_23
.LBB169_21:                             ;   Parent Loop BB169_12 Depth=1
                                        ;     Parent Loop BB169_16 Depth=2
                                        ; =>    This Inner Loop Header: Depth=3
	v_add_u32_e32 v24, s36, v55
	v_add_u32_e32 v0, s36, v22
	v_cmp_gt_u32_e32 vcc, s22, v0
	v_cmp_gt_u32_e64 s[10:11], s39, v24
	s_and_b64 s[48:49], s[10:11], vcc
	s_or_b64 s[30:31], s[30:31], exec
	s_and_saveexec_b64 s[10:11], s[48:49]
	s_cbranch_execz .LBB169_20
; %bb.22:                               ;   in Loop: Header=BB169_21 Depth=3
	v_lshl_add_u64 v[24:25], v[0:1], 1, s[14:15]
	global_load_dwordx4 v[24:27], v[24:25], off
	s_add_i32 s36, s36, s40
	s_cmp_ge_u32 s36, s39
	s_cselect_b64 s[48:49], -1, 0
	s_andn2_b64 s[30:31], s[30:31], exec
	s_and_b64 s[48:49], s[48:49], exec
	s_or_b64 s[30:31], s[30:31], s[48:49]
	s_waitcnt vmcnt(0)
	ds_write_b128 v23, v[24:27]
	v_add_u32_e32 v23, s45, v23
	s_branch .LBB169_20
.LBB169_23:                             ;   in Loop: Header=BB169_16 Depth=2
	s_or_b64 exec, exec, s[28:29]
.LBB169_24:                             ;   in Loop: Header=BB169_16 Depth=2
	s_waitcnt lgkmcnt(0)
	s_barrier
	s_and_saveexec_b64 s[10:11], s[8:9]
	s_cbranch_execz .LBB169_15
.LBB169_25:                             ;   in Loop: Header=BB169_16 Depth=2
	v_add_u32_e32 v43, s35, v52
	v_min_u32_e32 v0, s41, v43
	v_lshl_add_u64 v[22:23], v[0:1], 1, s[12:13]
	v_lshl_add_u64 v[24:25], v[44:45], 1, v[22:23]
	;; [unrolled: 1-line block ×3, first 2 shown]
	global_load_dwordx4 v[38:41], v[24:25], off nt
	global_load_dwordx4 v[34:37], v[26:27], off nt
	v_lshl_add_u64 v[26:27], v[48:49], 1, v[22:23]
	v_lshl_add_u64 v[28:29], v[50:51], 1, v[22:23]
	global_load_dwordx4 v[30:33], v[26:27], off nt
	global_load_dwordx4 v[22:25], v[28:29], off nt
	v_cmp_gt_u32_e32 vcc, s20, v43
	v_mov_b32_e32 v28, 0
	v_mov_b32_e32 v29, 0
	;; [unrolled: 1-line block ×4, first 2 shown]
	s_and_saveexec_b64 s[28:29], vcc
	s_cbranch_execz .LBB169_14
; %bb.26:                               ;   in Loop: Header=BB169_16 Depth=2
	v_subrev_u32_e32 v0, s34, v43
	v_lshlrev_b32_e32 v0, 1, v0
	ds_read_b128 v[26:29], v0
	s_branch .LBB169_14
.LBB169_27:                             ;   in Loop: Header=BB169_12 Depth=1
	v_cmp_le_u32_e32 vcc, s23, v42
	s_and_saveexec_b64 s[8:9], vcc
	s_xor_b64 s[8:9], exec, s[8:9]
; %bb.28:                               ;   in Loop: Header=BB169_12 Depth=1
	v_add_u32_e32 v42, s43, v42
                                        ; implicit-def: $vgpr9
                                        ; implicit-def: $vgpr13
                                        ; implicit-def: $vgpr17
                                        ; implicit-def: $vgpr21
; %bb.29:                               ;   in Loop: Header=BB169_12 Depth=1
	s_andn2_saveexec_b64 s[10:11], s[8:9]
	s_cbranch_execz .LBB169_11
; %bb.30:                               ;   in Loop: Header=BB169_12 Depth=1
	v_cvt_i32_f32_e32 v0, v19
	v_cvt_i32_f32_e32 v19, v20
	;; [unrolled: 1-line block ×4, first 2 shown]
	v_cvt_f32_i32_dpp v0, v0 row_shl:1 row_mask:0xf bank_mask:0xf bound_ctrl:1
	v_cvt_f32_i32_dpp v19, v19 row_shl:2 row_mask:0xf bank_mask:0xf bound_ctrl:1
	v_cvt_i32_f32_e32 v16, v16
	v_cvt_f32_i32_dpp v20, v20 row_shl:3 row_mask:0xf bank_mask:0xf bound_ctrl:1
	v_cvt_i32_f32_e32 v17, v17
	v_cvt_i32_f32_e32 v11, v11
	v_add_f32_e32 v0, v18, v0
	v_cvt_f32_i32_dpp v15, v15 row_shl:1 row_mask:0xf bank_mask:0xf bound_ctrl:1
	v_cvt_i32_f32_e32 v7, v7
	v_add_f32_e32 v0, v0, v19
	v_cvt_f32_i32_dpp v16, v16 row_shl:2 row_mask:0xf bank_mask:0xf bound_ctrl:1
	v_cvt_i32_f32_e32 v12, v12
	v_cvt_i32_f32_e32 v8, v8
	v_add_f32_e32 v0, v0, v20
	v_cvt_f32_i32_dpp v17, v17 row_shl:3 row_mask:0xf bank_mask:0xf bound_ctrl:1
	v_cvt_f32_i32_dpp v11, v11 row_shl:1 row_mask:0xf bank_mask:0xf bound_ctrl:1
	v_cvt_i32_f32_e32 v13, v13
	v_cvt_i32_f32_e32 v9, v9
	;; [unrolled: 1-line block ×3, first 2 shown]
	v_add_f32_e32 v14, v14, v15
	v_cvt_f32_i32_dpp v7, v7 row_shl:1 row_mask:0xf bank_mask:0xf bound_ctrl:1
	v_add_f32_e32 v14, v14, v16
	v_cvt_f32_i32_dpp v12, v12 row_shl:2 row_mask:0xf bank_mask:0xf bound_ctrl:1
	v_cvt_f32_i32_dpp v8, v8 row_shl:2 row_mask:0xf bank_mask:0xf bound_ctrl:1
	v_add_f32_e32 v14, v14, v17
	v_add_f32_e32 v10, v10, v11
	v_cvt_f32_i32_dpp v11, v13 row_shl:3 row_mask:0xf bank_mask:0xf bound_ctrl:1
	v_cvt_f32_i32_dpp v9, v9 row_shl:3 row_mask:0xf bank_mask:0xf bound_ctrl:1
	;; [unrolled: 1-line block ×3, first 2 shown]
	v_cvt_i32_f32_e32 v15, v14
	v_add_f32_e32 v6, v6, v7
	v_add_f32_e32 v10, v10, v12
	;; [unrolled: 1-line block ×6, first 2 shown]
	v_cvt_f32_i32_dpp v15, v15 row_shl:4 row_mask:0xf bank_mask:0xf bound_ctrl:1
	v_cvt_i32_f32_e32 v11, v10
	v_cvt_i32_f32_e32 v7, v6
	v_cvt_i32_f32_e32 v16, v0
	v_add_f32_e32 v14, v14, v15
	v_cvt_f32_i32_dpp v9, v11 row_shl:4 row_mask:0xf bank_mask:0xf bound_ctrl:1
	v_cvt_f32_i32_dpp v7, v7 row_shl:4 row_mask:0xf bank_mask:0xf bound_ctrl:1
	;; [unrolled: 1-line block ×3, first 2 shown]
	v_cvt_i32_f32_e32 v15, v14
	v_add_f32_e32 v9, v10, v9
	v_add_f32_e32 v6, v6, v7
	;; [unrolled: 1-line block ×3, first 2 shown]
	v_cvt_f32_i32_dpp v8, v15 row_shl:8 row_mask:0xf bank_mask:0xf bound_ctrl:1
	v_cvt_i32_f32_e32 v10, v9
	v_cvt_i32_f32_e32 v7, v6
	;; [unrolled: 1-line block ×3, first 2 shown]
	v_add_f32_e32 v8, v14, v8
	v_cvt_f32_i32_dpp v10, v10 row_shl:8 row_mask:0xf bank_mask:0xf bound_ctrl:1
	v_cvt_f32_i32_dpp v7, v7 row_shl:8 row_mask:0xf bank_mask:0xf bound_ctrl:1
	v_cvt_f32_i32_dpp v0, v0 row_shr:15 row_mask:0xf bank_mask:0xf bound_ctrl:1
	v_cvt_i32_f32_e32 v8, v8
	v_add_f32_e32 v9, v9, v10
	v_add_f32_e32 v6, v6, v7
	v_cvt_i32_f32_e32 v11, v0
	v_cvt_f32_i32_dpp v8, v8 row_shr:15 row_mask:0xf bank_mask:0xf bound_ctrl:1
	v_cvt_i32_f32_e32 v9, v9
	v_cvt_i32_f32_e32 v6, v6
	v_cvt_f32_i32_dpp v7, v11 row_bcast:15 row_mask:0xf bank_mask:0xf bound_ctrl:1
	v_cvt_i32_f32_e32 v10, v8
	v_cvt_f32_i32_dpp v9, v9 row_shr:15 row_mask:0xf bank_mask:0xf bound_ctrl:1
	v_cvt_f32_i32_dpp v6, v6 row_shr:15 row_mask:0xf bank_mask:0xf bound_ctrl:1
	v_add_f32_e32 v15, v0, v7
	v_cvt_f32_i32_dpp v7, v10 row_bcast:15 row_mask:0xf bank_mask:0xf bound_ctrl:1
	v_cvt_i32_f32_e32 v0, v9
	v_cvt_i32_f32_e32 v10, v6
	;; [unrolled: 1-line block ×3, first 2 shown]
	v_add_f32_e32 v12, v8, v7
	v_cvt_f32_i32_dpp v0, v0 row_bcast:15 row_mask:0xf bank_mask:0xf bound_ctrl:1
	v_cvt_f32_i32_dpp v7, v10 row_bcast:15 row_mask:0xf bank_mask:0xf bound_ctrl:1
	v_cvt_i32_f32_e32 v8, v12
	v_mov_b32_dpp v16, v11 row_bcast:31 row_mask:0xf bank_mask:0xf bound_ctrl:1
	v_add_f32_e32 v9, v9, v0
	v_add_f32_e32 v7, v6, v7
	v_cvt_i32_f32_e32 v0, v9
	v_cvt_i32_f32_e32 v6, v7
	v_mov_b32_dpp v13, v8 row_bcast:31 row_mask:0xf bank_mask:0xf bound_ctrl:1
	v_mov_b32_dpp v10, v0 row_bcast:31 row_mask:0xf bank_mask:0xf bound_ctrl:1
	;; [unrolled: 1-line block ×3, first 2 shown]
	s_and_saveexec_b64 s[8:9], s[0:1]
	s_cbranch_execz .LBB169_57
; %bb.31:                               ;   in Loop: Header=BB169_12 Depth=1
	s_and_b64 vcc, exec, s[6:7]
	v_mov_b32_e32 v11, 0
	v_add_u32_e32 v0, 2, v42
	v_add_u32_e32 v6, 3, v42
	v_mov_b32_e32 v14, 0
	v_mov_b32_e32 v17, 0
	v_mov_b32_e32 v18, 0
	s_cbranch_vccnz .LBB169_33
; %bb.32:                               ;   in Loop: Header=BB169_12 Depth=1
	v_mul_hi_u32 v11, v42, v53
	v_mul_lo_u32 v11, v11, s38
	v_sub_u32_e32 v11, v42, v11
	v_subrev_u32_e32 v14, s38, v11
	v_cmp_le_u32_e32 vcc, s38, v11
	v_mov_b32_e32 v19, v1
	s_nop 0
	v_cndmask_b32_e32 v11, v11, v14, vcc
	v_subrev_u32_e32 v14, s38, v11
	v_cmp_le_u32_e32 vcc, s38, v11
	s_nop 1
	v_cndmask_b32_e32 v18, v11, v14, vcc
	v_add_u32_e32 v11, 1, v42
	v_mul_hi_u32 v14, v11, v53
	v_mul_lo_u32 v14, v14, s38
	v_sub_u32_e32 v11, v11, v14
	v_subrev_u32_e32 v14, s38, v11
	v_cmp_le_u32_e32 vcc, s38, v11
	v_lshl_add_u64 v[20:21], v[18:19], 1, s[16:17]
	s_nop 0
	v_cndmask_b32_e32 v11, v11, v14, vcc
	v_subrev_u32_e32 v14, s38, v11
	v_cmp_le_u32_e32 vcc, s38, v11
	s_nop 1
	v_cndmask_b32_e32 v18, v11, v14, vcc
	v_mul_hi_u32 v11, v0, v53
	v_mul_lo_u32 v11, v11, s38
	v_sub_u32_e32 v11, v0, v11
	v_subrev_u32_e32 v14, s38, v11
	v_cmp_le_u32_e32 vcc, s38, v11
	v_lshl_add_u64 v[22:23], v[18:19], 1, s[16:17]
	s_nop 0
	v_cndmask_b32_e32 v11, v11, v14, vcc
	v_subrev_u32_e32 v14, s38, v11
	v_cmp_le_u32_e32 vcc, s38, v11
	s_nop 1
	v_cndmask_b32_e32 v18, v11, v14, vcc
	;; [unrolled: 12-line block ×3, first 2 shown]
	v_lshl_add_u64 v[26:27], v[18:19], 1, s[16:17]
	global_load_ushort v18, v[20:21], off
	global_load_ushort v17, v[22:23], off
	;; [unrolled: 1-line block ×4, first 2 shown]
.LBB169_33:                             ;   in Loop: Header=BB169_12 Depth=1
	v_cmp_ne_u32_e32 vcc, 0, v2
	s_and_saveexec_b64 s[28:29], vcc
	s_cbranch_execnz .LBB169_37
; %bb.34:                               ;   in Loop: Header=BB169_12 Depth=1
	s_or_b64 exec, exec, s[28:29]
	v_cmp_ne_u32_e32 vcc, 0, v3
	s_and_saveexec_b64 s[28:29], vcc
	s_cbranch_execnz .LBB169_42
.LBB169_35:                             ;   in Loop: Header=BB169_12 Depth=1
	s_or_b64 exec, exec, s[28:29]
	v_cmp_ne_u32_e32 vcc, 0, v4
	s_and_saveexec_b64 s[28:29], vcc
	s_cbranch_execnz .LBB169_47
.LBB169_36:                             ;   in Loop: Header=BB169_12 Depth=1
	s_or_b64 exec, exec, s[28:29]
	v_cmp_ne_u32_e32 vcc, 0, v5
	s_and_b64 exec, exec, vcc
	s_cbranch_execnz .LBB169_52
	s_branch .LBB169_57
.LBB169_37:                             ;   in Loop: Header=BB169_12 Depth=1
	v_cvt_f32_i32_e32 v16, v16
	v_add_f32_e32 v15, v15, v16
	s_waitcnt vmcnt(3)
	v_lshlrev_b32_e32 v16, 16, v18
	v_add_f32_e32 v16, v15, v16
	v_and_b32_e32 v15, 0x7f800000, v16
	v_cmp_ne_u32_e32 vcc, s46, v15
                                        ; implicit-def: $vgpr15
	s_and_saveexec_b64 s[30:31], vcc
	s_xor_b64 s[30:31], exec, s[30:31]
; %bb.38:                               ;   in Loop: Header=BB169_12 Depth=1
	v_bfe_u32 v15, v16, 16, 1
	v_add3_u32 v15, v16, v15, s47
                                        ; implicit-def: $vgpr16
; %bb.39:                               ;   in Loop: Header=BB169_12 Depth=1
	s_andn2_saveexec_b64 s[30:31], s[30:31]
; %bb.40:                               ;   in Loop: Header=BB169_12 Depth=1
	v_or_b32_e32 v15, 0x10000, v16
	v_cmp_eq_u32_sdwa vcc, v16, v1 src0_sel:WORD_0 src1_sel:DWORD
	s_nop 1
	v_cndmask_b32_e32 v15, v15, v16, vcc
; %bb.41:                               ;   in Loop: Header=BB169_12 Depth=1
	s_or_b64 exec, exec, s[30:31]
	v_mov_b32_e32 v43, v1
	v_lshl_add_u64 v[18:19], v[42:43], 1, s[18:19]
	global_store_short_d16_hi v[18:19], v15, off
	s_or_b64 exec, exec, s[28:29]
	v_cmp_ne_u32_e32 vcc, 0, v3
	s_and_saveexec_b64 s[28:29], vcc
	s_cbranch_execz .LBB169_35
.LBB169_42:                             ;   in Loop: Header=BB169_12 Depth=1
	v_cvt_f32_i32_e32 v13, v13
	v_add_f32_e32 v12, v12, v13
	s_waitcnt vmcnt(2)
	v_lshlrev_b32_e32 v13, 16, v17
	v_add_f32_e32 v13, v12, v13
	v_and_b32_e32 v12, 0x7f800000, v13
	v_cmp_ne_u32_e32 vcc, s46, v12
                                        ; implicit-def: $vgpr12
	s_and_saveexec_b64 s[30:31], vcc
	s_xor_b64 s[30:31], exec, s[30:31]
; %bb.43:                               ;   in Loop: Header=BB169_12 Depth=1
	v_bfe_u32 v12, v13, 16, 1
	v_add3_u32 v12, v13, v12, s47
                                        ; implicit-def: $vgpr13
; %bb.44:                               ;   in Loop: Header=BB169_12 Depth=1
	s_andn2_saveexec_b64 s[30:31], s[30:31]
; %bb.45:                               ;   in Loop: Header=BB169_12 Depth=1
	v_or_b32_e32 v12, 0x10000, v13
	v_cmp_eq_u32_sdwa vcc, v13, v1 src0_sel:WORD_0 src1_sel:DWORD
	s_nop 1
	v_cndmask_b32_e32 v12, v12, v13, vcc
; %bb.46:                               ;   in Loop: Header=BB169_12 Depth=1
	s_or_b64 exec, exec, s[30:31]
	v_mov_b32_e32 v43, v1
	v_lshl_add_u64 v[16:17], v[42:43], 1, s[26:27]
	global_store_short_d16_hi v[16:17], v12, off
	s_or_b64 exec, exec, s[28:29]
	v_cmp_ne_u32_e32 vcc, 0, v4
	s_and_saveexec_b64 s[28:29], vcc
	s_cbranch_execz .LBB169_36
.LBB169_47:                             ;   in Loop: Header=BB169_12 Depth=1
	v_cvt_f32_i32_e32 v10, v10
	v_add_f32_e32 v9, v9, v10
	s_waitcnt vmcnt(1)
	v_lshlrev_b32_e32 v10, 16, v14
	v_add_f32_e32 v10, v9, v10
	v_and_b32_e32 v9, 0x7f800000, v10
	v_cmp_ne_u32_e32 vcc, s46, v9
                                        ; implicit-def: $vgpr9
	s_and_saveexec_b64 s[30:31], vcc
	s_xor_b64 s[30:31], exec, s[30:31]
; %bb.48:                               ;   in Loop: Header=BB169_12 Depth=1
	v_bfe_u32 v9, v10, 16, 1
	v_add3_u32 v9, v10, v9, s47
                                        ; implicit-def: $vgpr10
; %bb.49:                               ;   in Loop: Header=BB169_12 Depth=1
	s_andn2_saveexec_b64 s[30:31], s[30:31]
; %bb.50:                               ;   in Loop: Header=BB169_12 Depth=1
	v_or_b32_e32 v9, 0x10000, v10
	v_cmp_eq_u32_sdwa vcc, v10, v1 src0_sel:WORD_0 src1_sel:DWORD
	s_nop 1
	v_cndmask_b32_e32 v9, v9, v10, vcc
; %bb.51:                               ;   in Loop: Header=BB169_12 Depth=1
	s_or_b64 exec, exec, s[30:31]
	v_lshl_add_u64 v[12:13], v[0:1], 1, s[18:19]
	global_store_short_d16_hi v[12:13], v9, off
	s_or_b64 exec, exec, s[28:29]
	v_cmp_ne_u32_e32 vcc, 0, v5
	s_and_b64 exec, exec, vcc
	s_cbranch_execz .LBB169_57
.LBB169_52:                             ;   in Loop: Header=BB169_12 Depth=1
	v_cvt_f32_i32_e32 v0, v8
	v_add_f32_e32 v0, v7, v0
	s_waitcnt vmcnt(0)
	v_lshlrev_b32_e32 v7, 16, v11
	v_add_f32_e32 v7, v0, v7
	v_and_b32_e32 v0, 0x7f800000, v7
	v_cmp_ne_u32_e32 vcc, s46, v0
                                        ; implicit-def: $vgpr0
	s_and_saveexec_b64 s[28:29], vcc
	s_xor_b64 s[28:29], exec, s[28:29]
; %bb.53:                               ;   in Loop: Header=BB169_12 Depth=1
	v_bfe_u32 v0, v7, 16, 1
	v_add3_u32 v0, v7, v0, s47
                                        ; implicit-def: $vgpr7
; %bb.54:                               ;   in Loop: Header=BB169_12 Depth=1
	s_andn2_saveexec_b64 s[28:29], s[28:29]
; %bb.55:                               ;   in Loop: Header=BB169_12 Depth=1
	v_or_b32_e32 v0, 0x10000, v7
	v_cmp_eq_u32_sdwa vcc, v7, v1 src0_sel:WORD_0 src1_sel:DWORD
	s_nop 1
	v_cndmask_b32_e32 v0, v0, v7, vcc
; %bb.56:                               ;   in Loop: Header=BB169_12 Depth=1
	s_or_b64 exec, exec, s[28:29]
	v_mov_b32_e32 v7, v1
	v_lshl_add_u64 v[6:7], v[6:7], 1, s[18:19]
	global_store_short_d16_hi v[6:7], v0, off
.LBB169_57:                             ;   in Loop: Header=BB169_12 Depth=1
	s_or_b64 exec, exec, s[8:9]
	v_add_u32_e32 v42, s43, v42
	v_add_u32_e32 v0, 4, v42
	v_cmp_gt_u32_e32 vcc, s23, v42
	v_cmp_le_u32_e64 s[8:9], s23, v0
	s_and_b64 s[8:9], vcc, s[8:9]
	s_and_saveexec_b64 s[28:29], s[8:9]
	s_cbranch_execz .LBB169_10
; %bb.58:                               ;   in Loop: Header=BB169_12 Depth=1
	v_cmp_ne_u32_e32 vcc, s44, v42
	s_and_saveexec_b64 s[30:31], vcc
	s_cbranch_execz .LBB169_9
; %bb.59:                               ;   in Loop: Header=BB169_12 Depth=1
	v_subrev_u32_e32 v0, s44, v42
	v_cmp_lt_u32_e32 vcc, 1, v0
	s_mov_b64 s[34:35], 0
	s_mov_b64 s[36:37], 0
	v_cndmask_b32_e32 v0, 1, v0, vcc
.LBB169_60:                             ;   Parent Loop BB169_12 Depth=1
                                        ; =>  This Inner Loop Header: Depth=2
	s_cmp_lg_u32 s36, 3
	s_cselect_b64 vcc, -1, 0
	s_cmp_lg_u32 s36, 2
	v_cndmask_b32_e32 v5, 0, v5, vcc
	s_cselect_b64 vcc, -1, 0
	s_cmp_lg_u32 s36, 1
	v_cndmask_b32_e32 v4, 0, v4, vcc
	;; [unrolled: 3-line block ×3, first 2 shown]
	s_cselect_b64 vcc, -1, 0
	s_add_u32 s36, s36, 1
	s_addc_u32 s37, s37, 0
	v_cmp_eq_u32_e64 s[8:9], s36, v0
	s_or_b64 s[34:35], s[8:9], s[34:35]
	v_cndmask_b32_e32 v2, 0, v2, vcc
	s_andn2_b64 exec, exec, s[34:35]
	s_cbranch_execnz .LBB169_60
; %bb.61:                               ;   in Loop: Header=BB169_12 Depth=1
	s_or_b64 exec, exec, s[34:35]
	s_branch .LBB169_9
.LBB169_62:
	s_endpgm
	.section	.rodata,"a",@progbits
	.p2align	6, 0x0
	.amdhsa_kernel _Z16wvSplitK_hf_big_I14__hip_bfloat16Li32ELi4ELi16ELi8ELi1ELi1EEviiiiiiPKT_S3_S3_PS1_ii
		.amdhsa_group_segment_fixed_size 65536
		.amdhsa_private_segment_fixed_size 0
		.amdhsa_kernarg_size 64
		.amdhsa_user_sgpr_count 2
		.amdhsa_user_sgpr_dispatch_ptr 0
		.amdhsa_user_sgpr_queue_ptr 0
		.amdhsa_user_sgpr_kernarg_segment_ptr 1
		.amdhsa_user_sgpr_dispatch_id 0
		.amdhsa_user_sgpr_kernarg_preload_length 0
		.amdhsa_user_sgpr_kernarg_preload_offset 0
		.amdhsa_user_sgpr_private_segment_size 0
		.amdhsa_uses_dynamic_stack 0
		.amdhsa_enable_private_segment 0
		.amdhsa_system_sgpr_workgroup_id_x 1
		.amdhsa_system_sgpr_workgroup_id_y 0
		.amdhsa_system_sgpr_workgroup_id_z 0
		.amdhsa_system_sgpr_workgroup_info 0
		.amdhsa_system_vgpr_workitem_id 1
		.amdhsa_next_free_vgpr 56
		.amdhsa_next_free_sgpr 50
		.amdhsa_accum_offset 56
		.amdhsa_reserve_vcc 1
		.amdhsa_float_round_mode_32 0
		.amdhsa_float_round_mode_16_64 0
		.amdhsa_float_denorm_mode_32 3
		.amdhsa_float_denorm_mode_16_64 3
		.amdhsa_dx10_clamp 1
		.amdhsa_ieee_mode 1
		.amdhsa_fp16_overflow 0
		.amdhsa_tg_split 0
		.amdhsa_exception_fp_ieee_invalid_op 0
		.amdhsa_exception_fp_denorm_src 0
		.amdhsa_exception_fp_ieee_div_zero 0
		.amdhsa_exception_fp_ieee_overflow 0
		.amdhsa_exception_fp_ieee_underflow 0
		.amdhsa_exception_fp_ieee_inexact 0
		.amdhsa_exception_int_div_zero 0
	.end_amdhsa_kernel
	.section	.text._Z16wvSplitK_hf_big_I14__hip_bfloat16Li32ELi4ELi16ELi8ELi1ELi1EEviiiiiiPKT_S3_S3_PS1_ii,"axG",@progbits,_Z16wvSplitK_hf_big_I14__hip_bfloat16Li32ELi4ELi16ELi8ELi1ELi1EEviiiiiiPKT_S3_S3_PS1_ii,comdat
.Lfunc_end169:
	.size	_Z16wvSplitK_hf_big_I14__hip_bfloat16Li32ELi4ELi16ELi8ELi1ELi1EEviiiiiiPKT_S3_S3_PS1_ii, .Lfunc_end169-_Z16wvSplitK_hf_big_I14__hip_bfloat16Li32ELi4ELi16ELi8ELi1ELi1EEviiiiiiPKT_S3_S3_PS1_ii
                                        ; -- End function
	.section	.AMDGPU.csdata,"",@progbits
; Kernel info:
; codeLenInByte = 2860
; NumSgprs: 56
; NumVgprs: 56
; NumAgprs: 0
; TotalNumVgprs: 56
; ScratchSize: 0
; MemoryBound: 0
; FloatMode: 240
; IeeeMode: 1
; LDSByteSize: 65536 bytes/workgroup (compile time only)
; SGPRBlocks: 6
; VGPRBlocks: 6
; NumSGPRsForWavesPerEU: 56
; NumVGPRsForWavesPerEU: 56
; AccumOffset: 56
; Occupancy: 2
; WaveLimiterHint : 0
; COMPUTE_PGM_RSRC2:SCRATCH_EN: 0
; COMPUTE_PGM_RSRC2:USER_SGPR: 2
; COMPUTE_PGM_RSRC2:TRAP_HANDLER: 0
; COMPUTE_PGM_RSRC2:TGID_X_EN: 1
; COMPUTE_PGM_RSRC2:TGID_Y_EN: 0
; COMPUTE_PGM_RSRC2:TGID_Z_EN: 0
; COMPUTE_PGM_RSRC2:TIDIG_COMP_CNT: 1
; COMPUTE_PGM_RSRC3_GFX90A:ACCUM_OFFSET: 13
; COMPUTE_PGM_RSRC3_GFX90A:TG_SPLIT: 0
	.section	.text._Z16wvSplitK_hf_sml_I14__hip_bfloat16Li32ELi4ELi16ELi8ELi2ELi1EEviiiiiiPKT_S3_S3_PS1_ii,"axG",@progbits,_Z16wvSplitK_hf_sml_I14__hip_bfloat16Li32ELi4ELi16ELi8ELi2ELi1EEviiiiiiPKT_S3_S3_PS1_ii,comdat
	.protected	_Z16wvSplitK_hf_sml_I14__hip_bfloat16Li32ELi4ELi16ELi8ELi2ELi1EEviiiiiiPKT_S3_S3_PS1_ii ; -- Begin function _Z16wvSplitK_hf_sml_I14__hip_bfloat16Li32ELi4ELi16ELi8ELi2ELi1EEviiiiiiPKT_S3_S3_PS1_ii
	.globl	_Z16wvSplitK_hf_sml_I14__hip_bfloat16Li32ELi4ELi16ELi8ELi2ELi1EEviiiiiiPKT_S3_S3_PS1_ii
	.p2align	8
	.type	_Z16wvSplitK_hf_sml_I14__hip_bfloat16Li32ELi4ELi16ELi8ELi2ELi1EEviiiiiiPKT_S3_S3_PS1_ii,@function
_Z16wvSplitK_hf_sml_I14__hip_bfloat16Li32ELi4ELi16ELi8ELi2ELi1EEviiiiiiPKT_S3_S3_PS1_ii: ; @_Z16wvSplitK_hf_sml_I14__hip_bfloat16Li32ELi4ELi16ELi8ELi2ELi1EEviiiiiiPKT_S3_S3_PS1_ii
; %bb.0:
	s_load_dwordx4 s[8:11], s[0:1], 0x0
	v_and_b32_e32 v4, 0x3ff, v0
	v_bfe_u32 v5, v0, 10, 10
	v_lshlrev_b32_e32 v68, 3, v4
	v_lshl_add_u32 v6, v5, 8, v68
	s_waitcnt lgkmcnt(0)
	s_min_u32 s3, s10, 0x8000
	v_cmp_gt_u32_e32 vcc, s3, v6
	s_and_saveexec_b64 s[4:5], vcc
	s_cbranch_execz .LBB170_9
; %bb.1:
	s_load_dwordx2 s[6:7], s[0:1], 0x20
	v_lshlrev_b32_e32 v0, 1, v6
	v_add_u32_e32 v1, 0x1000, v6
	v_cmp_gt_u32_e32 vcc, s3, v1
	s_waitcnt lgkmcnt(0)
	global_load_dwordx4 v[8:11], v0, s[6:7]
	s_waitcnt vmcnt(0)
	ds_write_b128 v0, v[8:11]
	s_and_saveexec_b64 s[12:13], vcc
	s_xor_b64 s[12:13], exec, s[12:13]
	s_cbranch_execz .LBB170_9
; %bb.2:
	v_mov_b32_e32 v1, 0
	v_lshl_add_u64 v[2:3], s[6:7], 0, v[0:1]
	v_add_co_u32_e32 v8, vcc, 0x2000, v2
	v_add_u32_e32 v1, 0x2000, v6
	s_nop 0
	v_addc_co_u32_e32 v9, vcc, 0, v3, vcc
	global_load_dwordx4 v[8:11], v[8:9], off
	v_cmp_gt_u32_e32 vcc, s3, v1
	s_waitcnt vmcnt(0)
	ds_write_b128 v0, v[8:11] offset:8192
	s_and_saveexec_b64 s[6:7], vcc
	s_xor_b64 s[6:7], exec, s[6:7]
	s_cbranch_execz .LBB170_9
; %bb.3:
	v_add_co_u32_e32 v8, vcc, 0x4000, v2
	v_add_u32_e32 v1, 0x3000, v6
	s_nop 0
	v_addc_co_u32_e32 v9, vcc, 0, v3, vcc
	global_load_dwordx4 v[8:11], v[8:9], off
	v_cmp_gt_u32_e32 vcc, s3, v1
	s_waitcnt vmcnt(0)
	ds_write_b128 v0, v[8:11] offset:16384
	s_and_saveexec_b64 s[6:7], vcc
	s_xor_b64 s[6:7], exec, s[6:7]
	s_cbranch_execz .LBB170_9
; %bb.4:
	;; [unrolled: 12-line block ×6, first 2 shown]
	v_add_co_u32_e32 v2, vcc, 0xe000, v2
	s_nop 1
	v_addc_co_u32_e32 v3, vcc, 0, v3, vcc
	global_load_dwordx4 v[6:9], v[2:3], off
	s_waitcnt vmcnt(0)
	ds_write_b128 v0, v[6:9] offset:57344
.LBB170_9:
	s_or_b64 exec, exec, s[4:5]
	s_load_dwordx2 s[4:5], s[0:1], 0x38
	s_waitcnt lgkmcnt(0)
	s_barrier
	v_cmp_gt_u32_e32 vcc, s4, v5
	s_and_saveexec_b64 s[6:7], vcc
	s_cbranch_execz .LBB170_40
; %bb.10:
	s_load_dword s10, s[0:1], 0x10
	s_mul_i32 s2, s2, s4
	v_add_lshl_u32 v56, s2, v5, 2
	v_cmp_gt_u32_e32 vcc, s11, v56
	s_and_b64 exec, exec, vcc
	s_cbranch_execz .LBB170_40
; %bb.11:
	s_waitcnt lgkmcnt(0)
	v_cvt_f32_u32_e32 v0, s10
	s_load_dwordx4 s[12:15], s[0:1], 0x28
	s_load_dwordx2 s[6:7], s[0:1], 0x18
	s_cmp_lg_u32 s8, 0
	s_cselect_b64 s[2:3], -1, 0
	v_rcp_iflag_f32_e32 v0, v0
	s_add_i32 s22, s8, -8
	s_add_i32 s23, s11, -1
	s_mul_i32 s18, s4, s5
	v_mul_f32_e32 v0, 0x4f7ffffe, v0
	v_cvt_u32_f32_e32 v0, v0
	s_waitcnt lgkmcnt(0)
	s_cmp_lg_u64 s[12:13], 0
	s_cselect_b64 s[4:5], -1, 0
	s_lshl_b32 s24, s18, 2
	s_sub_i32 s18, 0, s10
	v_mul_lo_u32 v1, s18, v0
	v_mul_hi_u32 v1, v0, v1
	v_add_u32_e32 v69, v0, v1
	v_cndmask_b32_e64 v0, 0, 1, s[2:3]
	v_cmp_ne_u32_e64 s[2:3], 1, v0
	v_cndmask_b32_e64 v0, 0, 1, s[4:5]
	v_cmp_eq_u32_e64 s[0:1], 31, v4
	s_mov_b64 s[16:17], 0
	v_mov_b32_e32 v59, 0
	v_lshlrev_b32_e32 v70, 4, v4
	v_cmp_ne_u32_e64 s[4:5], 1, v0
	s_mov_b32 s25, 0x7f800000
	s_movk_i32 s26, 0x7fff
	s_branch .LBB170_14
.LBB170_12:                             ;   in Loop: Header=BB170_14 Depth=1
	s_or_b64 exec, exec, s[20:21]
	global_store_short_d16_hi v[0:1], v3, off offset:6
.LBB170_13:                             ;   in Loop: Header=BB170_14 Depth=1
	s_or_b64 exec, exec, s[18:19]
	v_add_u32_e32 v56, s24, v56
	v_cmp_le_u32_e32 vcc, s11, v56
	s_or_b64 s[16:17], vcc, s[16:17]
	s_andn2_b64 exec, exec, s[16:17]
	s_cbranch_execz .LBB170_40
.LBB170_14:                             ; =>This Loop Header: Depth=1
                                        ;     Child Loop BB170_18 Depth 2
	s_and_b64 vcc, exec, s[2:3]
	v_mov_b32_e32 v3, v59
	v_mov_b32_e32 v2, v59
	;; [unrolled: 1-line block ×16, first 2 shown]
	s_cbranch_vccnz .LBB170_21
; %bb.15:                               ;   in Loop: Header=BB170_14 Depth=1
	v_min_u32_e32 v0, s23, v56
	v_mul_lo_u32 v58, v0, s9
	v_or_b32_e32 v0, 1, v56
	v_or_b32_e32 v2, 2, v56
	;; [unrolled: 1-line block ×3, first 2 shown]
	v_min_u32_e32 v0, s23, v0
	v_min_u32_e32 v2, s23, v2
	;; [unrolled: 1-line block ×3, first 2 shown]
	v_mul_lo_u32 v0, v0, s9
	v_mov_b32_e32 v1, v59
	v_mul_lo_u32 v2, v2, s9
	v_mov_b32_e32 v3, v59
	;; [unrolled: 2-line block ×3, first 2 shown]
	v_mov_b32_e32 v12, 0
	s_mov_b32 s27, 0
	v_lshlrev_b64 v[60:61], 1, v[58:59]
	v_lshlrev_b64 v[62:63], 1, v[0:1]
	;; [unrolled: 1-line block ×4, first 2 shown]
	v_mov_b32_e32 v57, v70
	v_mov_b32_e32 v13, v12
	;; [unrolled: 1-line block ×16, first 2 shown]
	s_branch .LBB170_18
.LBB170_16:                             ;   in Loop: Header=BB170_18 Depth=2
	s_or_b64 exec, exec, s[20:21]
.LBB170_17:                             ;   in Loop: Header=BB170_18 Depth=2
	s_or_b64 exec, exec, s[18:19]
	s_waitcnt vmcnt(7) lgkmcnt(0)
	v_mfma_f32_4x4x4_16b_bf16 v[12:15], v[52:53], v[48:49], v[12:15]
	s_addk_i32 s27, 0x200
	s_waitcnt vmcnt(6)
	v_mfma_f32_4x4x4_16b_bf16 v[8:11], v[52:53], v[44:45], v[8:11]
	v_add_u32_e32 v57, 0x400, v57
	s_waitcnt vmcnt(5)
	v_mfma_f32_4x4x4_16b_bf16 v[4:7], v[52:53], v[40:41], v[4:7]
	s_cmp_ge_u32 s27, s8
	s_waitcnt vmcnt(4)
	v_mfma_f32_4x4x4_16b_bf16 v[0:3], v[52:53], v[32:33], v[0:3]
	v_mfma_f32_4x4x4_16b_bf16 v[12:15], v[54:55], v[50:51], v[12:15]
	;; [unrolled: 1-line block ×5, first 2 shown]
	s_waitcnt vmcnt(3)
	v_mfma_f32_4x4x4_16b_bf16 v[12:15], v[20:21], v[36:37], v[12:15]
	s_waitcnt vmcnt(2)
	v_mfma_f32_4x4x4_16b_bf16 v[8:11], v[20:21], v[28:29], v[8:11]
	s_waitcnt vmcnt(1)
	v_mfma_f32_4x4x4_16b_bf16 v[4:7], v[20:21], v[24:25], v[4:7]
	s_waitcnt vmcnt(0)
	v_mfma_f32_4x4x4_16b_bf16 v[0:3], v[20:21], v[16:17], v[0:3]
	v_mfma_f32_4x4x4_16b_bf16 v[12:15], v[22:23], v[38:39], v[12:15]
	v_mfma_f32_4x4x4_16b_bf16 v[8:11], v[22:23], v[30:31], v[8:11]
	;; [unrolled: 1-line block ×4, first 2 shown]
	s_cbranch_scc1 .LBB170_21
.LBB170_18:                             ;   Parent Loop BB170_14 Depth=1
                                        ; =>  This Inner Loop Header: Depth=2
	v_add_u32_e32 v52, s27, v68
	v_min_u32_e32 v58, s22, v52
	v_lshl_add_u64 v[16:17], v[58:59], 1, s[6:7]
	v_lshl_add_u64 v[18:19], v[16:17], 0, v[60:61]
	v_add_u32_e32 v71, 0x100, v52
	v_lshl_add_u64 v[20:21], v[16:17], 0, v[62:63]
	global_load_dwordx4 v[48:51], v[18:19], off nt
	global_load_dwordx4 v[44:47], v[20:21], off nt
	v_lshl_add_u64 v[18:19], v[16:17], 0, v[64:65]
	v_lshl_add_u64 v[16:17], v[16:17], 0, v[66:67]
	v_min_u32_e32 v58, s22, v71
	global_load_dwordx4 v[40:43], v[18:19], off nt
	global_load_dwordx4 v[32:35], v[16:17], off nt
	v_lshl_add_u64 v[16:17], v[58:59], 1, s[6:7]
	v_lshl_add_u64 v[18:19], v[16:17], 0, v[60:61]
	;; [unrolled: 1-line block ×3, first 2 shown]
	global_load_dwordx4 v[36:39], v[18:19], off nt
	global_load_dwordx4 v[28:31], v[20:21], off nt
	v_lshl_add_u64 v[20:21], v[16:17], 0, v[64:65]
	v_lshl_add_u64 v[22:23], v[16:17], 0, v[66:67]
	global_load_dwordx4 v[24:27], v[20:21], off nt
	global_load_dwordx4 v[16:19], v[22:23], off nt
	v_cmp_gt_u32_e32 vcc, s8, v52
	v_mov_b32_e32 v52, 0
	v_mov_b32_e32 v53, 0
	;; [unrolled: 1-line block ×8, first 2 shown]
	s_and_saveexec_b64 s[18:19], vcc
	s_cbranch_execz .LBB170_17
; %bb.19:                               ;   in Loop: Header=BB170_18 Depth=2
	ds_read_b128 v[52:55], v57
	v_cmp_gt_u32_e32 vcc, s8, v71
	v_mov_b32_e32 v23, 0
	v_mov_b32_e32 v22, 0
	;; [unrolled: 1-line block ×4, first 2 shown]
	s_and_saveexec_b64 s[20:21], vcc
	s_cbranch_execz .LBB170_16
; %bb.20:                               ;   in Loop: Header=BB170_18 Depth=2
	ds_read_b128 v[20:23], v57 offset:512
	s_branch .LBB170_16
.LBB170_21:                             ;   in Loop: Header=BB170_14 Depth=1
	; sched_barrier mask(0x00000000)
	s_nop 0
	v_cvt_i32_f32_e32 v13, v13
	v_cvt_i32_f32_e32 v14, v14
	;; [unrolled: 1-line block ×4, first 2 shown]
	v_cvt_f32_i32_dpp v13, v13 row_shl:1 row_mask:0xf bank_mask:0xf bound_ctrl:1
	v_cvt_f32_i32_dpp v14, v14 row_shl:2 row_mask:0xf bank_mask:0xf bound_ctrl:1
	v_cvt_i32_f32_e32 v10, v10
	v_cvt_f32_i32_dpp v15, v15 row_shl:3 row_mask:0xf bank_mask:0xf bound_ctrl:1
	v_cvt_i32_f32_e32 v11, v11
	v_cvt_i32_f32_e32 v5, v5
	v_add_f32_e32 v12, v12, v13
	v_cvt_f32_i32_dpp v9, v9 row_shl:1 row_mask:0xf bank_mask:0xf bound_ctrl:1
	v_cvt_i32_f32_e32 v1, v1
	v_add_f32_e32 v12, v12, v14
	v_cvt_f32_i32_dpp v10, v10 row_shl:2 row_mask:0xf bank_mask:0xf bound_ctrl:1
	v_cvt_i32_f32_e32 v6, v6
	v_cvt_i32_f32_e32 v2, v2
	v_add_f32_e32 v12, v12, v15
	v_cvt_f32_i32_dpp v11, v11 row_shl:3 row_mask:0xf bank_mask:0xf bound_ctrl:1
	v_cvt_f32_i32_dpp v5, v5 row_shl:1 row_mask:0xf bank_mask:0xf bound_ctrl:1
	v_cvt_i32_f32_e32 v7, v7
	v_cvt_i32_f32_e32 v3, v3
	;; [unrolled: 1-line block ×3, first 2 shown]
	v_add_f32_e32 v8, v8, v9
	v_cvt_f32_i32_dpp v1, v1 row_shl:1 row_mask:0xf bank_mask:0xf bound_ctrl:1
	v_add_f32_e32 v8, v8, v10
	v_cvt_f32_i32_dpp v6, v6 row_shl:2 row_mask:0xf bank_mask:0xf bound_ctrl:1
	v_cvt_f32_i32_dpp v2, v2 row_shl:2 row_mask:0xf bank_mask:0xf bound_ctrl:1
	v_add_f32_e32 v8, v8, v11
	v_add_f32_e32 v4, v4, v5
	v_cvt_f32_i32_dpp v5, v7 row_shl:3 row_mask:0xf bank_mask:0xf bound_ctrl:1
	v_cvt_f32_i32_dpp v3, v3 row_shl:3 row_mask:0xf bank_mask:0xf bound_ctrl:1
	;; [unrolled: 1-line block ×3, first 2 shown]
	v_cvt_i32_f32_e32 v10, v8
	v_add_f32_e32 v0, v0, v1
	v_add_f32_e32 v4, v4, v6
	;; [unrolled: 1-line block ×6, first 2 shown]
	v_cvt_f32_i32_dpp v10, v10 row_shl:4 row_mask:0xf bank_mask:0xf bound_ctrl:1
	v_cvt_i32_f32_e32 v5, v4
	v_cvt_i32_f32_e32 v1, v0
	;; [unrolled: 1-line block ×3, first 2 shown]
	v_add_f32_e32 v8, v8, v10
	v_cvt_f32_i32_dpp v3, v5 row_shl:4 row_mask:0xf bank_mask:0xf bound_ctrl:1
	v_cvt_f32_i32_dpp v1, v1 row_shl:4 row_mask:0xf bank_mask:0xf bound_ctrl:1
	;; [unrolled: 1-line block ×3, first 2 shown]
	v_cvt_i32_f32_e32 v10, v8
	v_add_f32_e32 v3, v4, v3
	v_add_f32_e32 v0, v0, v1
	;; [unrolled: 1-line block ×3, first 2 shown]
	v_cvt_f32_i32_dpp v2, v10 row_shl:8 row_mask:0xf bank_mask:0xf bound_ctrl:1
	v_cvt_i32_f32_e32 v4, v3
	v_cvt_i32_f32_e32 v1, v0
	v_cvt_i32_f32_e32 v9, v9
	v_add_f32_e32 v2, v8, v2
	v_cvt_f32_i32_dpp v4, v4 row_shl:8 row_mask:0xf bank_mask:0xf bound_ctrl:1
	v_cvt_f32_i32_dpp v1, v1 row_shl:8 row_mask:0xf bank_mask:0xf bound_ctrl:1
	v_cvt_f32_i32_dpp v5, v9 row_shr:15 row_mask:0xf bank_mask:0xf bound_ctrl:1
	v_cvt_i32_f32_e32 v2, v2
	v_add_f32_e32 v3, v3, v4
	v_add_f32_e32 v0, v0, v1
	v_cvt_i32_f32_e32 v6, v5
	v_cvt_f32_i32_dpp v2, v2 row_shr:15 row_mask:0xf bank_mask:0xf bound_ctrl:1
	v_cvt_i32_f32_e32 v3, v3
	v_cvt_i32_f32_e32 v0, v0
	v_cvt_f32_i32_dpp v1, v6 row_bcast:15 row_mask:0xf bank_mask:0xf bound_ctrl:1
	v_cvt_i32_f32_e32 v4, v2
	v_cvt_f32_i32_dpp v3, v3 row_shr:15 row_mask:0xf bank_mask:0xf bound_ctrl:1
	v_cvt_f32_i32_dpp v0, v0 row_shr:15 row_mask:0xf bank_mask:0xf bound_ctrl:1
	v_add_f32_e32 v1, v5, v1
	v_cvt_f32_i32_dpp v4, v4 row_bcast:15 row_mask:0xf bank_mask:0xf bound_ctrl:1
	v_cvt_i32_f32_e32 v5, v3
	v_cvt_i32_f32_e32 v7, v0
	;; [unrolled: 1-line block ×3, first 2 shown]
	v_add_f32_e32 v6, v2, v4
	v_cvt_f32_i32_dpp v5, v5 row_bcast:15 row_mask:0xf bank_mask:0xf bound_ctrl:1
	v_cvt_f32_i32_dpp v2, v7 row_bcast:15 row_mask:0xf bank_mask:0xf bound_ctrl:1
	v_cvt_i32_f32_e32 v7, v6
	v_mov_b32_dpp v9, v8 row_bcast:31 row_mask:0xf bank_mask:0xf bound_ctrl:1
	v_add_f32_e32 v4, v3, v5
	v_add_f32_e32 v2, v0, v2
	v_cvt_i32_f32_e32 v3, v4
	v_cvt_i32_f32_e32 v10, v2
	v_mov_b32_dpp v0, v7 row_bcast:31 row_mask:0xf bank_mask:0xf bound_ctrl:1
	v_mov_b32_dpp v5, v3 row_bcast:31 row_mask:0xf bank_mask:0xf bound_ctrl:1
	;; [unrolled: 1-line block ×3, first 2 shown]
	s_and_saveexec_b64 s[18:19], s[0:1]
	s_cbranch_execz .LBB170_13
; %bb.22:                               ;   in Loop: Header=BB170_14 Depth=1
	s_and_b64 vcc, exec, s[4:5]
	v_mov_b32_e32 v7, 0
	v_mov_b32_e32 v8, 0
	;; [unrolled: 1-line block ×4, first 2 shown]
	s_cbranch_vccnz .LBB170_24
; %bb.23:                               ;   in Loop: Header=BB170_14 Depth=1
	v_mul_hi_u32 v7, v56, v69
	v_mul_lo_u32 v7, v7, s10
	v_sub_u32_e32 v7, v56, v7
	v_subrev_u32_e32 v8, s10, v7
	v_cmp_le_u32_e32 vcc, s10, v7
	s_nop 1
	v_cndmask_b32_e32 v7, v7, v8, vcc
	v_subrev_u32_e32 v8, s10, v7
	v_cmp_le_u32_e32 vcc, s10, v7
	s_nop 1
	v_cndmask_b32_e32 v58, v7, v8, vcc
	v_or_b32_e32 v7, 1, v56
	v_mul_hi_u32 v8, v7, v69
	v_mul_lo_u32 v8, v8, s10
	v_sub_u32_e32 v7, v7, v8
	v_subrev_u32_e32 v8, s10, v7
	v_cmp_le_u32_e32 vcc, s10, v7
	v_lshl_add_u64 v[12:13], v[58:59], 1, s[12:13]
	s_nop 0
	v_cndmask_b32_e32 v7, v7, v8, vcc
	v_subrev_u32_e32 v8, s10, v7
	v_cmp_le_u32_e32 vcc, s10, v7
	s_nop 1
	v_cndmask_b32_e32 v58, v7, v8, vcc
	v_or_b32_e32 v7, 2, v56
	v_mul_hi_u32 v8, v7, v69
	v_mul_lo_u32 v8, v8, s10
	v_sub_u32_e32 v7, v7, v8
	v_subrev_u32_e32 v8, s10, v7
	v_cmp_le_u32_e32 vcc, s10, v7
	v_lshl_add_u64 v[14:15], v[58:59], 1, s[12:13]
	s_nop 0
	v_cndmask_b32_e32 v7, v7, v8, vcc
	v_subrev_u32_e32 v8, s10, v7
	v_cmp_le_u32_e32 vcc, s10, v7
	s_nop 1
	v_cndmask_b32_e32 v58, v7, v8, vcc
	v_or_b32_e32 v7, 3, v56
	v_mul_hi_u32 v8, v7, v69
	v_mul_lo_u32 v8, v8, s10
	v_sub_u32_e32 v7, v7, v8
	v_subrev_u32_e32 v8, s10, v7
	v_cmp_le_u32_e32 vcc, s10, v7
	v_lshl_add_u64 v[16:17], v[58:59], 1, s[12:13]
	s_nop 0
	v_cndmask_b32_e32 v7, v7, v8, vcc
	v_subrev_u32_e32 v8, s10, v7
	v_cmp_le_u32_e32 vcc, s10, v7
	s_nop 1
	v_cndmask_b32_e32 v58, v7, v8, vcc
	v_lshl_add_u64 v[18:19], v[58:59], 1, s[12:13]
	global_load_ushort v11, v[12:13], off
	global_load_ushort v10, v[14:15], off
	;; [unrolled: 1-line block ×4, first 2 shown]
.LBB170_24:                             ;   in Loop: Header=BB170_14 Depth=1
	v_cvt_f32_i32_e32 v9, v9
	v_add_f32_e32 v1, v1, v9
	s_waitcnt vmcnt(3)
	v_lshlrev_b32_e32 v9, 16, v11
	v_add_f32_e32 v1, v1, v9
	v_and_b32_e32 v9, 0x7f800000, v1
	v_cmp_ne_u32_e32 vcc, s25, v9
                                        ; implicit-def: $vgpr9
	s_and_saveexec_b64 s[20:21], vcc
	s_xor_b64 s[20:21], exec, s[20:21]
; %bb.25:                               ;   in Loop: Header=BB170_14 Depth=1
	v_bfe_u32 v9, v1, 16, 1
	v_add3_u32 v9, v1, v9, s26
                                        ; implicit-def: $vgpr1
; %bb.26:                               ;   in Loop: Header=BB170_14 Depth=1
	s_andn2_saveexec_b64 s[20:21], s[20:21]
; %bb.27:                               ;   in Loop: Header=BB170_14 Depth=1
	v_or_b32_e32 v9, 0x10000, v1
	v_cmp_eq_u32_sdwa vcc, v1, v59 src0_sel:WORD_0 src1_sel:DWORD
	s_nop 1
	v_cndmask_b32_e32 v9, v9, v1, vcc
; %bb.28:                               ;   in Loop: Header=BB170_14 Depth=1
	s_or_b64 exec, exec, s[20:21]
	v_cvt_f32_i32_e32 v11, v0
	v_mov_b32_e32 v57, v59
	v_lshl_add_u64 v[0:1], v[56:57], 1, s[14:15]
	global_store_short_d16_hi v[0:1], v9, off
	v_add_f32_e32 v6, v6, v11
	s_waitcnt vmcnt(3)
	v_lshlrev_b32_e32 v9, 16, v10
	v_add_f32_e32 v6, v6, v9
	v_and_b32_e32 v9, 0x7f800000, v6
	v_cmp_ne_u32_e32 vcc, s25, v9
                                        ; implicit-def: $vgpr9
	s_and_saveexec_b64 s[20:21], vcc
	s_xor_b64 s[20:21], exec, s[20:21]
; %bb.29:                               ;   in Loop: Header=BB170_14 Depth=1
	v_bfe_u32 v9, v6, 16, 1
	v_add3_u32 v9, v6, v9, s26
                                        ; implicit-def: $vgpr6
; %bb.30:                               ;   in Loop: Header=BB170_14 Depth=1
	s_andn2_saveexec_b64 s[20:21], s[20:21]
; %bb.31:                               ;   in Loop: Header=BB170_14 Depth=1
	v_or_b32_e32 v9, 0x10000, v6
	v_cmp_eq_u32_sdwa vcc, v6, v59 src0_sel:WORD_0 src1_sel:DWORD
	s_nop 1
	v_cndmask_b32_e32 v9, v9, v6, vcc
; %bb.32:                               ;   in Loop: Header=BB170_14 Depth=1
	s_or_b64 exec, exec, s[20:21]
	v_cvt_f32_i32_e32 v5, v5
	global_store_short_d16_hi v[0:1], v9, off offset:2
	v_add_f32_e32 v4, v4, v5
	s_waitcnt vmcnt(3)
	v_lshlrev_b32_e32 v5, 16, v8
	v_add_f32_e32 v4, v4, v5
	v_and_b32_e32 v5, 0x7f800000, v4
	v_cmp_ne_u32_e32 vcc, s25, v5
                                        ; implicit-def: $vgpr5
	s_and_saveexec_b64 s[20:21], vcc
	s_xor_b64 s[20:21], exec, s[20:21]
; %bb.33:                               ;   in Loop: Header=BB170_14 Depth=1
	v_bfe_u32 v5, v4, 16, 1
	v_add3_u32 v5, v4, v5, s26
                                        ; implicit-def: $vgpr4
; %bb.34:                               ;   in Loop: Header=BB170_14 Depth=1
	s_andn2_saveexec_b64 s[20:21], s[20:21]
; %bb.35:                               ;   in Loop: Header=BB170_14 Depth=1
	v_or_b32_e32 v5, 0x10000, v4
	v_cmp_eq_u32_sdwa vcc, v4, v59 src0_sel:WORD_0 src1_sel:DWORD
	s_nop 1
	v_cndmask_b32_e32 v5, v5, v4, vcc
; %bb.36:                               ;   in Loop: Header=BB170_14 Depth=1
	s_or_b64 exec, exec, s[20:21]
	v_cvt_f32_i32_e32 v3, v3
	global_store_short_d16_hi v[0:1], v5, off offset:4
	v_add_f32_e32 v2, v2, v3
	s_waitcnt vmcnt(3)
	v_lshlrev_b32_e32 v3, 16, v7
	v_add_f32_e32 v2, v2, v3
	v_and_b32_e32 v3, 0x7f800000, v2
	v_cmp_ne_u32_e32 vcc, s25, v3
                                        ; implicit-def: $vgpr3
	s_and_saveexec_b64 s[20:21], vcc
	s_xor_b64 s[20:21], exec, s[20:21]
; %bb.37:                               ;   in Loop: Header=BB170_14 Depth=1
	v_bfe_u32 v3, v2, 16, 1
	v_add3_u32 v3, v2, v3, s26
                                        ; implicit-def: $vgpr2
; %bb.38:                               ;   in Loop: Header=BB170_14 Depth=1
	s_andn2_saveexec_b64 s[20:21], s[20:21]
	s_cbranch_execz .LBB170_12
; %bb.39:                               ;   in Loop: Header=BB170_14 Depth=1
	v_or_b32_e32 v3, 0x10000, v2
	v_cmp_eq_u32_sdwa vcc, v2, v59 src0_sel:WORD_0 src1_sel:DWORD
	s_nop 1
	v_cndmask_b32_e32 v3, v3, v2, vcc
	s_branch .LBB170_12
.LBB170_40:
	s_endpgm
	.section	.rodata,"a",@progbits
	.p2align	6, 0x0
	.amdhsa_kernel _Z16wvSplitK_hf_sml_I14__hip_bfloat16Li32ELi4ELi16ELi8ELi2ELi1EEviiiiiiPKT_S3_S3_PS1_ii
		.amdhsa_group_segment_fixed_size 65536
		.amdhsa_private_segment_fixed_size 0
		.amdhsa_kernarg_size 64
		.amdhsa_user_sgpr_count 2
		.amdhsa_user_sgpr_dispatch_ptr 0
		.amdhsa_user_sgpr_queue_ptr 0
		.amdhsa_user_sgpr_kernarg_segment_ptr 1
		.amdhsa_user_sgpr_dispatch_id 0
		.amdhsa_user_sgpr_kernarg_preload_length 0
		.amdhsa_user_sgpr_kernarg_preload_offset 0
		.amdhsa_user_sgpr_private_segment_size 0
		.amdhsa_uses_dynamic_stack 0
		.amdhsa_enable_private_segment 0
		.amdhsa_system_sgpr_workgroup_id_x 1
		.amdhsa_system_sgpr_workgroup_id_y 0
		.amdhsa_system_sgpr_workgroup_id_z 0
		.amdhsa_system_sgpr_workgroup_info 0
		.amdhsa_system_vgpr_workitem_id 1
		.amdhsa_next_free_vgpr 72
		.amdhsa_next_free_sgpr 28
		.amdhsa_accum_offset 72
		.amdhsa_reserve_vcc 1
		.amdhsa_float_round_mode_32 0
		.amdhsa_float_round_mode_16_64 0
		.amdhsa_float_denorm_mode_32 3
		.amdhsa_float_denorm_mode_16_64 3
		.amdhsa_dx10_clamp 1
		.amdhsa_ieee_mode 1
		.amdhsa_fp16_overflow 0
		.amdhsa_tg_split 0
		.amdhsa_exception_fp_ieee_invalid_op 0
		.amdhsa_exception_fp_denorm_src 0
		.amdhsa_exception_fp_ieee_div_zero 0
		.amdhsa_exception_fp_ieee_overflow 0
		.amdhsa_exception_fp_ieee_underflow 0
		.amdhsa_exception_fp_ieee_inexact 0
		.amdhsa_exception_int_div_zero 0
	.end_amdhsa_kernel
	.section	.text._Z16wvSplitK_hf_sml_I14__hip_bfloat16Li32ELi4ELi16ELi8ELi2ELi1EEviiiiiiPKT_S3_S3_PS1_ii,"axG",@progbits,_Z16wvSplitK_hf_sml_I14__hip_bfloat16Li32ELi4ELi16ELi8ELi2ELi1EEviiiiiiPKT_S3_S3_PS1_ii,comdat
.Lfunc_end170:
	.size	_Z16wvSplitK_hf_sml_I14__hip_bfloat16Li32ELi4ELi16ELi8ELi2ELi1EEviiiiiiPKT_S3_S3_PS1_ii, .Lfunc_end170-_Z16wvSplitK_hf_sml_I14__hip_bfloat16Li32ELi4ELi16ELi8ELi2ELi1EEviiiiiiPKT_S3_S3_PS1_ii
                                        ; -- End function
	.section	.AMDGPU.csdata,"",@progbits
; Kernel info:
; codeLenInByte = 2688
; NumSgprs: 34
; NumVgprs: 72
; NumAgprs: 0
; TotalNumVgprs: 72
; ScratchSize: 0
; MemoryBound: 0
; FloatMode: 240
; IeeeMode: 1
; LDSByteSize: 65536 bytes/workgroup (compile time only)
; SGPRBlocks: 4
; VGPRBlocks: 8
; NumSGPRsForWavesPerEU: 34
; NumVGPRsForWavesPerEU: 72
; AccumOffset: 72
; Occupancy: 2
; WaveLimiterHint : 0
; COMPUTE_PGM_RSRC2:SCRATCH_EN: 0
; COMPUTE_PGM_RSRC2:USER_SGPR: 2
; COMPUTE_PGM_RSRC2:TRAP_HANDLER: 0
; COMPUTE_PGM_RSRC2:TGID_X_EN: 1
; COMPUTE_PGM_RSRC2:TGID_Y_EN: 0
; COMPUTE_PGM_RSRC2:TGID_Z_EN: 0
; COMPUTE_PGM_RSRC2:TIDIG_COMP_CNT: 1
; COMPUTE_PGM_RSRC3_GFX90A:ACCUM_OFFSET: 17
; COMPUTE_PGM_RSRC3_GFX90A:TG_SPLIT: 0
	.section	.text._Z12wvSplitK_hf_I14__hip_bfloat16Li32ELi4ELi16ELi8ELi2ELi1EEviiiiiiPKT_S3_S3_PS1_ii,"axG",@progbits,_Z12wvSplitK_hf_I14__hip_bfloat16Li32ELi4ELi16ELi8ELi2ELi1EEviiiiiiPKT_S3_S3_PS1_ii,comdat
	.protected	_Z12wvSplitK_hf_I14__hip_bfloat16Li32ELi4ELi16ELi8ELi2ELi1EEviiiiiiPKT_S3_S3_PS1_ii ; -- Begin function _Z12wvSplitK_hf_I14__hip_bfloat16Li32ELi4ELi16ELi8ELi2ELi1EEviiiiiiPKT_S3_S3_PS1_ii
	.globl	_Z12wvSplitK_hf_I14__hip_bfloat16Li32ELi4ELi16ELi8ELi2ELi1EEviiiiiiPKT_S3_S3_PS1_ii
	.p2align	8
	.type	_Z12wvSplitK_hf_I14__hip_bfloat16Li32ELi4ELi16ELi8ELi2ELi1EEviiiiiiPKT_S3_S3_PS1_ii,@function
_Z12wvSplitK_hf_I14__hip_bfloat16Li32ELi4ELi16ELi8ELi2ELi1EEviiiiiiPKT_S3_S3_PS1_ii: ; @_Z12wvSplitK_hf_I14__hip_bfloat16Li32ELi4ELi16ELi8ELi2ELi1EEviiiiiiPKT_S3_S3_PS1_ii
; %bb.0:
	s_load_dwordx2 s[18:19], s[0:1], 0x38
	s_load_dwordx2 s[16:17], s[0:1], 0x20
	s_load_dwordx4 s[8:11], s[0:1], 0x0
	s_load_dword s30, s[0:1], 0x10
	v_bfe_u32 v8, v0, 10, 10
	s_waitcnt lgkmcnt(0)
	s_mul_i32 s2, s2, s18
	v_add_lshl_u32 v62, s2, v8, 2
	s_mov_b32 s4, 1
	v_add_u32_e32 v1, 4, v62
	s_mov_b32 s5, s4
	v_cmp_gt_u32_e32 vcc, s11, v62
	v_cmp_le_u32_e64 s[2:3], s11, v1
	s_mov_b32 s6, s4
	s_mov_b32 s7, s4
	v_mov_b64_e32 v[2:3], s[4:5]
	s_and_b64 s[12:13], vcc, s[2:3]
	v_mov_b64_e32 v[4:5], s[6:7]
	s_and_saveexec_b64 s[2:3], s[12:13]
	s_cbranch_execz .LBB171_6
; %bb.1:
	s_add_i32 s22, s11, -4
	v_mov_b64_e32 v[2:3], s[4:5]
	v_cmp_ne_u32_e32 vcc, s22, v62
	v_mov_b64_e32 v[4:5], s[6:7]
	s_and_saveexec_b64 s[12:13], vcc
	s_cbranch_execz .LBB171_5
; %bb.2:
	v_subrev_u32_e32 v1, s22, v62
	v_cmp_lt_u32_e32 vcc, 1, v1
	s_mov_b64 s[14:15], 0
	s_mov_b64 s[20:21], 0
	v_cndmask_b32_e32 v6, 1, v1, vcc
	s_mov_b32 s5, s4
	s_mov_b32 s6, s4
	;; [unrolled: 1-line block ×3, first 2 shown]
.LBB171_3:                              ; =>This Inner Loop Header: Depth=1
	s_cmp_lg_u32 s20, 3
	s_cselect_b32 s7, s7, 0
	s_cmp_lg_u32 s20, 2
	s_cselect_b32 s6, s6, 0
	;; [unrolled: 2-line block ×4, first 2 shown]
	s_add_u32 s20, s20, 1
	s_addc_u32 s21, s21, 0
	v_cmp_eq_u32_e32 vcc, s20, v6
	v_mov_b64_e32 v[2:3], s[4:5]
	s_or_b64 s[14:15], vcc, s[14:15]
	v_mov_b64_e32 v[4:5], s[6:7]
	s_andn2_b64 exec, exec, s[14:15]
	s_cbranch_execnz .LBB171_3
; %bb.4:
	s_or_b64 exec, exec, s[14:15]
	v_mov_b32_e32 v62, s22
.LBB171_5:
	s_or_b64 exec, exec, s[12:13]
.LBB171_6:
	s_or_b64 exec, exec, s[2:3]
	v_and_b32_e32 v9, 0x3ff, v0
	v_lshlrev_b32_e32 v82, 3, v9
	v_lshl_add_u32 v10, v8, 8, v82
	s_min_u32 s4, s10, 0x8000
	v_cmp_gt_u32_e32 vcc, s4, v10
	s_and_saveexec_b64 s[2:3], vcc
	s_cbranch_execz .LBB171_15
; %bb.7:
	v_lshlrev_b32_e32 v0, 1, v10
	global_load_dwordx4 v[12:15], v0, s[16:17]
	v_add_u32_e32 v1, 0x1000, v10
	v_cmp_gt_u32_e32 vcc, s4, v1
	s_waitcnt vmcnt(0)
	ds_write_b128 v0, v[12:15]
	s_and_saveexec_b64 s[6:7], vcc
	s_xor_b64 s[6:7], exec, s[6:7]
	s_cbranch_execz .LBB171_15
; %bb.8:
	v_mov_b32_e32 v1, 0
	v_lshl_add_u64 v[6:7], s[16:17], 0, v[0:1]
	v_add_co_u32_e32 v12, vcc, 0x2000, v6
	v_add_u32_e32 v1, 0x2000, v10
	s_nop 0
	v_addc_co_u32_e32 v13, vcc, 0, v7, vcc
	global_load_dwordx4 v[12:15], v[12:13], off
	v_cmp_gt_u32_e32 vcc, s4, v1
	s_waitcnt vmcnt(0)
	ds_write_b128 v0, v[12:15] offset:8192
	s_and_saveexec_b64 s[6:7], vcc
	s_xor_b64 s[6:7], exec, s[6:7]
	s_cbranch_execz .LBB171_15
; %bb.9:
	v_add_co_u32_e32 v12, vcc, 0x4000, v6
	v_add_u32_e32 v1, 0x3000, v10
	s_nop 0
	v_addc_co_u32_e32 v13, vcc, 0, v7, vcc
	global_load_dwordx4 v[12:15], v[12:13], off
	v_cmp_gt_u32_e32 vcc, s4, v1
	s_waitcnt vmcnt(0)
	ds_write_b128 v0, v[12:15] offset:16384
	s_and_saveexec_b64 s[6:7], vcc
	s_xor_b64 s[6:7], exec, s[6:7]
	s_cbranch_execz .LBB171_15
; %bb.10:
	;; [unrolled: 12-line block ×6, first 2 shown]
	v_add_co_u32_e32 v6, vcc, 0xe000, v6
	s_nop 1
	v_addc_co_u32_e32 v7, vcc, 0, v7, vcc
	global_load_dwordx4 v[10:13], v[6:7], off
	s_waitcnt vmcnt(0)
	ds_write_b128 v0, v[10:13] offset:57344
.LBB171_15:
	s_or_b64 exec, exec, s[2:3]
	v_cmp_gt_u32_e32 vcc, s18, v8
	v_cmp_gt_u32_e64 s[2:3], s11, v62
	s_and_b64 s[2:3], vcc, s[2:3]
	s_waitcnt lgkmcnt(0)
	s_barrier
	s_and_saveexec_b64 s[4:5], s[2:3]
	s_cbranch_execz .LBB171_66
; %bb.16:
	v_cvt_f32_u32_e32 v0, s30
	s_load_dwordx4 s[12:15], s[0:1], 0x28
	s_load_dwordx2 s[6:7], s[0:1], 0x18
	s_cmp_lg_u32 s8, 0
	s_cselect_b64 s[2:3], -1, 0
	v_rcp_iflag_f32_e32 v0, v0
	s_add_i32 s10, s8, -8
	s_add_i32 s31, s11, -1
	s_mul_i32 s4, s18, s19
	v_mul_f32_e32 v0, 0x4f7ffffe, v0
	v_cvt_u32_f32_e32 v0, v0
	s_waitcnt lgkmcnt(0)
	s_cmp_lg_u64 s[12:13], 0
	s_cselect_b64 s[20:21], -1, 0
	s_lshl_b32 s33, s4, 2
	s_sub_i32 s4, 0, s30
	v_mul_lo_u32 v1, s4, v0
	v_mul_hi_u32 v1, v0, v1
	v_add_u32_e32 v83, v0, v1
	v_cndmask_b32_e64 v0, 0, 1, s[2:3]
	v_cmp_eq_u32_e64 s[0:1], 31, v9
	s_mov_b64 s[18:19], 0
	s_add_i32 s34, s11, -4
	v_mov_b32_e32 v1, 0
	v_lshlrev_b32_e32 v84, 4, v9
	v_cmp_ne_u32_e64 s[2:3], 1, v0
	s_movk_i32 s35, 0x7fff
	s_mov_b32 s36, 0x7f800000
	s_branch .LBB171_19
.LBB171_17:                             ;   in Loop: Header=BB171_19 Depth=1
	s_or_b64 exec, exec, s[24:25]
	v_mov_b32_e32 v62, s34
.LBB171_18:                             ;   in Loop: Header=BB171_19 Depth=1
	s_or_b64 exec, exec, s[22:23]
	v_cmp_le_u32_e32 vcc, s11, v62
	s_or_b64 s[18:19], vcc, s[18:19]
	s_andn2_b64 exec, exec, s[18:19]
	s_cbranch_execz .LBB171_66
.LBB171_19:                             ; =>This Loop Header: Depth=1
                                        ;     Child Loop BB171_24 Depth 2
                                        ;     Child Loop BB171_64 Depth 2
	s_and_b64 vcc, exec, s[2:3]
	v_add_u32_e32 v68, 1, v62
	v_add_u32_e32 v66, 2, v62
	;; [unrolled: 1-line block ×3, first 2 shown]
	v_mov_b32_e32 v9, v1
	v_mov_b32_e32 v8, v1
	;; [unrolled: 1-line block ×16, first 2 shown]
	s_cbranch_vccnz .LBB171_34
; %bb.20:                               ;   in Loop: Header=BB171_19 Depth=1
	v_min_u32_e32 v0, s31, v62
	v_min_u32_e32 v6, s31, v68
	;; [unrolled: 1-line block ×4, first 2 shown]
	v_mul_lo_u32 v0, v0, s9
	v_mul_lo_u32 v6, v6, s9
	v_mov_b32_e32 v7, v1
	v_mul_lo_u32 v8, v8, s9
	v_mov_b32_e32 v9, v1
	;; [unrolled: 2-line block ×3, first 2 shown]
	v_mov_b32_e32 v18, 0
	s_mov_b32 s4, 0
	v_lshlrev_b64 v[70:71], 1, v[0:1]
	v_lshlrev_b64 v[72:73], 1, v[6:7]
	;; [unrolled: 1-line block ×4, first 2 shown]
	v_mov_b32_e32 v63, v84
	s_mov_b32 s28, 0
	v_mov_b32_e32 v19, v18
	v_mov_b32_e32 v20, v18
	;; [unrolled: 1-line block ×15, first 2 shown]
	s_branch .LBB171_24
.LBB171_21:                             ;   in Loop: Header=BB171_24 Depth=2
	s_or_b64 exec, exec, s[26:27]
.LBB171_22:                             ;   in Loop: Header=BB171_24 Depth=2
	s_or_b64 exec, exec, s[24:25]
.LBB171_23:                             ;   in Loop: Header=BB171_24 Depth=2
	s_or_b64 exec, exec, s[22:23]
	s_waitcnt vmcnt(0) lgkmcnt(0)
	v_mfma_f32_4x4x4_16b_bf16 v[18:21], v[58:59], v[50:51], v[18:21]
	s_addk_i32 s28, 0x200
	v_mfma_f32_4x4x4_16b_bf16 v[14:17], v[58:59], v[46:47], v[14:17]
	v_add_u32_e32 v63, 0x400, v63
	v_mfma_f32_4x4x4_16b_bf16 v[10:13], v[58:59], v[42:43], v[10:13]
	s_cmp_ge_u32 s28, s8
	v_mfma_f32_4x4x4_16b_bf16 v[6:9], v[58:59], v[34:35], v[6:9]
	v_mfma_f32_4x4x4_16b_bf16 v[18:21], v[60:61], v[52:53], v[18:21]
	;; [unrolled: 1-line block ×13, first 2 shown]
	s_cbranch_scc1 .LBB171_34
.LBB171_24:                             ;   Parent Loop BB171_19 Depth=1
                                        ; =>  This Inner Loop Header: Depth=2
	v_add_u32_e32 v80, s28, v82
	v_min_u32_e32 v0, s10, v80
	v_lshl_add_u64 v[22:23], v[0:1], 1, s[6:7]
	v_lshl_add_u64 v[24:25], v[22:23], 0, v[70:71]
	v_add_u32_e32 v78, 0x100, v80
	v_lshl_add_u64 v[26:27], v[22:23], 0, v[72:73]
	global_load_dwordx4 v[50:53], v[24:25], off nt
	global_load_dwordx4 v[46:49], v[26:27], off nt
	v_lshl_add_u64 v[24:25], v[22:23], 0, v[74:75]
	v_lshl_add_u64 v[22:23], v[22:23], 0, v[76:77]
	v_min_u32_e32 v0, s10, v78
	global_load_dwordx4 v[42:45], v[24:25], off nt
	global_load_dwordx4 v[34:37], v[22:23], off nt
	v_lshl_add_u64 v[22:23], v[0:1], 1, s[6:7]
	v_lshl_add_u64 v[24:25], v[22:23], 0, v[70:71]
	;; [unrolled: 1-line block ×4, first 2 shown]
	global_load_dwordx4 v[38:41], v[24:25], off nt
	global_load_dwordx4 v[30:33], v[26:27], off nt
	v_lshl_add_u64 v[56:57], v[22:23], 0, v[76:77]
	global_load_dwordx4 v[26:29], v[54:55], off nt
	global_load_dwordx4 v[22:25], v[56:57], off nt
	s_mov_b32 s5, s4
	v_cmp_gt_u32_e32 vcc, s8, v80
	v_mov_b64_e32 v[60:61], s[4:5]
	v_mov_b32_e32 v57, 0
	v_mov_b32_e32 v56, 0
	;; [unrolled: 1-line block ×4, first 2 shown]
	v_mov_b64_e32 v[58:59], s[4:5]
	s_and_saveexec_b64 s[22:23], vcc
	s_cbranch_execz .LBB171_23
; %bb.25:                               ;   in Loop: Header=BB171_24 Depth=2
	v_cmp_lt_u32_e32 vcc, s35, v80
                                        ; implicit-def: $vgpr60_vgpr61
	s_and_saveexec_b64 s[24:25], vcc
	s_xor_b64 s[24:25], exec, s[24:25]
	s_cbranch_execz .LBB171_27
; %bb.26:                               ;   in Loop: Header=BB171_24 Depth=2
	v_mov_b32_e32 v81, v1
	v_lshl_add_u64 v[54:55], v[80:81], 1, s[16:17]
	global_load_dwordx4 v[58:61], v[54:55], off
.LBB171_27:                             ;   in Loop: Header=BB171_24 Depth=2
	s_andn2_saveexec_b64 s[24:25], s[24:25]
	s_cbranch_execz .LBB171_29
; %bb.28:                               ;   in Loop: Header=BB171_24 Depth=2
	s_waitcnt vmcnt(0)
	ds_read_b128 v[58:61], v63
.LBB171_29:                             ;   in Loop: Header=BB171_24 Depth=2
	s_or_b64 exec, exec, s[24:25]
	v_cmp_gt_u32_e32 vcc, s8, v78
	v_mov_b32_e32 v57, 0
	v_mov_b32_e32 v56, 0
	;; [unrolled: 1-line block ×4, first 2 shown]
	s_and_saveexec_b64 s[24:25], vcc
	s_cbranch_execz .LBB171_22
; %bb.30:                               ;   in Loop: Header=BB171_24 Depth=2
	v_cmp_lt_u32_e32 vcc, s35, v78
                                        ; implicit-def: $vgpr57
	s_and_saveexec_b64 s[26:27], vcc
	s_xor_b64 s[26:27], exec, s[26:27]
	s_cbranch_execz .LBB171_32
; %bb.31:                               ;   in Loop: Header=BB171_24 Depth=2
	v_mov_b32_e32 v79, v1
	v_lshl_add_u64 v[54:55], v[78:79], 1, s[16:17]
	global_load_dwordx4 v[54:57], v[54:55], off
.LBB171_32:                             ;   in Loop: Header=BB171_24 Depth=2
	s_andn2_saveexec_b64 s[26:27], s[26:27]
	s_cbranch_execz .LBB171_21
; %bb.33:                               ;   in Loop: Header=BB171_24 Depth=2
	s_waitcnt vmcnt(0)
	ds_read_b128 v[54:57], v63 offset:512
	s_branch .LBB171_21
.LBB171_34:                             ;   in Loop: Header=BB171_19 Depth=1
	s_nop 0
	v_cvt_i32_f32_e32 v0, v19
	v_cvt_i32_f32_e32 v19, v20
	;; [unrolled: 1-line block ×4, first 2 shown]
	v_cvt_f32_i32_dpp v0, v0 row_shl:1 row_mask:0xf bank_mask:0xf bound_ctrl:1
	v_cvt_f32_i32_dpp v19, v19 row_shl:2 row_mask:0xf bank_mask:0xf bound_ctrl:1
	v_cvt_i32_f32_e32 v16, v16
	v_cvt_f32_i32_dpp v20, v20 row_shl:3 row_mask:0xf bank_mask:0xf bound_ctrl:1
	v_cvt_i32_f32_e32 v17, v17
	v_cvt_i32_f32_e32 v11, v11
	v_add_f32_e32 v0, v18, v0
	v_cvt_f32_i32_dpp v15, v15 row_shl:1 row_mask:0xf bank_mask:0xf bound_ctrl:1
	v_cvt_i32_f32_e32 v7, v7
	v_add_f32_e32 v0, v0, v19
	v_cvt_f32_i32_dpp v16, v16 row_shl:2 row_mask:0xf bank_mask:0xf bound_ctrl:1
	v_cvt_i32_f32_e32 v12, v12
	v_cvt_i32_f32_e32 v8, v8
	v_add_f32_e32 v0, v0, v20
	v_cvt_f32_i32_dpp v17, v17 row_shl:3 row_mask:0xf bank_mask:0xf bound_ctrl:1
	v_cvt_f32_i32_dpp v11, v11 row_shl:1 row_mask:0xf bank_mask:0xf bound_ctrl:1
	v_cvt_i32_f32_e32 v13, v13
	v_cvt_i32_f32_e32 v9, v9
	;; [unrolled: 1-line block ×3, first 2 shown]
	v_add_f32_e32 v14, v14, v15
	v_cvt_f32_i32_dpp v7, v7 row_shl:1 row_mask:0xf bank_mask:0xf bound_ctrl:1
	v_add_f32_e32 v14, v14, v16
	v_cvt_f32_i32_dpp v12, v12 row_shl:2 row_mask:0xf bank_mask:0xf bound_ctrl:1
	v_cvt_f32_i32_dpp v8, v8 row_shl:2 row_mask:0xf bank_mask:0xf bound_ctrl:1
	v_add_f32_e32 v14, v14, v17
	v_add_f32_e32 v10, v10, v11
	v_cvt_f32_i32_dpp v11, v13 row_shl:3 row_mask:0xf bank_mask:0xf bound_ctrl:1
	v_cvt_f32_i32_dpp v9, v9 row_shl:3 row_mask:0xf bank_mask:0xf bound_ctrl:1
	;; [unrolled: 1-line block ×3, first 2 shown]
	v_cvt_i32_f32_e32 v15, v14
	v_add_f32_e32 v6, v6, v7
	v_add_f32_e32 v10, v10, v12
	v_add_f32_e32 v6, v6, v8
	v_add_f32_e32 v10, v10, v11
	v_add_f32_e32 v6, v6, v9
	v_add_f32_e32 v0, v0, v18
	v_cvt_f32_i32_dpp v15, v15 row_shl:4 row_mask:0xf bank_mask:0xf bound_ctrl:1
	v_cvt_i32_f32_e32 v11, v10
	v_cvt_i32_f32_e32 v7, v6
	;; [unrolled: 1-line block ×3, first 2 shown]
	v_add_f32_e32 v14, v14, v15
	v_cvt_f32_i32_dpp v9, v11 row_shl:4 row_mask:0xf bank_mask:0xf bound_ctrl:1
	v_cvt_f32_i32_dpp v7, v7 row_shl:4 row_mask:0xf bank_mask:0xf bound_ctrl:1
	;; [unrolled: 1-line block ×3, first 2 shown]
	v_cvt_i32_f32_e32 v15, v14
	v_add_f32_e32 v9, v10, v9
	v_add_f32_e32 v6, v6, v7
	;; [unrolled: 1-line block ×3, first 2 shown]
	v_cvt_f32_i32_dpp v8, v15 row_shl:8 row_mask:0xf bank_mask:0xf bound_ctrl:1
	v_cvt_i32_f32_e32 v10, v9
	v_cvt_i32_f32_e32 v7, v6
	;; [unrolled: 1-line block ×3, first 2 shown]
	v_add_f32_e32 v8, v14, v8
	v_cvt_f32_i32_dpp v10, v10 row_shl:8 row_mask:0xf bank_mask:0xf bound_ctrl:1
	v_cvt_f32_i32_dpp v7, v7 row_shl:8 row_mask:0xf bank_mask:0xf bound_ctrl:1
	v_cvt_f32_i32_dpp v0, v0 row_shr:15 row_mask:0xf bank_mask:0xf bound_ctrl:1
	v_cvt_i32_f32_e32 v8, v8
	v_add_f32_e32 v9, v9, v10
	v_add_f32_e32 v6, v6, v7
	v_cvt_i32_f32_e32 v11, v0
	v_cvt_f32_i32_dpp v8, v8 row_shr:15 row_mask:0xf bank_mask:0xf bound_ctrl:1
	v_cvt_i32_f32_e32 v9, v9
	v_cvt_i32_f32_e32 v6, v6
	v_cvt_f32_i32_dpp v7, v11 row_bcast:15 row_mask:0xf bank_mask:0xf bound_ctrl:1
	v_cvt_i32_f32_e32 v10, v8
	v_cvt_f32_i32_dpp v9, v9 row_shr:15 row_mask:0xf bank_mask:0xf bound_ctrl:1
	v_cvt_f32_i32_dpp v6, v6 row_shr:15 row_mask:0xf bank_mask:0xf bound_ctrl:1
	v_add_f32_e32 v13, v0, v7
	v_cvt_f32_i32_dpp v7, v10 row_bcast:15 row_mask:0xf bank_mask:0xf bound_ctrl:1
	v_cvt_i32_f32_e32 v0, v9
	v_cvt_i32_f32_e32 v11, v6
	;; [unrolled: 1-line block ×3, first 2 shown]
	v_add_f32_e32 v10, v8, v7
	v_cvt_f32_i32_dpp v0, v0 row_bcast:15 row_mask:0xf bank_mask:0xf bound_ctrl:1
	v_cvt_f32_i32_dpp v7, v11 row_bcast:15 row_mask:0xf bank_mask:0xf bound_ctrl:1
	v_cvt_i32_f32_e32 v11, v10
	v_mov_b32_dpp v14, v12 row_bcast:31 row_mask:0xf bank_mask:0xf bound_ctrl:1
	v_add_f32_e32 v8, v9, v0
	v_add_f32_e32 v6, v6, v7
	v_cvt_i32_f32_e32 v0, v8
	v_cvt_i32_f32_e32 v7, v6
	v_mov_b32_dpp v11, v11 row_bcast:31 row_mask:0xf bank_mask:0xf bound_ctrl:1
	v_mov_b32_dpp v9, v0 row_bcast:31 row_mask:0xf bank_mask:0xf bound_ctrl:1
	;; [unrolled: 1-line block ×3, first 2 shown]
	s_and_saveexec_b64 s[4:5], s[0:1]
	s_cbranch_execz .LBB171_61
; %bb.35:                               ;   in Loop: Header=BB171_19 Depth=1
	s_andn2_b64 vcc, exec, s[20:21]
	v_mov_b32_e32 v0, 0
	v_mov_b32_e32 v12, 0
	;; [unrolled: 1-line block ×4, first 2 shown]
	s_cbranch_vccnz .LBB171_37
; %bb.36:                               ;   in Loop: Header=BB171_19 Depth=1
	v_mul_hi_u32 v0, v62, v83
	v_mul_lo_u32 v0, v0, s30
	v_sub_u32_e32 v0, v62, v0
	v_subrev_u32_e32 v12, s30, v0
	v_cmp_le_u32_e32 vcc, s30, v0
	s_nop 1
	v_cndmask_b32_e32 v0, v0, v12, vcc
	v_subrev_u32_e32 v12, s30, v0
	v_cmp_le_u32_e32 vcc, s30, v0
	s_nop 1
	v_cndmask_b32_e32 v0, v0, v12, vcc
	v_lshl_add_u64 v[18:19], v[0:1], 1, s[12:13]
	v_mul_hi_u32 v0, v68, v83
	v_mul_lo_u32 v0, v0, s30
	v_sub_u32_e32 v0, v68, v0
	v_subrev_u32_e32 v12, s30, v0
	v_cmp_le_u32_e32 vcc, s30, v0
	s_nop 1
	v_cndmask_b32_e32 v0, v0, v12, vcc
	v_subrev_u32_e32 v12, s30, v0
	v_cmp_le_u32_e32 vcc, s30, v0
	s_nop 1
	v_cndmask_b32_e32 v0, v0, v12, vcc
	v_lshl_add_u64 v[20:21], v[0:1], 1, s[12:13]
	;; [unrolled: 12-line block ×4, first 2 shown]
	global_load_ushort v16, v[18:19], off
	global_load_ushort v15, v[20:21], off
	;; [unrolled: 1-line block ×4, first 2 shown]
.LBB171_37:                             ;   in Loop: Header=BB171_19 Depth=1
	v_cmp_ne_u32_e32 vcc, 0, v2
	s_and_saveexec_b64 s[22:23], vcc
	s_cbranch_execnz .LBB171_41
; %bb.38:                               ;   in Loop: Header=BB171_19 Depth=1
	s_or_b64 exec, exec, s[22:23]
	v_cmp_ne_u32_e32 vcc, 0, v3
	s_and_saveexec_b64 s[22:23], vcc
	s_cbranch_execnz .LBB171_46
.LBB171_39:                             ;   in Loop: Header=BB171_19 Depth=1
	s_or_b64 exec, exec, s[22:23]
	v_cmp_ne_u32_e32 vcc, 0, v4
	s_and_saveexec_b64 s[22:23], vcc
	s_cbranch_execnz .LBB171_51
.LBB171_40:                             ;   in Loop: Header=BB171_19 Depth=1
	s_or_b64 exec, exec, s[22:23]
	v_cmp_ne_u32_e32 vcc, 0, v5
	s_and_b64 exec, exec, vcc
	s_cbranch_execnz .LBB171_56
	s_branch .LBB171_61
.LBB171_41:                             ;   in Loop: Header=BB171_19 Depth=1
	v_cvt_f32_i32_e32 v14, v14
	v_add_f32_e32 v13, v13, v14
	s_waitcnt vmcnt(3)
	v_lshlrev_b32_e32 v14, 16, v16
	v_add_f32_e32 v14, v13, v14
	v_and_b32_e32 v13, 0x7f800000, v14
	v_cmp_ne_u32_e32 vcc, s36, v13
                                        ; implicit-def: $vgpr13
	s_and_saveexec_b64 s[24:25], vcc
	s_xor_b64 s[24:25], exec, s[24:25]
; %bb.42:                               ;   in Loop: Header=BB171_19 Depth=1
	v_bfe_u32 v13, v14, 16, 1
	v_add3_u32 v13, v14, v13, s35
                                        ; implicit-def: $vgpr14
; %bb.43:                               ;   in Loop: Header=BB171_19 Depth=1
	s_andn2_saveexec_b64 s[24:25], s[24:25]
; %bb.44:                               ;   in Loop: Header=BB171_19 Depth=1
	v_or_b32_e32 v13, 0x10000, v14
	v_cmp_eq_u32_sdwa vcc, v14, v1 src0_sel:WORD_0 src1_sel:DWORD
	s_nop 1
	v_cndmask_b32_e32 v13, v13, v14, vcc
; %bb.45:                               ;   in Loop: Header=BB171_19 Depth=1
	s_or_b64 exec, exec, s[24:25]
	v_mov_b32_e32 v63, v1
	v_lshl_add_u64 v[16:17], v[62:63], 1, s[14:15]
	global_store_short_d16_hi v[16:17], v13, off
	s_or_b64 exec, exec, s[22:23]
	v_cmp_ne_u32_e32 vcc, 0, v3
	s_and_saveexec_b64 s[22:23], vcc
	s_cbranch_execz .LBB171_39
.LBB171_46:                             ;   in Loop: Header=BB171_19 Depth=1
	v_cvt_f32_i32_e32 v11, v11
	v_add_f32_e32 v10, v10, v11
	s_waitcnt vmcnt(2)
	v_lshlrev_b32_e32 v11, 16, v15
	v_add_f32_e32 v11, v10, v11
	v_and_b32_e32 v10, 0x7f800000, v11
	v_cmp_ne_u32_e32 vcc, s36, v10
                                        ; implicit-def: $vgpr10
	s_and_saveexec_b64 s[24:25], vcc
	s_xor_b64 s[24:25], exec, s[24:25]
; %bb.47:                               ;   in Loop: Header=BB171_19 Depth=1
	v_bfe_u32 v10, v11, 16, 1
	v_add3_u32 v10, v11, v10, s35
                                        ; implicit-def: $vgpr11
; %bb.48:                               ;   in Loop: Header=BB171_19 Depth=1
	s_andn2_saveexec_b64 s[24:25], s[24:25]
; %bb.49:                               ;   in Loop: Header=BB171_19 Depth=1
	v_or_b32_e32 v10, 0x10000, v11
	v_cmp_eq_u32_sdwa vcc, v11, v1 src0_sel:WORD_0 src1_sel:DWORD
	s_nop 1
	v_cndmask_b32_e32 v10, v10, v11, vcc
; %bb.50:                               ;   in Loop: Header=BB171_19 Depth=1
	s_or_b64 exec, exec, s[24:25]
	v_mov_b32_e32 v69, v1
	v_lshl_add_u64 v[14:15], v[68:69], 1, s[14:15]
	global_store_short_d16_hi v[14:15], v10, off
	s_or_b64 exec, exec, s[22:23]
	v_cmp_ne_u32_e32 vcc, 0, v4
	s_and_saveexec_b64 s[22:23], vcc
	s_cbranch_execz .LBB171_40
.LBB171_51:                             ;   in Loop: Header=BB171_19 Depth=1
	v_cvt_f32_i32_e32 v9, v9
	v_add_f32_e32 v8, v8, v9
	s_waitcnt vmcnt(1)
	v_lshlrev_b32_e32 v9, 16, v12
	v_add_f32_e32 v9, v8, v9
	v_and_b32_e32 v8, 0x7f800000, v9
	v_cmp_ne_u32_e32 vcc, s36, v8
                                        ; implicit-def: $vgpr8
	s_and_saveexec_b64 s[24:25], vcc
	s_xor_b64 s[24:25], exec, s[24:25]
; %bb.52:                               ;   in Loop: Header=BB171_19 Depth=1
	v_bfe_u32 v8, v9, 16, 1
	v_add3_u32 v8, v9, v8, s35
                                        ; implicit-def: $vgpr9
; %bb.53:                               ;   in Loop: Header=BB171_19 Depth=1
	s_andn2_saveexec_b64 s[24:25], s[24:25]
; %bb.54:                               ;   in Loop: Header=BB171_19 Depth=1
	v_or_b32_e32 v8, 0x10000, v9
	v_cmp_eq_u32_sdwa vcc, v9, v1 src0_sel:WORD_0 src1_sel:DWORD
	s_nop 1
	v_cndmask_b32_e32 v8, v8, v9, vcc
; %bb.55:                               ;   in Loop: Header=BB171_19 Depth=1
	s_or_b64 exec, exec, s[24:25]
	v_mov_b32_e32 v67, v1
	v_lshl_add_u64 v[10:11], v[66:67], 1, s[14:15]
	global_store_short_d16_hi v[10:11], v8, off
	s_or_b64 exec, exec, s[22:23]
	v_cmp_ne_u32_e32 vcc, 0, v5
	s_and_b64 exec, exec, vcc
	s_cbranch_execz .LBB171_61
.LBB171_56:                             ;   in Loop: Header=BB171_19 Depth=1
	v_cvt_f32_i32_e32 v7, v7
	s_waitcnt vmcnt(0)
	v_lshlrev_b32_e32 v0, 16, v0
	v_add_f32_e32 v6, v6, v7
	v_add_f32_e32 v6, v6, v0
	v_and_b32_e32 v0, 0x7f800000, v6
	v_cmp_ne_u32_e32 vcc, s36, v0
                                        ; implicit-def: $vgpr0
	s_and_saveexec_b64 s[22:23], vcc
	s_xor_b64 s[22:23], exec, s[22:23]
; %bb.57:                               ;   in Loop: Header=BB171_19 Depth=1
	v_bfe_u32 v0, v6, 16, 1
	v_add3_u32 v0, v6, v0, s35
                                        ; implicit-def: $vgpr6
; %bb.58:                               ;   in Loop: Header=BB171_19 Depth=1
	s_andn2_saveexec_b64 s[22:23], s[22:23]
; %bb.59:                               ;   in Loop: Header=BB171_19 Depth=1
	v_or_b32_e32 v0, 0x10000, v6
	v_cmp_eq_u32_sdwa vcc, v6, v1 src0_sel:WORD_0 src1_sel:DWORD
	s_nop 1
	v_cndmask_b32_e32 v0, v0, v6, vcc
; %bb.60:                               ;   in Loop: Header=BB171_19 Depth=1
	s_or_b64 exec, exec, s[22:23]
	v_mov_b32_e32 v65, v1
	v_lshl_add_u64 v[6:7], v[64:65], 1, s[14:15]
	global_store_short_d16_hi v[6:7], v0, off
.LBB171_61:                             ;   in Loop: Header=BB171_19 Depth=1
	s_or_b64 exec, exec, s[4:5]
	v_add_u32_e32 v62, s33, v62
	s_waitcnt vmcnt(0)
	v_add_u32_e32 v0, 4, v62
	v_cmp_gt_u32_e32 vcc, s11, v62
	v_cmp_le_u32_e64 s[4:5], s11, v0
	s_and_b64 s[4:5], vcc, s[4:5]
	s_and_saveexec_b64 s[22:23], s[4:5]
	s_cbranch_execz .LBB171_18
; %bb.62:                               ;   in Loop: Header=BB171_19 Depth=1
	v_cmp_ne_u32_e32 vcc, s34, v62
	s_and_saveexec_b64 s[24:25], vcc
	s_cbranch_execz .LBB171_17
; %bb.63:                               ;   in Loop: Header=BB171_19 Depth=1
	v_subrev_u32_e32 v0, s34, v62
	v_cmp_lt_u32_e32 vcc, 1, v0
	s_mov_b64 s[26:27], 0
	s_mov_b64 s[28:29], 0
	v_cndmask_b32_e32 v0, 1, v0, vcc
.LBB171_64:                             ;   Parent Loop BB171_19 Depth=1
                                        ; =>  This Inner Loop Header: Depth=2
	s_cmp_lg_u32 s28, 3
	s_cselect_b64 vcc, -1, 0
	s_cmp_lg_u32 s28, 2
	v_cndmask_b32_e32 v5, 0, v5, vcc
	s_cselect_b64 vcc, -1, 0
	s_cmp_lg_u32 s28, 1
	v_cndmask_b32_e32 v4, 0, v4, vcc
	;; [unrolled: 3-line block ×3, first 2 shown]
	s_cselect_b64 vcc, -1, 0
	s_add_u32 s28, s28, 1
	s_addc_u32 s29, s29, 0
	v_cmp_eq_u32_e64 s[4:5], s28, v0
	s_or_b64 s[26:27], s[4:5], s[26:27]
	v_cndmask_b32_e32 v2, 0, v2, vcc
	s_andn2_b64 exec, exec, s[26:27]
	s_cbranch_execnz .LBB171_64
; %bb.65:                               ;   in Loop: Header=BB171_19 Depth=1
	s_or_b64 exec, exec, s[26:27]
	s_branch .LBB171_17
.LBB171_66:
	s_endpgm
	.section	.rodata,"a",@progbits
	.p2align	6, 0x0
	.amdhsa_kernel _Z12wvSplitK_hf_I14__hip_bfloat16Li32ELi4ELi16ELi8ELi2ELi1EEviiiiiiPKT_S3_S3_PS1_ii
		.amdhsa_group_segment_fixed_size 65536
		.amdhsa_private_segment_fixed_size 0
		.amdhsa_kernarg_size 64
		.amdhsa_user_sgpr_count 2
		.amdhsa_user_sgpr_dispatch_ptr 0
		.amdhsa_user_sgpr_queue_ptr 0
		.amdhsa_user_sgpr_kernarg_segment_ptr 1
		.amdhsa_user_sgpr_dispatch_id 0
		.amdhsa_user_sgpr_kernarg_preload_length 0
		.amdhsa_user_sgpr_kernarg_preload_offset 0
		.amdhsa_user_sgpr_private_segment_size 0
		.amdhsa_uses_dynamic_stack 0
		.amdhsa_enable_private_segment 0
		.amdhsa_system_sgpr_workgroup_id_x 1
		.amdhsa_system_sgpr_workgroup_id_y 0
		.amdhsa_system_sgpr_workgroup_id_z 0
		.amdhsa_system_sgpr_workgroup_info 0
		.amdhsa_system_vgpr_workitem_id 1
		.amdhsa_next_free_vgpr 85
		.amdhsa_next_free_sgpr 37
		.amdhsa_accum_offset 88
		.amdhsa_reserve_vcc 1
		.amdhsa_float_round_mode_32 0
		.amdhsa_float_round_mode_16_64 0
		.amdhsa_float_denorm_mode_32 3
		.amdhsa_float_denorm_mode_16_64 3
		.amdhsa_dx10_clamp 1
		.amdhsa_ieee_mode 1
		.amdhsa_fp16_overflow 0
		.amdhsa_tg_split 0
		.amdhsa_exception_fp_ieee_invalid_op 0
		.amdhsa_exception_fp_denorm_src 0
		.amdhsa_exception_fp_ieee_div_zero 0
		.amdhsa_exception_fp_ieee_overflow 0
		.amdhsa_exception_fp_ieee_underflow 0
		.amdhsa_exception_fp_ieee_inexact 0
		.amdhsa_exception_int_div_zero 0
	.end_amdhsa_kernel
	.section	.text._Z12wvSplitK_hf_I14__hip_bfloat16Li32ELi4ELi16ELi8ELi2ELi1EEviiiiiiPKT_S3_S3_PS1_ii,"axG",@progbits,_Z12wvSplitK_hf_I14__hip_bfloat16Li32ELi4ELi16ELi8ELi2ELi1EEviiiiiiPKT_S3_S3_PS1_ii,comdat
.Lfunc_end171:
	.size	_Z12wvSplitK_hf_I14__hip_bfloat16Li32ELi4ELi16ELi8ELi2ELi1EEviiiiiiPKT_S3_S3_PS1_ii, .Lfunc_end171-_Z12wvSplitK_hf_I14__hip_bfloat16Li32ELi4ELi16ELi8ELi2ELi1EEviiiiiiPKT_S3_S3_PS1_ii
                                        ; -- End function
	.section	.AMDGPU.csdata,"",@progbits
; Kernel info:
; codeLenInByte = 3220
; NumSgprs: 43
; NumVgprs: 85
; NumAgprs: 0
; TotalNumVgprs: 85
; ScratchSize: 0
; MemoryBound: 1
; FloatMode: 240
; IeeeMode: 1
; LDSByteSize: 65536 bytes/workgroup (compile time only)
; SGPRBlocks: 5
; VGPRBlocks: 10
; NumSGPRsForWavesPerEU: 43
; NumVGPRsForWavesPerEU: 85
; AccumOffset: 88
; Occupancy: 2
; WaveLimiterHint : 0
; COMPUTE_PGM_RSRC2:SCRATCH_EN: 0
; COMPUTE_PGM_RSRC2:USER_SGPR: 2
; COMPUTE_PGM_RSRC2:TRAP_HANDLER: 0
; COMPUTE_PGM_RSRC2:TGID_X_EN: 1
; COMPUTE_PGM_RSRC2:TGID_Y_EN: 0
; COMPUTE_PGM_RSRC2:TGID_Z_EN: 0
; COMPUTE_PGM_RSRC2:TIDIG_COMP_CNT: 1
; COMPUTE_PGM_RSRC3_GFX90A:ACCUM_OFFSET: 21
; COMPUTE_PGM_RSRC3_GFX90A:TG_SPLIT: 0
	.section	.text._Z16wvSplitK_hf_big_I14__hip_bfloat16Li32ELi4ELi16ELi8ELi2ELi1EEviiiiiiPKT_S3_S3_PS1_ii,"axG",@progbits,_Z16wvSplitK_hf_big_I14__hip_bfloat16Li32ELi4ELi16ELi8ELi2ELi1EEviiiiiiPKT_S3_S3_PS1_ii,comdat
	.protected	_Z16wvSplitK_hf_big_I14__hip_bfloat16Li32ELi4ELi16ELi8ELi2ELi1EEviiiiiiPKT_S3_S3_PS1_ii ; -- Begin function _Z16wvSplitK_hf_big_I14__hip_bfloat16Li32ELi4ELi16ELi8ELi2ELi1EEviiiiiiPKT_S3_S3_PS1_ii
	.globl	_Z16wvSplitK_hf_big_I14__hip_bfloat16Li32ELi4ELi16ELi8ELi2ELi1EEviiiiiiPKT_S3_S3_PS1_ii
	.p2align	8
	.type	_Z16wvSplitK_hf_big_I14__hip_bfloat16Li32ELi4ELi16ELi8ELi2ELi1EEviiiiiiPKT_S3_S3_PS1_ii,@function
_Z16wvSplitK_hf_big_I14__hip_bfloat16Li32ELi4ELi16ELi8ELi2ELi1EEviiiiiiPKT_S3_S3_PS1_ii: ; @_Z16wvSplitK_hf_big_I14__hip_bfloat16Li32ELi4ELi16ELi8ELi2ELi1EEviiiiiiPKT_S3_S3_PS1_ii
; %bb.0:
	s_load_dwordx2 s[8:9], s[0:1], 0x38
	v_bfe_u32 v7, v0, 10, 10
	s_waitcnt lgkmcnt(0)
	v_cmp_gt_u32_e32 vcc, s8, v7
	s_and_saveexec_b64 s[4:5], vcc
	s_cbranch_execz .LBB172_64
; %bb.1:
	s_load_dwordx4 s[20:23], s[0:1], 0x0
	s_mul_i32 s2, s2, s8
	v_add_lshl_u32 v62, s2, v7, 2
	s_mov_b32 s4, 1
	v_add_u32_e32 v1, 4, v62
	s_mov_b32 s5, s4
	s_waitcnt lgkmcnt(0)
	v_cmp_gt_u32_e32 vcc, s23, v62
	v_cmp_le_u32_e64 s[2:3], s23, v1
	s_mov_b32 s6, s4
	s_mov_b32 s7, s4
	v_mov_b64_e32 v[2:3], s[4:5]
	s_and_b64 s[10:11], vcc, s[2:3]
	v_mov_b64_e32 v[4:5], s[6:7]
	s_and_saveexec_b64 s[2:3], s[10:11]
	s_cbranch_execz .LBB172_7
; %bb.2:
	s_add_i32 s16, s23, -4
	v_mov_b64_e32 v[2:3], s[4:5]
	v_cmp_ne_u32_e32 vcc, s16, v62
	v_mov_b64_e32 v[4:5], s[6:7]
	s_and_saveexec_b64 s[10:11], vcc
	s_cbranch_execz .LBB172_6
; %bb.3:
	v_subrev_u32_e32 v1, s16, v62
	v_cmp_lt_u32_e32 vcc, 1, v1
	s_mov_b64 s[12:13], 0
	s_mov_b64 s[14:15], 0
	v_cndmask_b32_e32 v6, 1, v1, vcc
	s_mov_b32 s5, s4
	s_mov_b32 s6, s4
	;; [unrolled: 1-line block ×3, first 2 shown]
.LBB172_4:                              ; =>This Inner Loop Header: Depth=1
	s_cmp_lg_u32 s14, 3
	s_cselect_b32 s7, s7, 0
	s_cmp_lg_u32 s14, 2
	s_cselect_b32 s6, s6, 0
	;; [unrolled: 2-line block ×4, first 2 shown]
	s_add_u32 s14, s14, 1
	s_addc_u32 s15, s15, 0
	v_cmp_eq_u32_e32 vcc, s14, v6
	v_mov_b64_e32 v[2:3], s[4:5]
	s_or_b64 s[12:13], vcc, s[12:13]
	v_mov_b64_e32 v[4:5], s[6:7]
	s_andn2_b64 exec, exec, s[12:13]
	s_cbranch_execnz .LBB172_4
; %bb.5:
	s_or_b64 exec, exec, s[12:13]
	v_mov_b32_e32 v62, s16
.LBB172_6:
	s_or_b64 exec, exec, s[10:11]
.LBB172_7:
	s_or_b64 exec, exec, s[2:3]
	s_lshl_b32 s2, s8, 2
	s_abs_i32 s3, s2
	v_cvt_f32_u32_e32 v1, s3
	s_sub_i32 s6, 0, s3
	s_abs_i32 s5, s23
	s_ashr_i32 s4, s23, 31
	v_rcp_iflag_f32_e32 v1, v1
	s_nop 0
	v_mul_f32_e32 v1, 0x4f7ffffe, v1
	v_cvt_u32_f32_e32 v1, v1
	s_nop 0
	v_readfirstlane_b32 s7, v1
	s_mul_i32 s6, s6, s7
	s_mul_hi_u32 s6, s7, s6
	s_add_i32 s7, s7, s6
	s_mul_hi_u32 s6, s5, s7
	s_mul_i32 s6, s6, s3
	s_sub_i32 s5, s5, s6
	s_sub_i32 s6, s5, s3
	s_cmp_ge_u32 s5, s3
	s_cselect_b32 s5, s6, s5
	s_sub_i32 s6, s5, s3
	s_cmp_ge_u32 s5, s3
	s_cselect_b32 s3, s6, s5
	s_xor_b32 s3, s3, s4
	s_sub_i32 s3, s3, s4
	s_add_i32 s2, s2, s23
	s_sub_i32 s2, s2, s3
	s_cmp_eq_u32 s3, 0
	s_cselect_b32 s33, s23, s2
	v_cmp_gt_u32_e32 vcc, s33, v62
	s_and_b64 exec, exec, vcc
	s_cbranch_execz .LBB172_64
; %bb.8:
	s_load_dwordx8 s[12:19], s[0:1], 0x18
	s_load_dword s38, s[0:1], 0x10
	s_min_u32 s39, s22, 0x8000
	s_cmp_lg_u32 s20, 0
	s_cselect_b64 s[2:3], -1, 0
	s_cmp_lg_u32 s22, 0
	s_waitcnt lgkmcnt(0)
	v_cvt_f32_u32_e32 v1, s38
	s_mul_i32 s0, s9, s8
	s_cselect_b64 s[4:5], -1, 0
	v_and_b32_e32 v0, 0x3ff, v0
	v_rcp_iflag_f32_e32 v1, v1
	s_lshl_b32 s40, s8, 8
	s_add_i32 s41, s20, -8
	s_add_i32 s42, s23, -1
	v_mul_f32_e32 v1, 0x4f7ffffe, v1
	v_cvt_u32_f32_e32 v1, v1
	s_lshl_b32 s43, s0, 2
	v_lshlrev_b32_e32 v72, 3, v0
	v_cmp_eq_u32_e64 s[0:1], 31, v0
	s_cmp_lg_u64 s[16:17], 0
	v_lshlrev_b32_e32 v0, 4, v0
	s_cselect_b64 s[6:7], -1, 0
	s_sub_i32 s9, 0, s38
	v_lshl_add_u32 v74, v7, 9, v0
	v_cndmask_b32_e64 v0, 0, 1, s[2:3]
	s_add_i32 s44, s23, -4
	v_mul_lo_u32 v6, s9, v1
	v_cmp_ne_u32_e64 s[2:3], 1, v0
	v_cndmask_b32_e64 v0, 0, 1, s[4:5]
	v_mul_hi_u32 v6, v1, v6
	s_add_u32 s26, s18, 2
	v_cmp_ne_u32_e64 s[4:5], 1, v0
	v_cndmask_b32_e64 v0, 0, 1, s[6:7]
	s_mov_b64 s[24:25], 0
	v_add_u32_e32 v73, v1, v6
	v_mov_b32_e32 v1, 0
	s_addc_u32 s27, s19, 0
	s_lshl_b32 s45, s8, 9
	v_lshl_add_u32 v75, v7, 8, v72
	s_mov_b32 s46, 0x7f800000
	s_movk_i32 s47, 0x7fff
	v_cmp_ne_u32_e64 s[6:7], 1, v0
	s_branch .LBB172_12
.LBB172_9:                              ;   in Loop: Header=BB172_12 Depth=1
	s_or_b64 exec, exec, s[30:31]
	v_mov_b32_e32 v62, s44
.LBB172_10:                             ;   in Loop: Header=BB172_12 Depth=1
	s_or_b64 exec, exec, s[28:29]
.LBB172_11:                             ;   in Loop: Header=BB172_12 Depth=1
	s_or_b64 exec, exec, s[10:11]
	v_cmp_le_u32_e32 vcc, s33, v62
	s_or_b64 s[24:25], vcc, s[24:25]
	s_andn2_b64 exec, exec, s[24:25]
	s_cbranch_execz .LBB172_64
.LBB172_12:                             ; =>This Loop Header: Depth=1
                                        ;     Child Loop BB172_17 Depth 2
                                        ;       Child Loop BB172_22 Depth 3
                                        ;     Child Loop BB172_62 Depth 2
	s_and_b64 vcc, exec, s[2:3]
	v_mov_b32_e32 v9, v1
	v_mov_b32_e32 v8, v1
	v_mov_b32_e32 v7, v1
	v_mov_b32_e32 v6, v1
	v_mov_b32_e32 v13, v1
	v_mov_b32_e32 v12, v1
	s_waitcnt vmcnt(0)
	v_mov_b32_e32 v11, v1
	v_mov_b32_e32 v10, v1
	;; [unrolled: 1-line block ×10, first 2 shown]
	s_cbranch_vccnz .LBB172_29
; %bb.13:                               ;   in Loop: Header=BB172_12 Depth=1
	v_add_u32_e32 v6, 1, v62
	v_add_u32_e32 v8, 2, v62
	;; [unrolled: 1-line block ×3, first 2 shown]
	v_min_u32_e32 v0, s42, v62
	v_min_u32_e32 v6, s42, v6
	;; [unrolled: 1-line block ×4, first 2 shown]
	v_mul_lo_u32 v0, v0, s21
	v_mul_lo_u32 v6, v6, s21
	v_mov_b32_e32 v7, v1
	v_mul_lo_u32 v8, v8, s21
	v_mov_b32_e32 v9, v1
	;; [unrolled: 2-line block ×3, first 2 shown]
	v_mov_b32_e32 v18, 0
	v_cmp_gt_u32_e64 s[8:9], s23, v62
	s_mov_b32 s34, 0
	v_lshlrev_b64 v[64:65], 1, v[0:1]
	v_lshlrev_b64 v[66:67], 1, v[6:7]
	;; [unrolled: 1-line block ×4, first 2 shown]
	s_mov_b32 s35, 0
	v_mov_b32_e32 v19, v18
	v_mov_b32_e32 v20, v18
	;; [unrolled: 1-line block ×15, first 2 shown]
	s_branch .LBB172_17
.LBB172_14:                             ;   in Loop: Header=BB172_17 Depth=2
	s_or_b64 exec, exec, s[30:31]
.LBB172_15:                             ;   in Loop: Header=BB172_17 Depth=2
	s_or_b64 exec, exec, s[28:29]
	s_waitcnt vmcnt(7) lgkmcnt(0)
	v_mfma_f32_4x4x4_16b_bf16 v[18:21], v[58:59], v[54:55], v[18:21]
	s_waitcnt vmcnt(6)
	v_mfma_f32_4x4x4_16b_bf16 v[14:17], v[58:59], v[50:51], v[14:17]
	s_waitcnt vmcnt(5)
	;; [unrolled: 2-line block ×3, first 2 shown]
	v_mfma_f32_4x4x4_16b_bf16 v[6:9], v[58:59], v[38:39], v[6:9]
	v_mfma_f32_4x4x4_16b_bf16 v[18:21], v[60:61], v[56:57], v[18:21]
	;; [unrolled: 1-line block ×5, first 2 shown]
	s_waitcnt vmcnt(3)
	v_mfma_f32_4x4x4_16b_bf16 v[18:21], v[34:35], v[42:43], v[18:21]
	s_waitcnt vmcnt(2)
	v_mfma_f32_4x4x4_16b_bf16 v[14:17], v[34:35], v[30:31], v[14:17]
	s_waitcnt vmcnt(1)
	v_mfma_f32_4x4x4_16b_bf16 v[10:13], v[34:35], v[26:27], v[10:13]
	s_waitcnt vmcnt(0)
	v_mfma_f32_4x4x4_16b_bf16 v[6:9], v[34:35], v[22:23], v[6:9]
	v_mfma_f32_4x4x4_16b_bf16 v[18:21], v[36:37], v[44:45], v[18:21]
	v_mfma_f32_4x4x4_16b_bf16 v[14:17], v[36:37], v[32:33], v[14:17]
	;; [unrolled: 1-line block ×4, first 2 shown]
.LBB172_16:                             ;   in Loop: Header=BB172_17 Depth=2
	s_or_b64 exec, exec, s[10:11]
	s_addk_i32 s35, 0x200
	s_cmp_ge_u32 s35, s20
	s_cbranch_scc1 .LBB172_29
.LBB172_17:                             ;   Parent Loop BB172_12 Depth=1
                                        ; =>  This Loop Header: Depth=2
                                        ;       Child Loop BB172_22 Depth 3
	s_cmp_eq_u32 s35, 0
	s_cselect_b64 s[10:11], -1, 0
	s_add_i32 s28, s34, s39
	s_cmp_eq_u32 s35, s28
	s_cselect_b64 s[30:31], -1, 0
	s_or_b64 s[30:31], s[10:11], s[30:31]
	s_andn2_b64 vcc, exec, s[30:31]
	s_cbranch_vccz .LBB172_19
; %bb.18:                               ;   in Loop: Header=BB172_17 Depth=2
	s_and_saveexec_b64 s[10:11], s[8:9]
	s_cbranch_execz .LBB172_16
	s_branch .LBB172_26
.LBB172_19:                             ;   in Loop: Header=BB172_17 Depth=2
	s_and_b64 s[10:11], s[10:11], exec
	s_cselect_b32 s34, s34, s28
	s_and_b64 vcc, exec, s[4:5]
	s_barrier
	s_cbranch_vccnz .LBB172_25
; %bb.20:                               ;   in Loop: Header=BB172_17 Depth=2
	v_add_u32_e32 v22, s34, v75
	s_mov_b32 s36, 0
	s_mov_b64 s[28:29], 0
	v_mov_b32_e32 v23, v74
                                        ; implicit-def: $sgpr30_sgpr31
	s_branch .LBB172_22
.LBB172_21:                             ;   in Loop: Header=BB172_22 Depth=3
	s_or_b64 exec, exec, s[10:11]
	s_and_b64 s[10:11], exec, s[30:31]
	s_or_b64 s[28:29], s[10:11], s[28:29]
	s_andn2_b64 exec, exec, s[28:29]
	s_cbranch_execz .LBB172_24
.LBB172_22:                             ;   Parent Loop BB172_12 Depth=1
                                        ;     Parent Loop BB172_17 Depth=2
                                        ; =>    This Inner Loop Header: Depth=3
	v_add_u32_e32 v24, s36, v75
	v_add_u32_e32 v0, s36, v22
	v_cmp_gt_u32_e32 vcc, s22, v0
	v_cmp_gt_u32_e64 s[10:11], s39, v24
	s_and_b64 s[48:49], s[10:11], vcc
	s_or_b64 s[30:31], s[30:31], exec
	s_and_saveexec_b64 s[10:11], s[48:49]
	s_cbranch_execz .LBB172_21
; %bb.23:                               ;   in Loop: Header=BB172_22 Depth=3
	v_lshl_add_u64 v[24:25], v[0:1], 1, s[14:15]
	global_load_dwordx4 v[24:27], v[24:25], off
	s_add_i32 s36, s36, s40
	s_cmp_ge_u32 s36, s39
	s_cselect_b64 s[48:49], -1, 0
	s_andn2_b64 s[30:31], s[30:31], exec
	s_and_b64 s[48:49], s[48:49], exec
	s_or_b64 s[30:31], s[30:31], s[48:49]
	s_waitcnt vmcnt(0)
	ds_write_b128 v23, v[24:27]
	v_add_u32_e32 v23, s45, v23
	s_branch .LBB172_21
.LBB172_24:                             ;   in Loop: Header=BB172_17 Depth=2
	s_or_b64 exec, exec, s[28:29]
.LBB172_25:                             ;   in Loop: Header=BB172_17 Depth=2
	s_waitcnt lgkmcnt(0)
	s_barrier
	s_and_saveexec_b64 s[10:11], s[8:9]
	s_cbranch_execz .LBB172_16
.LBB172_26:                             ;   in Loop: Header=BB172_17 Depth=2
	v_add_u32_e32 v63, s35, v72
	v_min_u32_e32 v0, s41, v63
	v_lshl_add_u64 v[22:23], v[0:1], 1, s[12:13]
	v_lshl_add_u64 v[24:25], v[22:23], 0, v[64:65]
	v_add_u32_e32 v76, 0x100, v63
	v_lshl_add_u64 v[26:27], v[22:23], 0, v[66:67]
	global_load_dwordx4 v[54:57], v[24:25], off nt
	global_load_dwordx4 v[50:53], v[26:27], off nt
	v_lshl_add_u64 v[24:25], v[22:23], 0, v[68:69]
	v_lshl_add_u64 v[22:23], v[22:23], 0, v[70:71]
	v_min_u32_e32 v0, s41, v76
	global_load_dwordx4 v[46:49], v[24:25], off nt
	global_load_dwordx4 v[38:41], v[22:23], off nt
	v_lshl_add_u64 v[22:23], v[0:1], 1, s[12:13]
	v_lshl_add_u64 v[24:25], v[22:23], 0, v[64:65]
	;; [unrolled: 1-line block ×4, first 2 shown]
	global_load_dwordx4 v[42:45], v[24:25], off nt
	global_load_dwordx4 v[30:33], v[26:27], off nt
	v_lshl_add_u64 v[36:37], v[22:23], 0, v[70:71]
	global_load_dwordx4 v[26:29], v[34:35], off nt
	global_load_dwordx4 v[22:25], v[36:37], off nt
	v_cmp_gt_u32_e32 vcc, s20, v63
	v_mov_b32_e32 v58, 0
	v_mov_b32_e32 v59, 0
	;; [unrolled: 1-line block ×8, first 2 shown]
	s_and_saveexec_b64 s[28:29], vcc
	s_cbranch_execz .LBB172_15
; %bb.27:                               ;   in Loop: Header=BB172_17 Depth=2
	v_subrev_u32_e32 v0, s34, v63
	v_lshlrev_b32_e32 v0, 1, v0
	ds_read_b128 v[58:61], v0
	v_cmp_gt_u32_e32 vcc, s20, v76
	v_mov_b32_e32 v37, 0
	v_mov_b32_e32 v36, 0
	v_mov_b32_e32 v35, 0
	v_mov_b32_e32 v34, 0
	s_and_saveexec_b64 s[30:31], vcc
	s_cbranch_execz .LBB172_14
; %bb.28:                               ;   in Loop: Header=BB172_17 Depth=2
	ds_read_b128 v[34:37], v0 offset:512
	s_branch .LBB172_14
.LBB172_29:                             ;   in Loop: Header=BB172_12 Depth=1
	v_cmp_le_u32_e32 vcc, s23, v62
	s_and_saveexec_b64 s[8:9], vcc
	s_xor_b64 s[8:9], exec, s[8:9]
; %bb.30:                               ;   in Loop: Header=BB172_12 Depth=1
	v_add_u32_e32 v62, s43, v62
                                        ; implicit-def: $vgpr9
                                        ; implicit-def: $vgpr13
                                        ; implicit-def: $vgpr17
                                        ; implicit-def: $vgpr21
; %bb.31:                               ;   in Loop: Header=BB172_12 Depth=1
	s_andn2_saveexec_b64 s[10:11], s[8:9]
	s_cbranch_execz .LBB172_11
; %bb.32:                               ;   in Loop: Header=BB172_12 Depth=1
	v_cvt_i32_f32_e32 v0, v19
	v_cvt_i32_f32_e32 v19, v20
	;; [unrolled: 1-line block ×4, first 2 shown]
	v_cvt_f32_i32_dpp v0, v0 row_shl:1 row_mask:0xf bank_mask:0xf bound_ctrl:1
	v_cvt_f32_i32_dpp v19, v19 row_shl:2 row_mask:0xf bank_mask:0xf bound_ctrl:1
	v_cvt_i32_f32_e32 v16, v16
	v_cvt_f32_i32_dpp v20, v20 row_shl:3 row_mask:0xf bank_mask:0xf bound_ctrl:1
	v_cvt_i32_f32_e32 v17, v17
	v_cvt_i32_f32_e32 v11, v11
	v_add_f32_e32 v0, v18, v0
	v_cvt_f32_i32_dpp v15, v15 row_shl:1 row_mask:0xf bank_mask:0xf bound_ctrl:1
	v_cvt_i32_f32_e32 v7, v7
	v_add_f32_e32 v0, v0, v19
	v_cvt_f32_i32_dpp v16, v16 row_shl:2 row_mask:0xf bank_mask:0xf bound_ctrl:1
	v_cvt_i32_f32_e32 v12, v12
	v_cvt_i32_f32_e32 v8, v8
	v_add_f32_e32 v0, v0, v20
	v_cvt_f32_i32_dpp v17, v17 row_shl:3 row_mask:0xf bank_mask:0xf bound_ctrl:1
	v_cvt_f32_i32_dpp v11, v11 row_shl:1 row_mask:0xf bank_mask:0xf bound_ctrl:1
	v_cvt_i32_f32_e32 v13, v13
	v_cvt_i32_f32_e32 v9, v9
	;; [unrolled: 1-line block ×3, first 2 shown]
	v_add_f32_e32 v14, v14, v15
	v_cvt_f32_i32_dpp v7, v7 row_shl:1 row_mask:0xf bank_mask:0xf bound_ctrl:1
	v_add_f32_e32 v14, v14, v16
	v_cvt_f32_i32_dpp v12, v12 row_shl:2 row_mask:0xf bank_mask:0xf bound_ctrl:1
	v_cvt_f32_i32_dpp v8, v8 row_shl:2 row_mask:0xf bank_mask:0xf bound_ctrl:1
	v_add_f32_e32 v14, v14, v17
	v_add_f32_e32 v10, v10, v11
	v_cvt_f32_i32_dpp v11, v13 row_shl:3 row_mask:0xf bank_mask:0xf bound_ctrl:1
	v_cvt_f32_i32_dpp v9, v9 row_shl:3 row_mask:0xf bank_mask:0xf bound_ctrl:1
	;; [unrolled: 1-line block ×3, first 2 shown]
	v_cvt_i32_f32_e32 v15, v14
	v_add_f32_e32 v6, v6, v7
	v_add_f32_e32 v10, v10, v12
	;; [unrolled: 1-line block ×6, first 2 shown]
	v_cvt_f32_i32_dpp v15, v15 row_shl:4 row_mask:0xf bank_mask:0xf bound_ctrl:1
	v_cvt_i32_f32_e32 v11, v10
	v_cvt_i32_f32_e32 v7, v6
	;; [unrolled: 1-line block ×3, first 2 shown]
	v_add_f32_e32 v14, v14, v15
	v_cvt_f32_i32_dpp v9, v11 row_shl:4 row_mask:0xf bank_mask:0xf bound_ctrl:1
	v_cvt_f32_i32_dpp v7, v7 row_shl:4 row_mask:0xf bank_mask:0xf bound_ctrl:1
	v_cvt_f32_i32_dpp v16, v16 row_shl:8 row_mask:0xf bank_mask:0xf bound_ctrl:1
	v_cvt_i32_f32_e32 v15, v14
	v_add_f32_e32 v9, v10, v9
	v_add_f32_e32 v6, v6, v7
	;; [unrolled: 1-line block ×3, first 2 shown]
	v_cvt_f32_i32_dpp v8, v15 row_shl:8 row_mask:0xf bank_mask:0xf bound_ctrl:1
	v_cvt_i32_f32_e32 v10, v9
	v_cvt_i32_f32_e32 v7, v6
	;; [unrolled: 1-line block ×3, first 2 shown]
	v_add_f32_e32 v8, v14, v8
	v_cvt_f32_i32_dpp v10, v10 row_shl:8 row_mask:0xf bank_mask:0xf bound_ctrl:1
	v_cvt_f32_i32_dpp v7, v7 row_shl:8 row_mask:0xf bank_mask:0xf bound_ctrl:1
	v_cvt_f32_i32_dpp v0, v0 row_shr:15 row_mask:0xf bank_mask:0xf bound_ctrl:1
	v_cvt_i32_f32_e32 v8, v8
	v_add_f32_e32 v9, v9, v10
	v_add_f32_e32 v6, v6, v7
	v_cvt_i32_f32_e32 v11, v0
	v_cvt_f32_i32_dpp v8, v8 row_shr:15 row_mask:0xf bank_mask:0xf bound_ctrl:1
	v_cvt_i32_f32_e32 v9, v9
	v_cvt_i32_f32_e32 v6, v6
	v_cvt_f32_i32_dpp v7, v11 row_bcast:15 row_mask:0xf bank_mask:0xf bound_ctrl:1
	v_cvt_i32_f32_e32 v10, v8
	v_cvt_f32_i32_dpp v9, v9 row_shr:15 row_mask:0xf bank_mask:0xf bound_ctrl:1
	v_cvt_f32_i32_dpp v6, v6 row_shr:15 row_mask:0xf bank_mask:0xf bound_ctrl:1
	v_add_f32_e32 v15, v0, v7
	v_cvt_f32_i32_dpp v7, v10 row_bcast:15 row_mask:0xf bank_mask:0xf bound_ctrl:1
	v_cvt_i32_f32_e32 v0, v9
	v_cvt_i32_f32_e32 v10, v6
	;; [unrolled: 1-line block ×3, first 2 shown]
	v_add_f32_e32 v12, v8, v7
	v_cvt_f32_i32_dpp v0, v0 row_bcast:15 row_mask:0xf bank_mask:0xf bound_ctrl:1
	v_cvt_f32_i32_dpp v7, v10 row_bcast:15 row_mask:0xf bank_mask:0xf bound_ctrl:1
	v_cvt_i32_f32_e32 v8, v12
	v_mov_b32_dpp v16, v11 row_bcast:31 row_mask:0xf bank_mask:0xf bound_ctrl:1
	v_add_f32_e32 v9, v9, v0
	v_add_f32_e32 v7, v6, v7
	v_cvt_i32_f32_e32 v0, v9
	v_cvt_i32_f32_e32 v6, v7
	v_mov_b32_dpp v13, v8 row_bcast:31 row_mask:0xf bank_mask:0xf bound_ctrl:1
	v_mov_b32_dpp v10, v0 row_bcast:31 row_mask:0xf bank_mask:0xf bound_ctrl:1
	;; [unrolled: 1-line block ×3, first 2 shown]
	s_and_saveexec_b64 s[8:9], s[0:1]
	s_cbranch_execz .LBB172_59
; %bb.33:                               ;   in Loop: Header=BB172_12 Depth=1
	s_and_b64 vcc, exec, s[6:7]
	v_mov_b32_e32 v11, 0
	v_add_u32_e32 v0, 2, v62
	v_add_u32_e32 v6, 3, v62
	v_mov_b32_e32 v14, 0
	v_mov_b32_e32 v17, 0
	v_mov_b32_e32 v18, 0
	s_cbranch_vccnz .LBB172_35
; %bb.34:                               ;   in Loop: Header=BB172_12 Depth=1
	v_mul_hi_u32 v11, v62, v73
	v_mul_lo_u32 v11, v11, s38
	v_sub_u32_e32 v11, v62, v11
	v_subrev_u32_e32 v14, s38, v11
	v_cmp_le_u32_e32 vcc, s38, v11
	v_mov_b32_e32 v19, v1
	s_nop 0
	v_cndmask_b32_e32 v11, v11, v14, vcc
	v_subrev_u32_e32 v14, s38, v11
	v_cmp_le_u32_e32 vcc, s38, v11
	s_nop 1
	v_cndmask_b32_e32 v18, v11, v14, vcc
	v_add_u32_e32 v11, 1, v62
	v_mul_hi_u32 v14, v11, v73
	v_mul_lo_u32 v14, v14, s38
	v_sub_u32_e32 v11, v11, v14
	v_subrev_u32_e32 v14, s38, v11
	v_cmp_le_u32_e32 vcc, s38, v11
	v_lshl_add_u64 v[20:21], v[18:19], 1, s[16:17]
	s_nop 0
	v_cndmask_b32_e32 v11, v11, v14, vcc
	v_subrev_u32_e32 v14, s38, v11
	v_cmp_le_u32_e32 vcc, s38, v11
	s_nop 1
	v_cndmask_b32_e32 v18, v11, v14, vcc
	v_mul_hi_u32 v11, v0, v73
	v_mul_lo_u32 v11, v11, s38
	v_sub_u32_e32 v11, v0, v11
	v_subrev_u32_e32 v14, s38, v11
	v_cmp_le_u32_e32 vcc, s38, v11
	v_lshl_add_u64 v[22:23], v[18:19], 1, s[16:17]
	s_nop 0
	v_cndmask_b32_e32 v11, v11, v14, vcc
	v_subrev_u32_e32 v14, s38, v11
	v_cmp_le_u32_e32 vcc, s38, v11
	s_nop 1
	v_cndmask_b32_e32 v18, v11, v14, vcc
	;; [unrolled: 12-line block ×3, first 2 shown]
	v_lshl_add_u64 v[26:27], v[18:19], 1, s[16:17]
	global_load_ushort v18, v[20:21], off
	global_load_ushort v17, v[22:23], off
	;; [unrolled: 1-line block ×4, first 2 shown]
.LBB172_35:                             ;   in Loop: Header=BB172_12 Depth=1
	v_cmp_ne_u32_e32 vcc, 0, v2
	s_and_saveexec_b64 s[28:29], vcc
	s_cbranch_execnz .LBB172_39
; %bb.36:                               ;   in Loop: Header=BB172_12 Depth=1
	s_or_b64 exec, exec, s[28:29]
	v_cmp_ne_u32_e32 vcc, 0, v3
	s_and_saveexec_b64 s[28:29], vcc
	s_cbranch_execnz .LBB172_44
.LBB172_37:                             ;   in Loop: Header=BB172_12 Depth=1
	s_or_b64 exec, exec, s[28:29]
	v_cmp_ne_u32_e32 vcc, 0, v4
	s_and_saveexec_b64 s[28:29], vcc
	s_cbranch_execnz .LBB172_49
.LBB172_38:                             ;   in Loop: Header=BB172_12 Depth=1
	s_or_b64 exec, exec, s[28:29]
	v_cmp_ne_u32_e32 vcc, 0, v5
	s_and_b64 exec, exec, vcc
	s_cbranch_execnz .LBB172_54
	s_branch .LBB172_59
.LBB172_39:                             ;   in Loop: Header=BB172_12 Depth=1
	v_cvt_f32_i32_e32 v16, v16
	v_add_f32_e32 v15, v15, v16
	s_waitcnt vmcnt(3)
	v_lshlrev_b32_e32 v16, 16, v18
	v_add_f32_e32 v16, v15, v16
	v_and_b32_e32 v15, 0x7f800000, v16
	v_cmp_ne_u32_e32 vcc, s46, v15
                                        ; implicit-def: $vgpr15
	s_and_saveexec_b64 s[30:31], vcc
	s_xor_b64 s[30:31], exec, s[30:31]
; %bb.40:                               ;   in Loop: Header=BB172_12 Depth=1
	v_bfe_u32 v15, v16, 16, 1
	v_add3_u32 v15, v16, v15, s47
                                        ; implicit-def: $vgpr16
; %bb.41:                               ;   in Loop: Header=BB172_12 Depth=1
	s_andn2_saveexec_b64 s[30:31], s[30:31]
; %bb.42:                               ;   in Loop: Header=BB172_12 Depth=1
	v_or_b32_e32 v15, 0x10000, v16
	v_cmp_eq_u32_sdwa vcc, v16, v1 src0_sel:WORD_0 src1_sel:DWORD
	s_nop 1
	v_cndmask_b32_e32 v15, v15, v16, vcc
; %bb.43:                               ;   in Loop: Header=BB172_12 Depth=1
	s_or_b64 exec, exec, s[30:31]
	v_mov_b32_e32 v63, v1
	v_lshl_add_u64 v[18:19], v[62:63], 1, s[18:19]
	global_store_short_d16_hi v[18:19], v15, off
	s_or_b64 exec, exec, s[28:29]
	v_cmp_ne_u32_e32 vcc, 0, v3
	s_and_saveexec_b64 s[28:29], vcc
	s_cbranch_execz .LBB172_37
.LBB172_44:                             ;   in Loop: Header=BB172_12 Depth=1
	v_cvt_f32_i32_e32 v13, v13
	v_add_f32_e32 v12, v12, v13
	s_waitcnt vmcnt(2)
	v_lshlrev_b32_e32 v13, 16, v17
	v_add_f32_e32 v13, v12, v13
	v_and_b32_e32 v12, 0x7f800000, v13
	v_cmp_ne_u32_e32 vcc, s46, v12
                                        ; implicit-def: $vgpr12
	s_and_saveexec_b64 s[30:31], vcc
	s_xor_b64 s[30:31], exec, s[30:31]
; %bb.45:                               ;   in Loop: Header=BB172_12 Depth=1
	v_bfe_u32 v12, v13, 16, 1
	v_add3_u32 v12, v13, v12, s47
                                        ; implicit-def: $vgpr13
; %bb.46:                               ;   in Loop: Header=BB172_12 Depth=1
	s_andn2_saveexec_b64 s[30:31], s[30:31]
; %bb.47:                               ;   in Loop: Header=BB172_12 Depth=1
	v_or_b32_e32 v12, 0x10000, v13
	v_cmp_eq_u32_sdwa vcc, v13, v1 src0_sel:WORD_0 src1_sel:DWORD
	s_nop 1
	v_cndmask_b32_e32 v12, v12, v13, vcc
; %bb.48:                               ;   in Loop: Header=BB172_12 Depth=1
	s_or_b64 exec, exec, s[30:31]
	v_mov_b32_e32 v63, v1
	v_lshl_add_u64 v[16:17], v[62:63], 1, s[26:27]
	global_store_short_d16_hi v[16:17], v12, off
	s_or_b64 exec, exec, s[28:29]
	v_cmp_ne_u32_e32 vcc, 0, v4
	s_and_saveexec_b64 s[28:29], vcc
	s_cbranch_execz .LBB172_38
.LBB172_49:                             ;   in Loop: Header=BB172_12 Depth=1
	v_cvt_f32_i32_e32 v10, v10
	v_add_f32_e32 v9, v9, v10
	s_waitcnt vmcnt(1)
	v_lshlrev_b32_e32 v10, 16, v14
	v_add_f32_e32 v10, v9, v10
	v_and_b32_e32 v9, 0x7f800000, v10
	v_cmp_ne_u32_e32 vcc, s46, v9
                                        ; implicit-def: $vgpr9
	s_and_saveexec_b64 s[30:31], vcc
	s_xor_b64 s[30:31], exec, s[30:31]
; %bb.50:                               ;   in Loop: Header=BB172_12 Depth=1
	v_bfe_u32 v9, v10, 16, 1
	v_add3_u32 v9, v10, v9, s47
                                        ; implicit-def: $vgpr10
; %bb.51:                               ;   in Loop: Header=BB172_12 Depth=1
	s_andn2_saveexec_b64 s[30:31], s[30:31]
; %bb.52:                               ;   in Loop: Header=BB172_12 Depth=1
	v_or_b32_e32 v9, 0x10000, v10
	v_cmp_eq_u32_sdwa vcc, v10, v1 src0_sel:WORD_0 src1_sel:DWORD
	s_nop 1
	v_cndmask_b32_e32 v9, v9, v10, vcc
; %bb.53:                               ;   in Loop: Header=BB172_12 Depth=1
	s_or_b64 exec, exec, s[30:31]
	v_lshl_add_u64 v[12:13], v[0:1], 1, s[18:19]
	global_store_short_d16_hi v[12:13], v9, off
	s_or_b64 exec, exec, s[28:29]
	v_cmp_ne_u32_e32 vcc, 0, v5
	s_and_b64 exec, exec, vcc
	s_cbranch_execz .LBB172_59
.LBB172_54:                             ;   in Loop: Header=BB172_12 Depth=1
	v_cvt_f32_i32_e32 v0, v8
	v_add_f32_e32 v0, v7, v0
	s_waitcnt vmcnt(0)
	v_lshlrev_b32_e32 v7, 16, v11
	v_add_f32_e32 v7, v0, v7
	v_and_b32_e32 v0, 0x7f800000, v7
	v_cmp_ne_u32_e32 vcc, s46, v0
                                        ; implicit-def: $vgpr0
	s_and_saveexec_b64 s[28:29], vcc
	s_xor_b64 s[28:29], exec, s[28:29]
; %bb.55:                               ;   in Loop: Header=BB172_12 Depth=1
	v_bfe_u32 v0, v7, 16, 1
	v_add3_u32 v0, v7, v0, s47
                                        ; implicit-def: $vgpr7
; %bb.56:                               ;   in Loop: Header=BB172_12 Depth=1
	s_andn2_saveexec_b64 s[28:29], s[28:29]
; %bb.57:                               ;   in Loop: Header=BB172_12 Depth=1
	v_or_b32_e32 v0, 0x10000, v7
	v_cmp_eq_u32_sdwa vcc, v7, v1 src0_sel:WORD_0 src1_sel:DWORD
	s_nop 1
	v_cndmask_b32_e32 v0, v0, v7, vcc
; %bb.58:                               ;   in Loop: Header=BB172_12 Depth=1
	s_or_b64 exec, exec, s[28:29]
	v_mov_b32_e32 v7, v1
	v_lshl_add_u64 v[6:7], v[6:7], 1, s[18:19]
	global_store_short_d16_hi v[6:7], v0, off
.LBB172_59:                             ;   in Loop: Header=BB172_12 Depth=1
	s_or_b64 exec, exec, s[8:9]
	v_add_u32_e32 v62, s43, v62
	v_add_u32_e32 v0, 4, v62
	v_cmp_gt_u32_e32 vcc, s23, v62
	v_cmp_le_u32_e64 s[8:9], s23, v0
	s_and_b64 s[8:9], vcc, s[8:9]
	s_and_saveexec_b64 s[28:29], s[8:9]
	s_cbranch_execz .LBB172_10
; %bb.60:                               ;   in Loop: Header=BB172_12 Depth=1
	v_cmp_ne_u32_e32 vcc, s44, v62
	s_and_saveexec_b64 s[30:31], vcc
	s_cbranch_execz .LBB172_9
; %bb.61:                               ;   in Loop: Header=BB172_12 Depth=1
	v_subrev_u32_e32 v0, s44, v62
	v_cmp_lt_u32_e32 vcc, 1, v0
	s_mov_b64 s[34:35], 0
	s_mov_b64 s[36:37], 0
	v_cndmask_b32_e32 v0, 1, v0, vcc
.LBB172_62:                             ;   Parent Loop BB172_12 Depth=1
                                        ; =>  This Inner Loop Header: Depth=2
	s_cmp_lg_u32 s36, 3
	s_cselect_b64 vcc, -1, 0
	s_cmp_lg_u32 s36, 2
	v_cndmask_b32_e32 v5, 0, v5, vcc
	s_cselect_b64 vcc, -1, 0
	s_cmp_lg_u32 s36, 1
	v_cndmask_b32_e32 v4, 0, v4, vcc
	;; [unrolled: 3-line block ×3, first 2 shown]
	s_cselect_b64 vcc, -1, 0
	s_add_u32 s36, s36, 1
	s_addc_u32 s37, s37, 0
	v_cmp_eq_u32_e64 s[8:9], s36, v0
	s_or_b64 s[34:35], s[8:9], s[34:35]
	v_cndmask_b32_e32 v2, 0, v2, vcc
	s_andn2_b64 exec, exec, s[34:35]
	s_cbranch_execnz .LBB172_62
; %bb.63:                               ;   in Loop: Header=BB172_12 Depth=1
	s_or_b64 exec, exec, s[34:35]
	s_branch .LBB172_9
.LBB172_64:
	s_endpgm
	.section	.rodata,"a",@progbits
	.p2align	6, 0x0
	.amdhsa_kernel _Z16wvSplitK_hf_big_I14__hip_bfloat16Li32ELi4ELi16ELi8ELi2ELi1EEviiiiiiPKT_S3_S3_PS1_ii
		.amdhsa_group_segment_fixed_size 65536
		.amdhsa_private_segment_fixed_size 0
		.amdhsa_kernarg_size 64
		.amdhsa_user_sgpr_count 2
		.amdhsa_user_sgpr_dispatch_ptr 0
		.amdhsa_user_sgpr_queue_ptr 0
		.amdhsa_user_sgpr_kernarg_segment_ptr 1
		.amdhsa_user_sgpr_dispatch_id 0
		.amdhsa_user_sgpr_kernarg_preload_length 0
		.amdhsa_user_sgpr_kernarg_preload_offset 0
		.amdhsa_user_sgpr_private_segment_size 0
		.amdhsa_uses_dynamic_stack 0
		.amdhsa_enable_private_segment 0
		.amdhsa_system_sgpr_workgroup_id_x 1
		.amdhsa_system_sgpr_workgroup_id_y 0
		.amdhsa_system_sgpr_workgroup_id_z 0
		.amdhsa_system_sgpr_workgroup_info 0
		.amdhsa_system_vgpr_workitem_id 1
		.amdhsa_next_free_vgpr 77
		.amdhsa_next_free_sgpr 50
		.amdhsa_accum_offset 80
		.amdhsa_reserve_vcc 1
		.amdhsa_float_round_mode_32 0
		.amdhsa_float_round_mode_16_64 0
		.amdhsa_float_denorm_mode_32 3
		.amdhsa_float_denorm_mode_16_64 3
		.amdhsa_dx10_clamp 1
		.amdhsa_ieee_mode 1
		.amdhsa_fp16_overflow 0
		.amdhsa_tg_split 0
		.amdhsa_exception_fp_ieee_invalid_op 0
		.amdhsa_exception_fp_denorm_src 0
		.amdhsa_exception_fp_ieee_div_zero 0
		.amdhsa_exception_fp_ieee_overflow 0
		.amdhsa_exception_fp_ieee_underflow 0
		.amdhsa_exception_fp_ieee_inexact 0
		.amdhsa_exception_int_div_zero 0
	.end_amdhsa_kernel
	.section	.text._Z16wvSplitK_hf_big_I14__hip_bfloat16Li32ELi4ELi16ELi8ELi2ELi1EEviiiiiiPKT_S3_S3_PS1_ii,"axG",@progbits,_Z16wvSplitK_hf_big_I14__hip_bfloat16Li32ELi4ELi16ELi8ELi2ELi1EEviiiiiiPKT_S3_S3_PS1_ii,comdat
.Lfunc_end172:
	.size	_Z16wvSplitK_hf_big_I14__hip_bfloat16Li32ELi4ELi16ELi8ELi2ELi1EEviiiiiiPKT_S3_S3_PS1_ii, .Lfunc_end172-_Z16wvSplitK_hf_big_I14__hip_bfloat16Li32ELi4ELi16ELi8ELi2ELi1EEviiiiiiPKT_S3_S3_PS1_ii
                                        ; -- End function
	.section	.AMDGPU.csdata,"",@progbits
; Kernel info:
; codeLenInByte = 3108
; NumSgprs: 56
; NumVgprs: 77
; NumAgprs: 0
; TotalNumVgprs: 77
; ScratchSize: 0
; MemoryBound: 0
; FloatMode: 240
; IeeeMode: 1
; LDSByteSize: 65536 bytes/workgroup (compile time only)
; SGPRBlocks: 6
; VGPRBlocks: 9
; NumSGPRsForWavesPerEU: 56
; NumVGPRsForWavesPerEU: 77
; AccumOffset: 80
; Occupancy: 2
; WaveLimiterHint : 0
; COMPUTE_PGM_RSRC2:SCRATCH_EN: 0
; COMPUTE_PGM_RSRC2:USER_SGPR: 2
; COMPUTE_PGM_RSRC2:TRAP_HANDLER: 0
; COMPUTE_PGM_RSRC2:TGID_X_EN: 1
; COMPUTE_PGM_RSRC2:TGID_Y_EN: 0
; COMPUTE_PGM_RSRC2:TGID_Z_EN: 0
; COMPUTE_PGM_RSRC2:TIDIG_COMP_CNT: 1
; COMPUTE_PGM_RSRC3_GFX90A:ACCUM_OFFSET: 19
; COMPUTE_PGM_RSRC3_GFX90A:TG_SPLIT: 0
	.section	.text._Z16wvSplitK_hf_sml_I14__hip_bfloat16Li64ELi1ELi16ELi8ELi4ELi1EEviiiiiiPKT_S3_S3_PS1_ii,"axG",@progbits,_Z16wvSplitK_hf_sml_I14__hip_bfloat16Li64ELi1ELi16ELi8ELi4ELi1EEviiiiiiPKT_S3_S3_PS1_ii,comdat
	.protected	_Z16wvSplitK_hf_sml_I14__hip_bfloat16Li64ELi1ELi16ELi8ELi4ELi1EEviiiiiiPKT_S3_S3_PS1_ii ; -- Begin function _Z16wvSplitK_hf_sml_I14__hip_bfloat16Li64ELi1ELi16ELi8ELi4ELi1EEviiiiiiPKT_S3_S3_PS1_ii
	.globl	_Z16wvSplitK_hf_sml_I14__hip_bfloat16Li64ELi1ELi16ELi8ELi4ELi1EEviiiiiiPKT_S3_S3_PS1_ii
	.p2align	8
	.type	_Z16wvSplitK_hf_sml_I14__hip_bfloat16Li64ELi1ELi16ELi8ELi4ELi1EEviiiiiiPKT_S3_S3_PS1_ii,@function
_Z16wvSplitK_hf_sml_I14__hip_bfloat16Li64ELi1ELi16ELi8ELi4ELi1EEviiiiiiPKT_S3_S3_PS1_ii: ; @_Z16wvSplitK_hf_sml_I14__hip_bfloat16Li64ELi1ELi16ELi8ELi4ELi1EEviiiiiiPKT_S3_S3_PS1_ii
; %bb.0:
	s_load_dwordx4 s[4:7], s[0:1], 0x0
	s_load_dword s26, s[0:1], 0x10
	s_load_dwordx2 s[8:9], s[0:1], 0x28
	v_and_b32_e32 v2, 0x3ff, v0
	v_bfe_u32 v3, v0, 10, 10
	v_lshlrev_b32_e32 v42, 3, v2
	v_lshl_add_u32 v4, v3, 9, v42
	s_waitcnt lgkmcnt(0)
	s_min_u32 s3, s6, 0x8000
	v_cmp_gt_u32_e32 vcc, s3, v4
	s_and_saveexec_b64 s[10:11], vcc
	s_cbranch_execz .LBB173_3
; %bb.1:
	s_load_dwordx2 s[12:13], s[0:1], 0x20
	v_mov_b32_e32 v7, 0
	v_lshlrev_b32_e32 v6, 10, v3
	v_lshlrev_b32_e32 v8, 4, v2
	v_mov_b32_e32 v9, v7
	v_lshl_add_u64 v[0:1], v[6:7], 0, v[8:9]
	s_waitcnt lgkmcnt(0)
	v_lshl_add_u64 v[0:1], s[12:13], 0, v[0:1]
	v_add_u32_e32 v5, v6, v8
	s_mov_b64 s[12:13], 0
	s_mov_b64 s[14:15], 0x4000
.LBB173_2:                              ; =>This Inner Loop Header: Depth=1
	global_load_dwordx4 v[6:9], v[0:1], off
	v_add_u32_e32 v4, 0x2000, v4
	v_cmp_le_u32_e32 vcc, s3, v4
	v_lshl_add_u64 v[0:1], v[0:1], 0, s[14:15]
	s_or_b64 s[12:13], vcc, s[12:13]
	s_waitcnt vmcnt(0)
	ds_write_b128 v5, v[6:9]
	v_add_u32_e32 v5, 0x4000, v5
	s_andn2_b64 exec, exec, s[12:13]
	s_cbranch_execnz .LBB173_2
.LBB173_3:
	s_or_b64 exec, exec, s[10:11]
	s_load_dwordx2 s[18:19], s[0:1], 0x38
	s_waitcnt lgkmcnt(0)
	s_barrier
	v_cmp_gt_u32_e32 vcc, s18, v3
	s_and_saveexec_b64 s[10:11], vcc
	s_cbranch_execz .LBB173_27
; %bb.4:
	s_mul_i32 s2, s2, s18
	v_add_u32_e32 v36, s2, v3
	v_cmp_gt_u32_e32 vcc, s7, v36
	s_and_b64 exec, exec, vcc
	s_cbranch_execz .LBB173_27
; %bb.5:
	v_cvt_f32_u32_e32 v0, s26
	s_cmp_lg_u32 s4, 0
	s_cselect_b64 s[2:3], -1, 0
	s_add_i32 s6, s4, -8
	v_rcp_iflag_f32_e32 v0, v0
	s_add_i32 s27, s7, -1
	s_cmp_lg_u64 s[8:9], 0
	s_load_dwordx2 s[10:11], s[0:1], 0x18
	s_load_dwordx2 s[12:13], s[0:1], 0x30
	v_mul_f32_e32 v0, 0x4f7ffffe, v0
	v_cvt_u32_f32_e32 v0, v0
	s_cselect_b64 s[16:17], -1, 0
	s_mul_i32 s28, s19, s18
	s_sub_i32 s18, 0, s26
	v_mul_lo_u32 v1, s18, v0
	v_mul_hi_u32 v1, v0, v1
	v_add_u32_e32 v43, v0, v1
	v_cndmask_b32_e64 v0, 0, 1, s[2:3]
	v_cmp_eq_u32_e64 s[0:1], 63, v2
	s_mov_b64 s[14:15], 0
	v_mov_b32_e32 v39, 0
	v_lshlrev_b32_e32 v44, 4, v2
	v_cmp_ne_u32_e64 s[2:3], 1, v0
	s_mov_b32 s29, 0x7f800000
	s_movk_i32 s30, 0x7fff
	s_branch .LBB173_8
.LBB173_6:                              ;   in Loop: Header=BB173_8 Depth=1
	s_or_b64 exec, exec, s[20:21]
	v_mov_b32_e32 v37, v39
	s_waitcnt lgkmcnt(0)
	v_lshl_add_u64 v[2:3], v[36:37], 1, s[12:13]
	global_store_short_d16_hi v[2:3], v0, off
.LBB173_7:                              ;   in Loop: Header=BB173_8 Depth=1
	s_or_b64 exec, exec, s[18:19]
	v_add_u32_e32 v36, s28, v36
	v_cmp_le_u32_e32 vcc, s7, v36
	s_or_b64 s[14:15], vcc, s[14:15]
	s_andn2_b64 exec, exec, s[14:15]
	s_cbranch_execz .LBB173_27
.LBB173_8:                              ; =>This Loop Header: Depth=1
                                        ;     Child Loop BB173_14 Depth 2
	s_and_b64 vcc, exec, s[2:3]
	v_mov_b32_e32 v3, v39
	v_mov_b32_e32 v2, v39
	;; [unrolled: 1-line block ×4, first 2 shown]
	s_cbranch_vccnz .LBB173_19
; %bb.9:                                ;   in Loop: Header=BB173_8 Depth=1
	v_min_u32_e32 v0, s27, v36
	v_mul_lo_u32 v38, v0, s5
	v_mov_b32_e32 v0, 0
	s_waitcnt lgkmcnt(0)
	v_lshl_add_u64 v[40:41], v[38:39], 1, s[10:11]
	s_mov_b32 s31, 0
	v_mov_b32_e32 v37, v44
	v_mov_b32_e32 v1, v0
	;; [unrolled: 1-line block ×4, first 2 shown]
	s_branch .LBB173_14
.LBB173_10:                             ;   in Loop: Header=BB173_14 Depth=2
	s_or_b64 exec, exec, s[24:25]
.LBB173_11:                             ;   in Loop: Header=BB173_14 Depth=2
	s_or_b64 exec, exec, s[22:23]
.LBB173_12:                             ;   in Loop: Header=BB173_14 Depth=2
	s_or_b64 exec, exec, s[20:21]
.LBB173_13:                             ;   in Loop: Header=BB173_14 Depth=2
	s_or_b64 exec, exec, s[18:19]
	s_waitcnt vmcnt(3) lgkmcnt(0)
	v_mfma_f32_4x4x4_16b_bf16 v[0:3], v[28:29], v[16:17], v[0:3]
	s_addk_i32 s31, 0x800
	v_add_u32_e32 v37, 0x1000, v37
	v_mfma_f32_4x4x4_16b_bf16 v[0:3], v[30:31], v[18:19], v[0:3]
	s_cmp_ge_u32 s31, s4
	s_waitcnt vmcnt(2)
	v_mfma_f32_4x4x4_16b_bf16 v[0:3], v[24:25], v[8:9], v[0:3]
	s_nop 1
	v_mfma_f32_4x4x4_16b_bf16 v[0:3], v[26:27], v[10:11], v[0:3]
	s_waitcnt vmcnt(1)
	s_nop 0
	v_mfma_f32_4x4x4_16b_bf16 v[0:3], v[32:33], v[12:13], v[0:3]
	s_nop 1
	v_mfma_f32_4x4x4_16b_bf16 v[0:3], v[34:35], v[14:15], v[0:3]
	s_waitcnt vmcnt(0)
	s_nop 0
	v_mfma_f32_4x4x4_16b_bf16 v[0:3], v[20:21], v[4:5], v[0:3]
	s_nop 1
	v_mfma_f32_4x4x4_16b_bf16 v[0:3], v[22:23], v[6:7], v[0:3]
	s_cbranch_scc1 .LBB173_19
.LBB173_14:                             ;   Parent Loop BB173_8 Depth=1
                                        ; =>  This Inner Loop Header: Depth=2
	v_add_u32_e32 v24, s31, v42
	v_min_u32_e32 v38, s6, v24
	v_add_u32_e32 v47, 0x200, v24
	v_lshl_add_u64 v[4:5], v[38:39], 1, v[40:41]
	v_min_u32_e32 v38, s6, v47
	v_add_u32_e32 v46, 0x400, v24
	v_lshl_add_u64 v[6:7], v[38:39], 1, v[40:41]
	;; [unrolled: 3-line block ×3, first 2 shown]
	v_min_u32_e32 v38, s6, v45
	global_load_dwordx4 v[16:19], v[4:5], off nt
	global_load_dwordx4 v[8:11], v[6:7], off nt
	v_lshl_add_u64 v[22:23], v[38:39], 1, v[40:41]
	global_load_dwordx4 v[12:15], v[20:21], off nt
	global_load_dwordx4 v[4:7], v[22:23], off nt
	v_cmp_gt_u32_e32 vcc, s4, v24
	v_mov_b32_e32 v26, 0
	v_mov_b32_e32 v27, 0
	;; [unrolled: 1-line block ×16, first 2 shown]
	s_and_saveexec_b64 s[18:19], vcc
	s_cbranch_execz .LBB173_13
; %bb.15:                               ;   in Loop: Header=BB173_14 Depth=2
	ds_read_b128 v[28:31], v37
	v_cmp_gt_u32_e32 vcc, s4, v47
	v_mov_b32_e32 v23, 0
	v_mov_b32_e32 v22, 0
	v_mov_b32_e32 v21, 0
	v_mov_b32_e32 v20, 0
	v_mov_b32_e32 v35, 0
	v_mov_b32_e32 v34, 0
	v_mov_b32_e32 v33, 0
	v_mov_b32_e32 v32, 0
	v_mov_b32_e32 v25, 0
	v_mov_b32_e32 v24, 0
	v_mov_b32_e32 v27, 0
	v_mov_b32_e32 v26, 0
	s_and_saveexec_b64 s[20:21], vcc
	s_cbranch_execz .LBB173_12
; %bb.16:                               ;   in Loop: Header=BB173_14 Depth=2
	ds_read_b128 v[24:27], v37 offset:1024
	v_cmp_gt_u32_e32 vcc, s4, v46
	v_mov_b32_e32 v23, 0
	v_mov_b32_e32 v22, 0
	;; [unrolled: 1-line block ×8, first 2 shown]
	s_and_saveexec_b64 s[22:23], vcc
	s_cbranch_execz .LBB173_11
; %bb.17:                               ;   in Loop: Header=BB173_14 Depth=2
	ds_read_b128 v[32:35], v37 offset:2048
	v_cmp_gt_u32_e32 vcc, s4, v45
	v_mov_b32_e32 v23, 0
	v_mov_b32_e32 v22, 0
	;; [unrolled: 1-line block ×4, first 2 shown]
	s_and_saveexec_b64 s[24:25], vcc
	s_cbranch_execz .LBB173_10
; %bb.18:                               ;   in Loop: Header=BB173_14 Depth=2
	ds_read_b128 v[20:23], v37 offset:3072
	s_branch .LBB173_10
.LBB173_19:                             ;   in Loop: Header=BB173_8 Depth=1
	; sched_barrier mask(0x00000000)
	s_nop 3
	v_cvt_i32_f32_e32 v1, v1
	v_cvt_i32_f32_e32 v2, v2
	;; [unrolled: 1-line block ×3, first 2 shown]
	v_cvt_f32_i32_dpp v1, v1 row_shl:1 row_mask:0xf bank_mask:0xf bound_ctrl:1
	v_cvt_f32_i32_dpp v2, v2 row_shl:2 row_mask:0xf bank_mask:0xf bound_ctrl:1
	;; [unrolled: 1-line block ×3, first 2 shown]
	v_add_f32_e32 v0, v0, v1
	v_add_f32_e32 v0, v0, v2
	;; [unrolled: 1-line block ×3, first 2 shown]
	v_cvt_i32_f32_e32 v1, v0
	s_nop 1
	v_cvt_f32_i32_dpp v1, v1 row_shl:4 row_mask:0xf bank_mask:0xf bound_ctrl:1
	v_add_f32_e32 v0, v0, v1
	v_cvt_i32_f32_e32 v1, v0
	s_nop 1
	v_cvt_f32_i32_dpp v1, v1 row_shl:8 row_mask:0xf bank_mask:0xf bound_ctrl:1
	v_add_f32_e32 v0, v0, v1
	v_cvt_i32_f32_e32 v0, v0
	s_nop 1
	v_cvt_f32_i32_dpp v0, v0 row_shr:15 row_mask:0xf bank_mask:0xf bound_ctrl:1
	v_cvt_i32_f32_e32 v1, v0
	s_nop 1
	v_cvt_f32_i32_dpp v1, v1 row_bcast:15 row_mask:0xf bank_mask:0xf bound_ctrl:1
	v_add_f32_e32 v0, v0, v1
	v_cvt_i32_f32_e32 v1, v0
	s_nop 1
	v_mov_b32_dpp v1, v1 row_bcast:31 row_mask:0xf bank_mask:0xf bound_ctrl:1
	s_and_saveexec_b64 s[18:19], s[0:1]
	s_cbranch_execz .LBB173_7
; %bb.20:                               ;   in Loop: Header=BB173_8 Depth=1
	s_andn2_b64 vcc, exec, s[16:17]
	s_cbranch_vccnz .LBB173_22
; %bb.21:                               ;   in Loop: Header=BB173_8 Depth=1
	v_mul_hi_u32 v2, v36, v43
	v_mul_lo_u32 v2, v2, s26
	v_sub_u32_e32 v2, v36, v2
	v_subrev_u32_e32 v3, s26, v2
	v_cmp_le_u32_e32 vcc, s26, v2
	s_nop 1
	v_cndmask_b32_e32 v2, v2, v3, vcc
	v_subrev_u32_e32 v3, s26, v2
	v_cmp_le_u32_e32 vcc, s26, v2
	s_nop 1
	v_cndmask_b32_e32 v38, v2, v3, vcc
	v_lshl_add_u64 v[2:3], v[38:39], 1, s[8:9]
	global_load_ushort v2, v[2:3], off
	s_branch .LBB173_23
.LBB173_22:                             ;   in Loop: Header=BB173_8 Depth=1
	v_mov_b32_e32 v2, 0
.LBB173_23:                             ;   in Loop: Header=BB173_8 Depth=1
	v_cvt_f32_i32_e32 v1, v1
	v_add_f32_e32 v0, v0, v1
	s_waitcnt vmcnt(0)
	v_lshlrev_b32_e32 v1, 16, v2
	v_add_f32_e32 v1, v0, v1
	v_and_b32_e32 v0, 0x7f800000, v1
	v_cmp_ne_u32_e32 vcc, s29, v0
                                        ; implicit-def: $vgpr0
	s_and_saveexec_b64 s[20:21], vcc
	s_xor_b64 s[20:21], exec, s[20:21]
; %bb.24:                               ;   in Loop: Header=BB173_8 Depth=1
	v_bfe_u32 v0, v1, 16, 1
	v_add3_u32 v0, v1, v0, s30
                                        ; implicit-def: $vgpr1
; %bb.25:                               ;   in Loop: Header=BB173_8 Depth=1
	s_andn2_saveexec_b64 s[20:21], s[20:21]
	s_cbranch_execz .LBB173_6
; %bb.26:                               ;   in Loop: Header=BB173_8 Depth=1
	v_or_b32_e32 v0, 0x10000, v1
	v_cmp_eq_u32_sdwa vcc, v1, v39 src0_sel:WORD_0 src1_sel:DWORD
	s_nop 1
	v_cndmask_b32_e32 v0, v0, v1, vcc
	s_branch .LBB173_6
.LBB173_27:
	s_endpgm
	.section	.rodata,"a",@progbits
	.p2align	6, 0x0
	.amdhsa_kernel _Z16wvSplitK_hf_sml_I14__hip_bfloat16Li64ELi1ELi16ELi8ELi4ELi1EEviiiiiiPKT_S3_S3_PS1_ii
		.amdhsa_group_segment_fixed_size 65536
		.amdhsa_private_segment_fixed_size 0
		.amdhsa_kernarg_size 64
		.amdhsa_user_sgpr_count 2
		.amdhsa_user_sgpr_dispatch_ptr 0
		.amdhsa_user_sgpr_queue_ptr 0
		.amdhsa_user_sgpr_kernarg_segment_ptr 1
		.amdhsa_user_sgpr_dispatch_id 0
		.amdhsa_user_sgpr_kernarg_preload_length 0
		.amdhsa_user_sgpr_kernarg_preload_offset 0
		.amdhsa_user_sgpr_private_segment_size 0
		.amdhsa_uses_dynamic_stack 0
		.amdhsa_enable_private_segment 0
		.amdhsa_system_sgpr_workgroup_id_x 1
		.amdhsa_system_sgpr_workgroup_id_y 0
		.amdhsa_system_sgpr_workgroup_id_z 0
		.amdhsa_system_sgpr_workgroup_info 0
		.amdhsa_system_vgpr_workitem_id 1
		.amdhsa_next_free_vgpr 48
		.amdhsa_next_free_sgpr 32
		.amdhsa_accum_offset 48
		.amdhsa_reserve_vcc 1
		.amdhsa_float_round_mode_32 0
		.amdhsa_float_round_mode_16_64 0
		.amdhsa_float_denorm_mode_32 3
		.amdhsa_float_denorm_mode_16_64 3
		.amdhsa_dx10_clamp 1
		.amdhsa_ieee_mode 1
		.amdhsa_fp16_overflow 0
		.amdhsa_tg_split 0
		.amdhsa_exception_fp_ieee_invalid_op 0
		.amdhsa_exception_fp_denorm_src 0
		.amdhsa_exception_fp_ieee_div_zero 0
		.amdhsa_exception_fp_ieee_overflow 0
		.amdhsa_exception_fp_ieee_underflow 0
		.amdhsa_exception_fp_ieee_inexact 0
		.amdhsa_exception_int_div_zero 0
	.end_amdhsa_kernel
	.section	.text._Z16wvSplitK_hf_sml_I14__hip_bfloat16Li64ELi1ELi16ELi8ELi4ELi1EEviiiiiiPKT_S3_S3_PS1_ii,"axG",@progbits,_Z16wvSplitK_hf_sml_I14__hip_bfloat16Li64ELi1ELi16ELi8ELi4ELi1EEviiiiiiPKT_S3_S3_PS1_ii,comdat
.Lfunc_end173:
	.size	_Z16wvSplitK_hf_sml_I14__hip_bfloat16Li64ELi1ELi16ELi8ELi4ELi1EEviiiiiiPKT_S3_S3_PS1_ii, .Lfunc_end173-_Z16wvSplitK_hf_sml_I14__hip_bfloat16Li64ELi1ELi16ELi8ELi4ELi1EEviiiiiiPKT_S3_S3_PS1_ii
                                        ; -- End function
	.section	.AMDGPU.csdata,"",@progbits
; Kernel info:
; codeLenInByte = 1336
; NumSgprs: 38
; NumVgprs: 48
; NumAgprs: 0
; TotalNumVgprs: 48
; ScratchSize: 0
; MemoryBound: 0
; FloatMode: 240
; IeeeMode: 1
; LDSByteSize: 65536 bytes/workgroup (compile time only)
; SGPRBlocks: 4
; VGPRBlocks: 5
; NumSGPRsForWavesPerEU: 38
; NumVGPRsForWavesPerEU: 48
; AccumOffset: 48
; Occupancy: 4
; WaveLimiterHint : 0
; COMPUTE_PGM_RSRC2:SCRATCH_EN: 0
; COMPUTE_PGM_RSRC2:USER_SGPR: 2
; COMPUTE_PGM_RSRC2:TRAP_HANDLER: 0
; COMPUTE_PGM_RSRC2:TGID_X_EN: 1
; COMPUTE_PGM_RSRC2:TGID_Y_EN: 0
; COMPUTE_PGM_RSRC2:TGID_Z_EN: 0
; COMPUTE_PGM_RSRC2:TIDIG_COMP_CNT: 1
; COMPUTE_PGM_RSRC3_GFX90A:ACCUM_OFFSET: 11
; COMPUTE_PGM_RSRC3_GFX90A:TG_SPLIT: 0
	.section	.text._Z12wvSplitK_hf_I14__hip_bfloat16Li64ELi1ELi16ELi8ELi4ELi1EEviiiiiiPKT_S3_S3_PS1_ii,"axG",@progbits,_Z12wvSplitK_hf_I14__hip_bfloat16Li64ELi1ELi16ELi8ELi4ELi1EEviiiiiiPKT_S3_S3_PS1_ii,comdat
	.protected	_Z12wvSplitK_hf_I14__hip_bfloat16Li64ELi1ELi16ELi8ELi4ELi1EEviiiiiiPKT_S3_S3_PS1_ii ; -- Begin function _Z12wvSplitK_hf_I14__hip_bfloat16Li64ELi1ELi16ELi8ELi4ELi1EEviiiiiiPKT_S3_S3_PS1_ii
	.globl	_Z12wvSplitK_hf_I14__hip_bfloat16Li64ELi1ELi16ELi8ELi4ELi1EEviiiiiiPKT_S3_S3_PS1_ii
	.p2align	8
	.type	_Z12wvSplitK_hf_I14__hip_bfloat16Li64ELi1ELi16ELi8ELi4ELi1EEviiiiiiPKT_S3_S3_PS1_ii,@function
_Z12wvSplitK_hf_I14__hip_bfloat16Li64ELi1ELi16ELi8ELi4ELi1EEviiiiiiPKT_S3_S3_PS1_ii: ; @_Z12wvSplitK_hf_I14__hip_bfloat16Li64ELi1ELi16ELi8ELi4ELi1EEviiiiiiPKT_S3_S3_PS1_ii
; %bb.0:
	s_load_dwordx2 s[4:5], s[0:1], 0x38
	s_load_dwordx4 s[8:11], s[0:1], 0x0
	s_load_dword s33, s[0:1], 0x10
	v_bfe_u32 v3, v0, 10, 10
	v_mov_b32_e32 v50, 1
	s_waitcnt lgkmcnt(0)
	s_mul_i32 s2, s2, s4
	v_add_u32_e32 v36, s2, v3
	v_add_u32_e32 v1, 1, v36
	v_cmp_gt_u32_e32 vcc, s11, v36
	v_cmp_le_u32_e64 s[2:3], s11, v1
	s_and_b64 s[6:7], vcc, s[2:3]
	s_and_saveexec_b64 s[2:3], s[6:7]
; %bb.1:
	v_subrev_u32_e32 v1, s11, v36
	v_cmp_eq_u32_e32 vcc, -1, v1
	s_add_i32 s6, s11, -1
	v_mov_b32_e32 v36, s6
	v_cndmask_b32_e64 v50, 0, 1, vcc
; %bb.2:
	s_or_b64 exec, exec, s[2:3]
	s_load_dwordx4 s[12:15], s[0:1], 0x20
	v_and_b32_e32 v2, 0x3ff, v0
	v_lshlrev_b32_e32 v51, 3, v2
	v_lshl_add_u32 v4, v3, 9, v51
	s_min_u32 s10, s10, 0x8000
	v_cmp_gt_u32_e32 vcc, s10, v4
	s_and_saveexec_b64 s[2:3], vcc
	s_cbranch_execz .LBB174_5
; %bb.3:
	v_mov_b32_e32 v7, 0
	v_lshlrev_b32_e32 v6, 10, v3
	v_lshlrev_b32_e32 v8, 4, v2
	v_mov_b32_e32 v9, v7
	v_lshl_add_u64 v[0:1], v[6:7], 0, v[8:9]
	s_waitcnt lgkmcnt(0)
	v_lshl_add_u64 v[0:1], s[12:13], 0, v[0:1]
	v_add_u32_e32 v5, v6, v8
	s_mov_b64 s[6:7], 0
	s_mov_b64 s[16:17], 0x4000
.LBB174_4:                              ; =>This Inner Loop Header: Depth=1
	global_load_dwordx4 v[6:9], v[0:1], off
	v_add_u32_e32 v4, 0x2000, v4
	v_cmp_le_u32_e32 vcc, s10, v4
	v_lshl_add_u64 v[0:1], v[0:1], 0, s[16:17]
	s_or_b64 s[6:7], vcc, s[6:7]
	s_waitcnt vmcnt(0)
	ds_write_b128 v5, v[6:9]
	v_add_u32_e32 v5, 0x4000, v5
	s_andn2_b64 exec, exec, s[6:7]
	s_cbranch_execnz .LBB174_4
.LBB174_5:
	s_or_b64 exec, exec, s[2:3]
	v_cmp_gt_u32_e32 vcc, s4, v3
	v_cmp_gt_u32_e64 s[2:3], s11, v36
	s_and_b64 s[2:3], vcc, s[2:3]
	s_waitcnt lgkmcnt(0)
	s_barrier
	s_and_saveexec_b64 s[6:7], s[2:3]
	s_cbranch_execz .LBB174_44
; %bb.6:
	v_cvt_f32_u32_e32 v0, s33
	s_cmp_lg_u32 s8, 0
	s_cselect_b64 s[2:3], -1, 0
	s_add_i32 s10, s8, -8
	v_rcp_iflag_f32_e32 v0, v0
	s_add_i32 s36, s11, -1
	s_cmp_lg_u64 s[14:15], 0
	s_load_dwordx2 s[16:17], s[0:1], 0x18
	s_load_dwordx2 s[18:19], s[0:1], 0x30
	v_mul_f32_e32 v0, 0x4f7ffffe, v0
	v_cvt_u32_f32_e32 v0, v0
	s_cselect_b64 s[22:23], -1, 0
	s_mul_i32 s37, s5, s4
	s_sub_i32 s4, 0, s33
	v_mul_lo_u32 v1, s4, v0
	v_mul_hi_u32 v1, v0, v1
	s_sub_i32 s38, s37, s11
	v_add_u32_e32 v52, v0, v1
	v_cndmask_b32_e64 v0, 0, 1, s[2:3]
	v_cmp_eq_u32_e64 s[0:1], 63, v2
	s_mov_b64 s[20:21], 0
	s_add_i32 s38, s38, 2
	v_mov_b32_e32 v39, 0
	v_lshlrev_b32_e32 v53, 4, v2
	v_cmp_ne_u32_e64 s[2:3], 1, v0
	s_movk_i32 s39, 0x7fff
	s_mov_b32 s40, 0x7f800000
	s_mov_b32 s24, 0
	s_branch .LBB174_9
.LBB174_7:                              ;   in Loop: Header=BB174_9 Depth=1
	s_or_b64 exec, exec, s[6:7]
	v_mov_b32_e32 v37, v39
	s_waitcnt lgkmcnt(0)
	v_lshl_add_u64 v[2:3], v[36:37], 1, s[18:19]
	global_store_short_d16_hi v[2:3], v0, off
.LBB174_8:                              ;   in Loop: Header=BB174_9 Depth=1
	s_or_b64 exec, exec, s[4:5]
	v_add_u32_e32 v0, s37, v36
	v_add_u32_e32 v1, 1, v0
	v_cmp_le_u32_e32 vcc, s11, v0
	v_cmp_gt_u32_e64 s[4:5], s11, v1
	v_add_u32_e32 v1, s38, v36
	v_cmp_eq_u32_e64 s[6:7], 1, v1
	v_mov_b32_e32 v1, s36
	s_or_b64 vcc, vcc, s[4:5]
	v_cndmask_b32_e32 v36, v1, v0, vcc
	v_cmp_le_u32_e64 s[4:5], s11, v36
	s_or_b64 vcc, vcc, s[6:7]
	s_or_b64 s[20:21], s[4:5], s[20:21]
	v_cndmask_b32_e32 v50, 0, v50, vcc
	s_andn2_b64 exec, exec, s[20:21]
	s_cbranch_execz .LBB174_44
.LBB174_9:                              ; =>This Loop Header: Depth=1
                                        ;     Child Loop BB174_16 Depth 2
	s_and_b64 vcc, exec, s[2:3]
	v_mov_b32_e32 v3, v39
	s_waitcnt vmcnt(0)
	v_mov_b32_e32 v2, v39
	v_mov_b32_e32 v1, v39
	;; [unrolled: 1-line block ×3, first 2 shown]
	s_cbranch_vccnz .LBB174_36
; %bb.10:                               ;   in Loop: Header=BB174_9 Depth=1
	v_min_u32_e32 v0, s36, v36
	v_mul_lo_u32 v38, v0, s9
	v_mov_b32_e32 v0, 0
	s_waitcnt lgkmcnt(0)
	v_lshl_add_u64 v[40:41], v[38:39], 1, s[16:17]
	s_mov_b32 s4, 0
	v_mov_b32_e32 v37, v53
	s_mov_b32 s41, 0
	v_mov_b32_e32 v1, v0
	v_mov_b32_e32 v2, v0
	;; [unrolled: 1-line block ×3, first 2 shown]
	s_branch .LBB174_16
.LBB174_11:                             ;   in Loop: Header=BB174_16 Depth=2
	s_or_b64 exec, exec, s[34:35]
.LBB174_12:                             ;   in Loop: Header=BB174_16 Depth=2
	s_or_b64 exec, exec, s[30:31]
.LBB174_13:                             ;   in Loop: Header=BB174_16 Depth=2
	s_or_b64 exec, exec, s[28:29]
.LBB174_14:                             ;   in Loop: Header=BB174_16 Depth=2
	s_or_b64 exec, exec, s[26:27]
.LBB174_15:                             ;   in Loop: Header=BB174_16 Depth=2
	s_or_b64 exec, exec, s[6:7]
	s_waitcnt vmcnt(0) lgkmcnt(0)
	v_mfma_f32_4x4x4_16b_bf16 v[0:3], v[20:21], v[16:17], v[0:3]
	s_addk_i32 s41, 0x800
	v_add_u32_e32 v37, 0x1000, v37
	v_mfma_f32_4x4x4_16b_bf16 v[0:3], v[22:23], v[18:19], v[0:3]
	s_cmp_lt_u32 s41, s8
	s_nop 0
	v_mfma_f32_4x4x4_16b_bf16 v[0:3], v[24:25], v[8:9], v[0:3]
	s_nop 1
	v_mfma_f32_4x4x4_16b_bf16 v[0:3], v[26:27], v[10:11], v[0:3]
	;; [unrolled: 2-line block ×6, first 2 shown]
	s_cbranch_scc0 .LBB174_36
.LBB174_16:                             ;   Parent Loop BB174_9 Depth=1
                                        ; =>  This Inner Loop Header: Depth=2
	v_add_u32_e32 v48, s41, v51
	v_min_u32_e32 v38, s10, v48
	v_add_u32_e32 v46, 0x200, v48
	v_lshl_add_u64 v[4:5], v[38:39], 1, v[40:41]
	v_min_u32_e32 v38, s10, v46
	v_add_u32_e32 v44, 0x400, v48
	v_lshl_add_u64 v[6:7], v[38:39], 1, v[40:41]
	;; [unrolled: 3-line block ×3, first 2 shown]
	v_min_u32_e32 v38, s10, v42
	global_load_dwordx4 v[16:19], v[4:5], off nt
	global_load_dwordx4 v[8:11], v[6:7], off nt
	v_lshl_add_u64 v[22:23], v[38:39], 1, v[40:41]
	global_load_dwordx4 v[12:15], v[20:21], off nt
	global_load_dwordx4 v[4:7], v[22:23], off nt
	s_mov_b32 s5, s4
	v_cmp_gt_u32_e32 vcc, s8, v48
	v_mov_b64_e32 v[30:31], s[4:5]
	v_mov_b32_e32 v35, 0
	v_mov_b32_e32 v34, 0
	;; [unrolled: 1-line block ×4, first 2 shown]
	v_mov_b64_e32 v[28:29], s[4:5]
	v_mov_b64_e32 v[20:21], s[4:5]
	;; [unrolled: 1-line block ×5, first 2 shown]
	s_and_saveexec_b64 s[6:7], vcc
	s_cbranch_execz .LBB174_15
; %bb.17:                               ;   in Loop: Header=BB174_16 Depth=2
	v_cmp_lt_u32_e32 vcc, s39, v48
                                        ; implicit-def: $vgpr20_vgpr21
	s_and_saveexec_b64 s[26:27], vcc
	s_xor_b64 s[26:27], exec, s[26:27]
	s_cbranch_execz .LBB174_19
; %bb.18:                               ;   in Loop: Header=BB174_16 Depth=2
	v_mov_b32_e32 v49, v39
	v_lshl_add_u64 v[20:21], v[48:49], 1, s[12:13]
	global_load_dwordx4 v[20:23], v[20:21], off
.LBB174_19:                             ;   in Loop: Header=BB174_16 Depth=2
	s_andn2_saveexec_b64 s[26:27], s[26:27]
	s_cbranch_execz .LBB174_21
; %bb.20:                               ;   in Loop: Header=BB174_16 Depth=2
	s_waitcnt vmcnt(0)
	ds_read_b128 v[20:23], v37
.LBB174_21:                             ;   in Loop: Header=BB174_16 Depth=2
	s_or_b64 exec, exec, s[26:27]
	s_mov_b32 s25, s24
	v_cmp_gt_u32_e32 vcc, s8, v46
	v_mov_b32_e32 v35, 0
	v_mov_b64_e32 v[30:31], s[24:25]
	v_mov_b32_e32 v34, 0
	v_mov_b32_e32 v33, 0
	;; [unrolled: 1-line block ×3, first 2 shown]
	v_mov_b64_e32 v[28:29], s[24:25]
	v_mov_b64_e32 v[24:25], s[24:25]
	;; [unrolled: 1-line block ×3, first 2 shown]
	s_and_saveexec_b64 s[26:27], vcc
	s_cbranch_execz .LBB174_14
; %bb.22:                               ;   in Loop: Header=BB174_16 Depth=2
	v_cmp_lt_u32_e32 vcc, s39, v46
                                        ; implicit-def: $vgpr24_vgpr25
	s_and_saveexec_b64 s[28:29], vcc
	s_xor_b64 s[28:29], exec, s[28:29]
	s_cbranch_execz .LBB174_24
; %bb.23:                               ;   in Loop: Header=BB174_16 Depth=2
	v_mov_b32_e32 v47, v39
	v_lshl_add_u64 v[24:25], v[46:47], 1, s[12:13]
	global_load_dwordx4 v[24:27], v[24:25], off
.LBB174_24:                             ;   in Loop: Header=BB174_16 Depth=2
	s_andn2_saveexec_b64 s[28:29], s[28:29]
	s_cbranch_execz .LBB174_26
; %bb.25:                               ;   in Loop: Header=BB174_16 Depth=2
	s_waitcnt vmcnt(0)
	ds_read_b128 v[24:27], v37 offset:1024
.LBB174_26:                             ;   in Loop: Header=BB174_16 Depth=2
	s_or_b64 exec, exec, s[28:29]
	s_mov_b32 s25, s24
	v_cmp_gt_u32_e32 vcc, s8, v44
	v_mov_b32_e32 v35, 0
	v_mov_b64_e32 v[30:31], s[24:25]
	v_mov_b32_e32 v34, 0
	v_mov_b32_e32 v33, 0
	;; [unrolled: 1-line block ×3, first 2 shown]
	v_mov_b64_e32 v[28:29], s[24:25]
	s_and_saveexec_b64 s[28:29], vcc
	s_cbranch_execz .LBB174_13
; %bb.27:                               ;   in Loop: Header=BB174_16 Depth=2
	v_cmp_lt_u32_e32 vcc, s39, v44
                                        ; implicit-def: $vgpr30_vgpr31
	s_and_saveexec_b64 s[30:31], vcc
	s_xor_b64 s[30:31], exec, s[30:31]
	s_cbranch_execz .LBB174_29
; %bb.28:                               ;   in Loop: Header=BB174_16 Depth=2
	v_mov_b32_e32 v45, v39
	v_lshl_add_u64 v[28:29], v[44:45], 1, s[12:13]
	global_load_dwordx4 v[28:31], v[28:29], off
.LBB174_29:                             ;   in Loop: Header=BB174_16 Depth=2
	s_andn2_saveexec_b64 s[30:31], s[30:31]
	s_cbranch_execz .LBB174_31
; %bb.30:                               ;   in Loop: Header=BB174_16 Depth=2
	s_waitcnt vmcnt(0)
	ds_read_b128 v[28:31], v37 offset:2048
.LBB174_31:                             ;   in Loop: Header=BB174_16 Depth=2
	s_or_b64 exec, exec, s[30:31]
	v_cmp_gt_u32_e32 vcc, s8, v42
	v_mov_b32_e32 v35, 0
	v_mov_b32_e32 v34, 0
	;; [unrolled: 1-line block ×4, first 2 shown]
	s_and_saveexec_b64 s[30:31], vcc
	s_cbranch_execz .LBB174_12
; %bb.32:                               ;   in Loop: Header=BB174_16 Depth=2
	v_cmp_lt_u32_e32 vcc, s39, v42
                                        ; implicit-def: $vgpr35
	s_and_saveexec_b64 s[34:35], vcc
	s_xor_b64 s[34:35], exec, s[34:35]
	s_cbranch_execz .LBB174_34
; %bb.33:                               ;   in Loop: Header=BB174_16 Depth=2
	v_mov_b32_e32 v43, v39
	v_lshl_add_u64 v[32:33], v[42:43], 1, s[12:13]
	global_load_dwordx4 v[32:35], v[32:33], off
.LBB174_34:                             ;   in Loop: Header=BB174_16 Depth=2
	s_andn2_saveexec_b64 s[34:35], s[34:35]
	s_cbranch_execz .LBB174_11
; %bb.35:                               ;   in Loop: Header=BB174_16 Depth=2
	s_waitcnt vmcnt(0)
	ds_read_b128 v[32:35], v37 offset:3072
	s_branch .LBB174_11
.LBB174_36:                             ;   in Loop: Header=BB174_9 Depth=1
	s_nop 3
	v_cvt_i32_f32_e32 v1, v1
	v_cvt_i32_f32_e32 v2, v2
	;; [unrolled: 1-line block ×3, first 2 shown]
	v_cvt_f32_i32_dpp v1, v1 row_shl:1 row_mask:0xf bank_mask:0xf bound_ctrl:1
	v_cvt_f32_i32_dpp v2, v2 row_shl:2 row_mask:0xf bank_mask:0xf bound_ctrl:1
	;; [unrolled: 1-line block ×3, first 2 shown]
	v_add_f32_e32 v0, v0, v1
	v_add_f32_e32 v0, v0, v2
	;; [unrolled: 1-line block ×3, first 2 shown]
	v_cvt_i32_f32_e32 v1, v0
	s_nop 1
	v_cvt_f32_i32_dpp v1, v1 row_shl:4 row_mask:0xf bank_mask:0xf bound_ctrl:1
	v_add_f32_e32 v0, v0, v1
	v_cvt_i32_f32_e32 v1, v0
	s_nop 1
	v_cvt_f32_i32_dpp v1, v1 row_shl:8 row_mask:0xf bank_mask:0xf bound_ctrl:1
	v_add_f32_e32 v0, v0, v1
	v_cvt_i32_f32_e32 v0, v0
	s_nop 1
	v_cvt_f32_i32_dpp v0, v0 row_shr:15 row_mask:0xf bank_mask:0xf bound_ctrl:1
	v_cvt_i32_f32_e32 v1, v0
	s_nop 1
	v_cvt_f32_i32_dpp v1, v1 row_bcast:15 row_mask:0xf bank_mask:0xf bound_ctrl:1
	v_add_f32_e32 v0, v0, v1
	v_cvt_i32_f32_e32 v1, v0
	s_nop 1
	v_mov_b32_dpp v1, v1 row_bcast:31 row_mask:0xf bank_mask:0xf bound_ctrl:1
	s_and_saveexec_b64 s[4:5], s[0:1]
	s_cbranch_execz .LBB174_8
; %bb.37:                               ;   in Loop: Header=BB174_9 Depth=1
	s_andn2_b64 vcc, exec, s[22:23]
	s_cbranch_vccnz .LBB174_39
; %bb.38:                               ;   in Loop: Header=BB174_9 Depth=1
	v_mul_hi_u32 v2, v36, v52
	v_mul_lo_u32 v2, v2, s33
	v_sub_u32_e32 v2, v36, v2
	v_subrev_u32_e32 v3, s33, v2
	v_cmp_le_u32_e32 vcc, s33, v2
	s_nop 1
	v_cndmask_b32_e32 v2, v2, v3, vcc
	v_subrev_u32_e32 v3, s33, v2
	v_cmp_le_u32_e32 vcc, s33, v2
	s_nop 1
	v_cndmask_b32_e32 v38, v2, v3, vcc
	v_lshl_add_u64 v[2:3], v[38:39], 1, s[14:15]
	global_load_ushort v2, v[2:3], off
	v_cmp_ne_u32_e32 vcc, 0, v50
	s_and_b64 exec, exec, vcc
	s_cbranch_execz .LBB174_8
	s_branch .LBB174_40
.LBB174_39:                             ;   in Loop: Header=BB174_9 Depth=1
	v_mov_b32_e32 v2, 0
	v_cmp_ne_u32_e32 vcc, 0, v50
	s_and_b64 exec, exec, vcc
	s_cbranch_execz .LBB174_8
.LBB174_40:                             ;   in Loop: Header=BB174_9 Depth=1
	v_cvt_f32_i32_e32 v1, v1
	v_add_f32_e32 v0, v0, v1
	s_waitcnt vmcnt(0)
	v_lshlrev_b32_e32 v1, 16, v2
	v_add_f32_e32 v1, v0, v1
	v_and_b32_e32 v0, 0x7f800000, v1
	v_cmp_ne_u32_e32 vcc, s40, v0
                                        ; implicit-def: $vgpr0
	s_and_saveexec_b64 s[6:7], vcc
	s_xor_b64 s[6:7], exec, s[6:7]
; %bb.41:                               ;   in Loop: Header=BB174_9 Depth=1
	v_bfe_u32 v0, v1, 16, 1
	v_add3_u32 v0, v1, v0, s39
                                        ; implicit-def: $vgpr1
; %bb.42:                               ;   in Loop: Header=BB174_9 Depth=1
	s_andn2_saveexec_b64 s[6:7], s[6:7]
	s_cbranch_execz .LBB174_7
; %bb.43:                               ;   in Loop: Header=BB174_9 Depth=1
	v_or_b32_e32 v0, 0x10000, v1
	v_cmp_eq_u32_sdwa vcc, v1, v39 src0_sel:WORD_0 src1_sel:DWORD
	s_nop 1
	v_cndmask_b32_e32 v0, v0, v1, vcc
	s_branch .LBB174_7
.LBB174_44:
	s_endpgm
	.section	.rodata,"a",@progbits
	.p2align	6, 0x0
	.amdhsa_kernel _Z12wvSplitK_hf_I14__hip_bfloat16Li64ELi1ELi16ELi8ELi4ELi1EEviiiiiiPKT_S3_S3_PS1_ii
		.amdhsa_group_segment_fixed_size 65536
		.amdhsa_private_segment_fixed_size 0
		.amdhsa_kernarg_size 64
		.amdhsa_user_sgpr_count 2
		.amdhsa_user_sgpr_dispatch_ptr 0
		.amdhsa_user_sgpr_queue_ptr 0
		.amdhsa_user_sgpr_kernarg_segment_ptr 1
		.amdhsa_user_sgpr_dispatch_id 0
		.amdhsa_user_sgpr_kernarg_preload_length 0
		.amdhsa_user_sgpr_kernarg_preload_offset 0
		.amdhsa_user_sgpr_private_segment_size 0
		.amdhsa_uses_dynamic_stack 0
		.amdhsa_enable_private_segment 0
		.amdhsa_system_sgpr_workgroup_id_x 1
		.amdhsa_system_sgpr_workgroup_id_y 0
		.amdhsa_system_sgpr_workgroup_id_z 0
		.amdhsa_system_sgpr_workgroup_info 0
		.amdhsa_system_vgpr_workitem_id 1
		.amdhsa_next_free_vgpr 54
		.amdhsa_next_free_sgpr 42
		.amdhsa_accum_offset 56
		.amdhsa_reserve_vcc 1
		.amdhsa_float_round_mode_32 0
		.amdhsa_float_round_mode_16_64 0
		.amdhsa_float_denorm_mode_32 3
		.amdhsa_float_denorm_mode_16_64 3
		.amdhsa_dx10_clamp 1
		.amdhsa_ieee_mode 1
		.amdhsa_fp16_overflow 0
		.amdhsa_tg_split 0
		.amdhsa_exception_fp_ieee_invalid_op 0
		.amdhsa_exception_fp_denorm_src 0
		.amdhsa_exception_fp_ieee_div_zero 0
		.amdhsa_exception_fp_ieee_overflow 0
		.amdhsa_exception_fp_ieee_underflow 0
		.amdhsa_exception_fp_ieee_inexact 0
		.amdhsa_exception_int_div_zero 0
	.end_amdhsa_kernel
	.section	.text._Z12wvSplitK_hf_I14__hip_bfloat16Li64ELi1ELi16ELi8ELi4ELi1EEviiiiiiPKT_S3_S3_PS1_ii,"axG",@progbits,_Z12wvSplitK_hf_I14__hip_bfloat16Li64ELi1ELi16ELi8ELi4ELi1EEviiiiiiPKT_S3_S3_PS1_ii,comdat
.Lfunc_end174:
	.size	_Z12wvSplitK_hf_I14__hip_bfloat16Li64ELi1ELi16ELi8ELi4ELi1EEviiiiiiPKT_S3_S3_PS1_ii, .Lfunc_end174-_Z12wvSplitK_hf_I14__hip_bfloat16Li64ELi1ELi16ELi8ELi4ELi1EEviiiiiiPKT_S3_S3_PS1_ii
                                        ; -- End function
	.section	.AMDGPU.csdata,"",@progbits
; Kernel info:
; codeLenInByte = 1644
; NumSgprs: 48
; NumVgprs: 54
; NumAgprs: 0
; TotalNumVgprs: 54
; ScratchSize: 0
; MemoryBound: 1
; FloatMode: 240
; IeeeMode: 1
; LDSByteSize: 65536 bytes/workgroup (compile time only)
; SGPRBlocks: 5
; VGPRBlocks: 6
; NumSGPRsForWavesPerEU: 48
; NumVGPRsForWavesPerEU: 54
; AccumOffset: 56
; Occupancy: 4
; WaveLimiterHint : 0
; COMPUTE_PGM_RSRC2:SCRATCH_EN: 0
; COMPUTE_PGM_RSRC2:USER_SGPR: 2
; COMPUTE_PGM_RSRC2:TRAP_HANDLER: 0
; COMPUTE_PGM_RSRC2:TGID_X_EN: 1
; COMPUTE_PGM_RSRC2:TGID_Y_EN: 0
; COMPUTE_PGM_RSRC2:TGID_Z_EN: 0
; COMPUTE_PGM_RSRC2:TIDIG_COMP_CNT: 1
; COMPUTE_PGM_RSRC3_GFX90A:ACCUM_OFFSET: 13
; COMPUTE_PGM_RSRC3_GFX90A:TG_SPLIT: 0
	.section	.text._Z16wvSplitK_hf_big_I14__hip_bfloat16Li64ELi1ELi16ELi8ELi4ELi1EEviiiiiiPKT_S3_S3_PS1_ii,"axG",@progbits,_Z16wvSplitK_hf_big_I14__hip_bfloat16Li64ELi1ELi16ELi8ELi4ELi1EEviiiiiiPKT_S3_S3_PS1_ii,comdat
	.protected	_Z16wvSplitK_hf_big_I14__hip_bfloat16Li64ELi1ELi16ELi8ELi4ELi1EEviiiiiiPKT_S3_S3_PS1_ii ; -- Begin function _Z16wvSplitK_hf_big_I14__hip_bfloat16Li64ELi1ELi16ELi8ELi4ELi1EEviiiiiiPKT_S3_S3_PS1_ii
	.globl	_Z16wvSplitK_hf_big_I14__hip_bfloat16Li64ELi1ELi16ELi8ELi4ELi1EEviiiiiiPKT_S3_S3_PS1_ii
	.p2align	8
	.type	_Z16wvSplitK_hf_big_I14__hip_bfloat16Li64ELi1ELi16ELi8ELi4ELi1EEviiiiiiPKT_S3_S3_PS1_ii,@function
_Z16wvSplitK_hf_big_I14__hip_bfloat16Li64ELi1ELi16ELi8ELi4ELi1EEviiiiiiPKT_S3_S3_PS1_ii: ; @_Z16wvSplitK_hf_big_I14__hip_bfloat16Li64ELi1ELi16ELi8ELi4ELi1EEviiiiiiPKT_S3_S3_PS1_ii
; %bb.0:
	s_load_dwordx2 s[4:5], s[0:1], 0x38
	v_bfe_u32 v1, v0, 10, 10
	s_waitcnt lgkmcnt(0)
	v_cmp_gt_u32_e32 vcc, s4, v1
	s_and_saveexec_b64 s[6:7], vcc
	s_cbranch_execz .LBB175_42
; %bb.1:
	s_load_dwordx4 s[20:23], s[0:1], 0x0
	s_mul_i32 s2, s2, s4
	v_add_u32_e32 v36, s2, v1
	v_add_u32_e32 v2, 1, v36
	v_mov_b32_e32 v42, 1
	s_waitcnt lgkmcnt(0)
	v_cmp_gt_u32_e32 vcc, s23, v36
	v_cmp_le_u32_e64 s[2:3], s23, v2
	s_and_b64 s[6:7], vcc, s[2:3]
	s_and_saveexec_b64 s[2:3], s[6:7]
; %bb.2:
	v_subrev_u32_e32 v2, s23, v36
	v_cmp_eq_u32_e32 vcc, -1, v2
	s_add_i32 s6, s23, -1
	v_mov_b32_e32 v36, s6
	v_cndmask_b32_e64 v42, 0, 1, vcc
; %bb.3:
	s_or_b64 exec, exec, s[2:3]
	s_abs_i32 s2, s4
	v_cvt_f32_u32_e32 v2, s2
	s_sub_i32 s7, 0, s2
	s_abs_i32 s6, s23
	s_ashr_i32 s3, s23, 31
	v_rcp_iflag_f32_e32 v2, v2
	s_nop 0
	v_mul_f32_e32 v2, 0x4f7ffffe, v2
	v_cvt_u32_f32_e32 v2, v2
	s_nop 0
	v_readfirstlane_b32 s8, v2
	s_mul_i32 s7, s7, s8
	s_mul_hi_u32 s7, s8, s7
	s_add_i32 s8, s8, s7
	s_mul_hi_u32 s7, s6, s8
	s_mul_i32 s7, s7, s2
	s_sub_i32 s6, s6, s7
	s_sub_i32 s7, s6, s2
	s_cmp_ge_u32 s6, s2
	s_cselect_b32 s6, s7, s6
	s_sub_i32 s7, s6, s2
	s_cmp_ge_u32 s6, s2
	s_cselect_b32 s2, s7, s6
	s_xor_b32 s2, s2, s3
	s_sub_i32 s2, s2, s3
	s_add_i32 s3, s4, s23
	s_sub_i32 s3, s3, s2
	s_cmp_eq_u32 s2, 0
	s_cselect_b32 s33, s23, s3
	v_cmp_gt_u32_e32 vcc, s33, v36
	s_and_b64 exec, exec, vcc
	s_cbranch_execz .LBB175_42
; %bb.4:
	s_load_dwordx8 s[12:19], s[0:1], 0x18
	s_load_dword s36, s[0:1], 0x10
	s_min_u32 s37, s22, 0x8000
	s_cmp_lg_u32 s20, 0
	s_cselect_b64 s[2:3], -1, 0
	s_cmp_lg_u32 s22, 0
	s_waitcnt lgkmcnt(0)
	v_cvt_f32_u32_e32 v2, s36
	s_cselect_b64 s[6:7], -1, 0
	s_lshl_b32 s38, s4, 9
	s_add_i32 s39, s20, -8
	v_rcp_iflag_f32_e32 v2, v2
	s_add_i32 s40, s23, -1
	v_and_b32_e32 v0, 0x3ff, v0
	s_cmp_lg_u64 s[16:17], 0
	v_mul_f32_e32 v2, 0x4f7ffffe, v2
	v_cvt_u32_f32_e32 v2, v2
	v_lshlrev_b32_e32 v43, 3, v0
	s_mul_i32 s41, s5, s4
	v_cmp_eq_u32_e64 s[0:1], 63, v0
	s_cselect_b64 s[24:25], -1, 0
	s_sub_i32 s5, 0, s36
	v_lshlrev_b32_e32 v0, 4, v0
	v_mul_lo_u32 v3, s5, v2
	v_lshl_add_u32 v45, v1, 10, v0
	v_cndmask_b32_e64 v0, 0, 1, s[2:3]
	s_sub_i32 s42, s41, s23
	v_mul_hi_u32 v3, v2, v3
	v_cmp_ne_u32_e64 s[2:3], 1, v0
	v_cndmask_b32_e64 v0, 0, 1, s[6:7]
	s_mov_b64 s[10:11], 0
	s_add_i32 s42, s42, 2
	v_add_u32_e32 v44, v2, v3
	v_mov_b32_e32 v39, 0
	s_lshl_b32 s43, s4, 10
	v_lshl_add_u32 v46, v1, 9, v43
	v_cmp_ne_u32_e64 s[4:5], 1, v0
	s_mov_b32 s44, 0x7f800000
	s_movk_i32 s45, 0x7fff
	s_branch .LBB175_7
.LBB175_5:                              ;   in Loop: Header=BB175_7 Depth=1
	s_or_b64 exec, exec, s[6:7]
.LBB175_6:                              ;   in Loop: Header=BB175_7 Depth=1
	s_or_b64 exec, exec, s[8:9]
	v_cmp_le_u32_e32 vcc, s33, v4
	s_or_b64 s[10:11], vcc, s[10:11]
	v_mov_b32_e32 v36, v4
	s_andn2_b64 exec, exec, s[10:11]
	s_cbranch_execz .LBB175_42
.LBB175_7:                              ; =>This Loop Header: Depth=1
                                        ;     Child Loop BB175_14 Depth 2
                                        ;       Child Loop BB175_19 Depth 3
	s_and_b64 vcc, exec, s[2:3]
	v_mov_b32_e32 v3, v39
	s_waitcnt vmcnt(0)
	v_mov_b32_e32 v2, v39
	v_mov_b32_e32 v1, v39
	;; [unrolled: 1-line block ×3, first 2 shown]
	s_cbranch_vccnz .LBB175_28
; %bb.8:                                ;   in Loop: Header=BB175_7 Depth=1
	v_min_u32_e32 v0, s40, v36
	v_mul_lo_u32 v38, v0, s21
	v_mov_b32_e32 v0, 0
	v_cmp_gt_u32_e64 s[6:7], s23, v36
	v_lshl_add_u64 v[40:41], v[38:39], 1, s[12:13]
	s_mov_b32 s46, 0
	s_mov_b32 s47, 0
	v_mov_b32_e32 v1, v0
	v_mov_b32_e32 v2, v0
	;; [unrolled: 1-line block ×3, first 2 shown]
	s_branch .LBB175_14
.LBB175_9:                              ;   in Loop: Header=BB175_14 Depth=2
	s_or_b64 exec, exec, s[34:35]
.LBB175_10:                             ;   in Loop: Header=BB175_14 Depth=2
	s_or_b64 exec, exec, s[30:31]
.LBB175_11:                             ;   in Loop: Header=BB175_14 Depth=2
	s_or_b64 exec, exec, s[28:29]
.LBB175_12:                             ;   in Loop: Header=BB175_14 Depth=2
	s_or_b64 exec, exec, s[26:27]
	s_waitcnt vmcnt(3) lgkmcnt(0)
	v_mfma_f32_4x4x4_16b_bf16 v[0:3], v[28:29], v[16:17], v[0:3]
	s_nop 1
	v_mfma_f32_4x4x4_16b_bf16 v[0:3], v[30:31], v[18:19], v[0:3]
	s_waitcnt vmcnt(2)
	s_nop 0
	v_mfma_f32_4x4x4_16b_bf16 v[0:3], v[24:25], v[8:9], v[0:3]
	s_nop 1
	v_mfma_f32_4x4x4_16b_bf16 v[0:3], v[26:27], v[10:11], v[0:3]
	s_waitcnt vmcnt(1)
	s_nop 0
	;; [unrolled: 5-line block ×3, first 2 shown]
	v_mfma_f32_4x4x4_16b_bf16 v[0:3], v[20:21], v[4:5], v[0:3]
	s_nop 1
	v_mfma_f32_4x4x4_16b_bf16 v[0:3], v[22:23], v[6:7], v[0:3]
.LBB175_13:                             ;   in Loop: Header=BB175_14 Depth=2
	s_or_b64 exec, exec, s[8:9]
	s_addk_i32 s47, 0x800
	s_cmp_ge_u32 s47, s20
	s_cbranch_scc1 .LBB175_28
.LBB175_14:                             ;   Parent Loop BB175_7 Depth=1
                                        ; =>  This Loop Header: Depth=2
                                        ;       Child Loop BB175_19 Depth 3
	s_cmp_eq_u32 s47, 0
	s_cselect_b64 s[8:9], -1, 0
	s_add_i32 s26, s46, s37
	s_cmp_eq_u32 s47, s26
	s_cselect_b64 s[28:29], -1, 0
	s_or_b64 s[28:29], s[8:9], s[28:29]
	s_andn2_b64 vcc, exec, s[28:29]
	s_cbranch_vccz .LBB175_16
; %bb.15:                               ;   in Loop: Header=BB175_14 Depth=2
	s_and_saveexec_b64 s[8:9], s[6:7]
	s_cbranch_execz .LBB175_13
	s_branch .LBB175_23
.LBB175_16:                             ;   in Loop: Header=BB175_14 Depth=2
	s_and_b64 s[8:9], s[8:9], exec
	s_cselect_b32 s46, s46, s26
	s_and_b64 vcc, exec, s[4:5]
	s_barrier
	s_cbranch_vccnz .LBB175_22
; %bb.17:                               ;   in Loop: Header=BB175_14 Depth=2
	v_add_u32_e32 v4, s46, v46
	s_mov_b32 s30, 0
	s_mov_b64 s[26:27], 0
	v_mov_b32_e32 v5, v45
                                        ; implicit-def: $sgpr28_sgpr29
	s_branch .LBB175_19
.LBB175_18:                             ;   in Loop: Header=BB175_19 Depth=3
	s_or_b64 exec, exec, s[8:9]
	s_and_b64 s[8:9], exec, s[28:29]
	s_or_b64 s[26:27], s[8:9], s[26:27]
	s_andn2_b64 exec, exec, s[26:27]
	s_cbranch_execz .LBB175_21
.LBB175_19:                             ;   Parent Loop BB175_7 Depth=1
                                        ;     Parent Loop BB175_14 Depth=2
                                        ; =>    This Inner Loop Header: Depth=3
	v_add_u32_e32 v6, s30, v46
	v_add_u32_e32 v38, s30, v4
	v_cmp_gt_u32_e32 vcc, s22, v38
	v_cmp_gt_u32_e64 s[8:9], s37, v6
	s_and_b64 s[34:35], s[8:9], vcc
	s_or_b64 s[28:29], s[28:29], exec
	s_and_saveexec_b64 s[8:9], s[34:35]
	s_cbranch_execz .LBB175_18
; %bb.20:                               ;   in Loop: Header=BB175_19 Depth=3
	v_lshl_add_u64 v[6:7], v[38:39], 1, s[14:15]
	global_load_dwordx4 v[6:9], v[6:7], off
	s_add_i32 s30, s30, s38
	s_cmp_ge_u32 s30, s37
	s_cselect_b64 s[34:35], -1, 0
	s_andn2_b64 s[28:29], s[28:29], exec
	s_and_b64 s[34:35], s[34:35], exec
	s_or_b64 s[28:29], s[28:29], s[34:35]
	s_waitcnt vmcnt(0)
	ds_write_b128 v5, v[6:9]
	v_add_u32_e32 v5, s43, v5
	s_branch .LBB175_18
.LBB175_21:                             ;   in Loop: Header=BB175_14 Depth=2
	s_or_b64 exec, exec, s[26:27]
.LBB175_22:                             ;   in Loop: Header=BB175_14 Depth=2
	s_waitcnt lgkmcnt(0)
	s_barrier
	s_and_saveexec_b64 s[8:9], s[6:7]
	s_cbranch_execz .LBB175_13
.LBB175_23:                             ;   in Loop: Header=BB175_14 Depth=2
	v_add_u32_e32 v48, s47, v43
	v_min_u32_e32 v38, s39, v48
	v_add_u32_e32 v49, 0x200, v48
	v_lshl_add_u64 v[4:5], v[38:39], 1, v[40:41]
	v_min_u32_e32 v38, s39, v49
	v_add_u32_e32 v47, 0x400, v48
	v_lshl_add_u64 v[6:7], v[38:39], 1, v[40:41]
	;; [unrolled: 3-line block ×3, first 2 shown]
	v_min_u32_e32 v38, s39, v37
	global_load_dwordx4 v[16:19], v[4:5], off nt
	global_load_dwordx4 v[8:11], v[6:7], off nt
	v_lshl_add_u64 v[22:23], v[38:39], 1, v[40:41]
	global_load_dwordx4 v[12:15], v[20:21], off nt
	global_load_dwordx4 v[4:7], v[22:23], off nt
	v_cmp_gt_u32_e32 vcc, s20, v48
	v_mov_b32_e32 v26, 0
	v_mov_b32_e32 v27, 0
	;; [unrolled: 1-line block ×16, first 2 shown]
	s_and_saveexec_b64 s[26:27], vcc
	s_cbranch_execz .LBB175_12
; %bb.24:                               ;   in Loop: Header=BB175_14 Depth=2
	v_subrev_u32_e32 v20, s46, v48
	v_lshlrev_b32_e32 v38, 1, v20
	ds_read_b128 v[28:31], v38
	v_cmp_gt_u32_e32 vcc, s20, v49
	v_mov_b32_e32 v23, 0
	v_mov_b32_e32 v22, 0
	;; [unrolled: 1-line block ×12, first 2 shown]
	s_and_saveexec_b64 s[28:29], vcc
	s_cbranch_execz .LBB175_11
; %bb.25:                               ;   in Loop: Header=BB175_14 Depth=2
	ds_read_b128 v[24:27], v38 offset:1024
	v_cmp_gt_u32_e32 vcc, s20, v47
	v_mov_b32_e32 v23, 0
	v_mov_b32_e32 v22, 0
	;; [unrolled: 1-line block ×8, first 2 shown]
	s_and_saveexec_b64 s[30:31], vcc
	s_cbranch_execz .LBB175_10
; %bb.26:                               ;   in Loop: Header=BB175_14 Depth=2
	ds_read_b128 v[32:35], v38 offset:2048
	v_cmp_gt_u32_e32 vcc, s20, v37
	v_mov_b32_e32 v23, 0
	v_mov_b32_e32 v22, 0
	;; [unrolled: 1-line block ×4, first 2 shown]
	s_and_saveexec_b64 s[34:35], vcc
	s_cbranch_execz .LBB175_9
; %bb.27:                               ;   in Loop: Header=BB175_14 Depth=2
	ds_read_b128 v[20:23], v38 offset:3072
	s_branch .LBB175_9
.LBB175_28:                             ;   in Loop: Header=BB175_7 Depth=1
	v_cmp_le_u32_e32 vcc, s23, v36
                                        ; implicit-def: $vgpr4
	s_and_saveexec_b64 s[6:7], vcc
	s_xor_b64 s[6:7], exec, s[6:7]
; %bb.29:                               ;   in Loop: Header=BB175_7 Depth=1
	v_add_u32_e32 v4, s41, v36
                                        ; implicit-def: $vgpr36
                                        ; implicit-def: $vgpr1
; %bb.30:                               ;   in Loop: Header=BB175_7 Depth=1
	s_andn2_saveexec_b64 s[8:9], s[6:7]
	s_cbranch_execz .LBB175_6
; %bb.31:                               ;   in Loop: Header=BB175_7 Depth=1
	v_cvt_i32_f32_e32 v1, v1
	v_cvt_i32_f32_e32 v2, v2
	;; [unrolled: 1-line block ×3, first 2 shown]
	v_cvt_f32_i32_dpp v1, v1 row_shl:1 row_mask:0xf bank_mask:0xf bound_ctrl:1
	v_cvt_f32_i32_dpp v2, v2 row_shl:2 row_mask:0xf bank_mask:0xf bound_ctrl:1
	;; [unrolled: 1-line block ×3, first 2 shown]
	v_add_f32_e32 v0, v0, v1
	v_add_f32_e32 v0, v0, v2
	;; [unrolled: 1-line block ×3, first 2 shown]
	v_cvt_i32_f32_e32 v1, v0
	s_nop 1
	v_cvt_f32_i32_dpp v1, v1 row_shl:4 row_mask:0xf bank_mask:0xf bound_ctrl:1
	v_add_f32_e32 v0, v0, v1
	v_cvt_i32_f32_e32 v1, v0
	s_nop 1
	v_cvt_f32_i32_dpp v1, v1 row_shl:8 row_mask:0xf bank_mask:0xf bound_ctrl:1
	v_add_f32_e32 v0, v0, v1
	v_cvt_i32_f32_e32 v0, v0
	s_nop 1
	v_cvt_f32_i32_dpp v0, v0 row_shr:15 row_mask:0xf bank_mask:0xf bound_ctrl:1
	v_cvt_i32_f32_e32 v1, v0
	s_nop 1
	v_cvt_f32_i32_dpp v1, v1 row_bcast:15 row_mask:0xf bank_mask:0xf bound_ctrl:1
	v_add_f32_e32 v0, v0, v1
	v_cvt_i32_f32_e32 v1, v0
	s_nop 1
	v_mov_b32_dpp v1, v1 row_bcast:31 row_mask:0xf bank_mask:0xf bound_ctrl:1
	s_and_saveexec_b64 s[6:7], s[0:1]
	s_cbranch_execz .LBB175_40
; %bb.32:                               ;   in Loop: Header=BB175_7 Depth=1
	s_andn2_b64 vcc, exec, s[24:25]
	s_cbranch_vccnz .LBB175_34
; %bb.33:                               ;   in Loop: Header=BB175_7 Depth=1
	v_mul_hi_u32 v2, v36, v44
	v_mul_lo_u32 v2, v2, s36
	v_sub_u32_e32 v2, v36, v2
	v_subrev_u32_e32 v3, s36, v2
	v_cmp_le_u32_e32 vcc, s36, v2
	s_nop 1
	v_cndmask_b32_e32 v2, v2, v3, vcc
	v_subrev_u32_e32 v3, s36, v2
	v_cmp_le_u32_e32 vcc, s36, v2
	s_nop 1
	v_cndmask_b32_e32 v38, v2, v3, vcc
	v_lshl_add_u64 v[2:3], v[38:39], 1, s[16:17]
	global_load_ushort v2, v[2:3], off
	v_cmp_ne_u32_e32 vcc, 0, v42
	s_and_b64 exec, exec, vcc
	s_cbranch_execnz .LBB175_35
	s_branch .LBB175_40
.LBB175_34:                             ;   in Loop: Header=BB175_7 Depth=1
	v_mov_b32_e32 v2, 0
	v_cmp_ne_u32_e32 vcc, 0, v42
	s_and_b64 exec, exec, vcc
	s_cbranch_execz .LBB175_40
.LBB175_35:                             ;   in Loop: Header=BB175_7 Depth=1
	v_cvt_f32_i32_e32 v1, v1
	v_add_f32_e32 v0, v0, v1
	s_waitcnt vmcnt(0)
	v_lshlrev_b32_e32 v1, 16, v2
	v_add_f32_e32 v1, v0, v1
	v_and_b32_e32 v0, 0x7f800000, v1
	v_cmp_ne_u32_e32 vcc, s44, v0
                                        ; implicit-def: $vgpr0
	s_and_saveexec_b64 s[26:27], vcc
	s_xor_b64 s[26:27], exec, s[26:27]
; %bb.36:                               ;   in Loop: Header=BB175_7 Depth=1
	v_bfe_u32 v0, v1, 16, 1
	v_add3_u32 v0, v1, v0, s45
                                        ; implicit-def: $vgpr1
; %bb.37:                               ;   in Loop: Header=BB175_7 Depth=1
	s_andn2_saveexec_b64 s[26:27], s[26:27]
; %bb.38:                               ;   in Loop: Header=BB175_7 Depth=1
	v_or_b32_e32 v0, 0x10000, v1
	v_cmp_eq_u32_sdwa vcc, v1, v39 src0_sel:WORD_0 src1_sel:DWORD
	s_nop 1
	v_cndmask_b32_e32 v0, v0, v1, vcc
; %bb.39:                               ;   in Loop: Header=BB175_7 Depth=1
	s_or_b64 exec, exec, s[26:27]
	v_mov_b32_e32 v37, v39
	v_lshl_add_u64 v[2:3], v[36:37], 1, s[18:19]
	global_store_short_d16_hi v[2:3], v0, off
.LBB175_40:                             ;   in Loop: Header=BB175_7 Depth=1
	s_or_b64 exec, exec, s[6:7]
	v_add_u32_e32 v4, s41, v36
	v_add_u32_e32 v0, 1, v4
	v_cmp_gt_u32_e32 vcc, s23, v4
	v_cmp_le_u32_e64 s[6:7], s23, v0
	s_and_b64 s[26:27], vcc, s[6:7]
	s_and_saveexec_b64 s[6:7], s[26:27]
	s_cbranch_execz .LBB175_5
; %bb.41:                               ;   in Loop: Header=BB175_7 Depth=1
	v_add_u32_e32 v0, s42, v36
	v_cmp_eq_u32_e32 vcc, 1, v0
	v_mov_b32_e32 v4, s40
	s_nop 0
	v_cndmask_b32_e32 v42, 0, v42, vcc
	s_branch .LBB175_5
.LBB175_42:
	s_endpgm
	.section	.rodata,"a",@progbits
	.p2align	6, 0x0
	.amdhsa_kernel _Z16wvSplitK_hf_big_I14__hip_bfloat16Li64ELi1ELi16ELi8ELi4ELi1EEviiiiiiPKT_S3_S3_PS1_ii
		.amdhsa_group_segment_fixed_size 65536
		.amdhsa_private_segment_fixed_size 0
		.amdhsa_kernarg_size 64
		.amdhsa_user_sgpr_count 2
		.amdhsa_user_sgpr_dispatch_ptr 0
		.amdhsa_user_sgpr_queue_ptr 0
		.amdhsa_user_sgpr_kernarg_segment_ptr 1
		.amdhsa_user_sgpr_dispatch_id 0
		.amdhsa_user_sgpr_kernarg_preload_length 0
		.amdhsa_user_sgpr_kernarg_preload_offset 0
		.amdhsa_user_sgpr_private_segment_size 0
		.amdhsa_uses_dynamic_stack 0
		.amdhsa_enable_private_segment 0
		.amdhsa_system_sgpr_workgroup_id_x 1
		.amdhsa_system_sgpr_workgroup_id_y 0
		.amdhsa_system_sgpr_workgroup_id_z 0
		.amdhsa_system_sgpr_workgroup_info 0
		.amdhsa_system_vgpr_workitem_id 1
		.amdhsa_next_free_vgpr 50
		.amdhsa_next_free_sgpr 48
		.amdhsa_accum_offset 52
		.amdhsa_reserve_vcc 1
		.amdhsa_float_round_mode_32 0
		.amdhsa_float_round_mode_16_64 0
		.amdhsa_float_denorm_mode_32 3
		.amdhsa_float_denorm_mode_16_64 3
		.amdhsa_dx10_clamp 1
		.amdhsa_ieee_mode 1
		.amdhsa_fp16_overflow 0
		.amdhsa_tg_split 0
		.amdhsa_exception_fp_ieee_invalid_op 0
		.amdhsa_exception_fp_denorm_src 0
		.amdhsa_exception_fp_ieee_div_zero 0
		.amdhsa_exception_fp_ieee_overflow 0
		.amdhsa_exception_fp_ieee_underflow 0
		.amdhsa_exception_fp_ieee_inexact 0
		.amdhsa_exception_int_div_zero 0
	.end_amdhsa_kernel
	.section	.text._Z16wvSplitK_hf_big_I14__hip_bfloat16Li64ELi1ELi16ELi8ELi4ELi1EEviiiiiiPKT_S3_S3_PS1_ii,"axG",@progbits,_Z16wvSplitK_hf_big_I14__hip_bfloat16Li64ELi1ELi16ELi8ELi4ELi1EEviiiiiiPKT_S3_S3_PS1_ii,comdat
.Lfunc_end175:
	.size	_Z16wvSplitK_hf_big_I14__hip_bfloat16Li64ELi1ELi16ELi8ELi4ELi1EEviiiiiiPKT_S3_S3_PS1_ii, .Lfunc_end175-_Z16wvSplitK_hf_big_I14__hip_bfloat16Li64ELi1ELi16ELi8ELi4ELi1EEviiiiiiPKT_S3_S3_PS1_ii
                                        ; -- End function
	.section	.AMDGPU.csdata,"",@progbits
; Kernel info:
; codeLenInByte = 1744
; NumSgprs: 54
; NumVgprs: 50
; NumAgprs: 0
; TotalNumVgprs: 50
; ScratchSize: 0
; MemoryBound: 0
; FloatMode: 240
; IeeeMode: 1
; LDSByteSize: 65536 bytes/workgroup (compile time only)
; SGPRBlocks: 6
; VGPRBlocks: 6
; NumSGPRsForWavesPerEU: 54
; NumVGPRsForWavesPerEU: 50
; AccumOffset: 52
; Occupancy: 4
; WaveLimiterHint : 0
; COMPUTE_PGM_RSRC2:SCRATCH_EN: 0
; COMPUTE_PGM_RSRC2:USER_SGPR: 2
; COMPUTE_PGM_RSRC2:TRAP_HANDLER: 0
; COMPUTE_PGM_RSRC2:TGID_X_EN: 1
; COMPUTE_PGM_RSRC2:TGID_Y_EN: 0
; COMPUTE_PGM_RSRC2:TGID_Z_EN: 0
; COMPUTE_PGM_RSRC2:TIDIG_COMP_CNT: 1
; COMPUTE_PGM_RSRC3_GFX90A:ACCUM_OFFSET: 12
; COMPUTE_PGM_RSRC3_GFX90A:TG_SPLIT: 0
	.section	.text._Z16wvSplitK_hf_sml_I14__hip_bfloat16Li64ELi2ELi16ELi8ELi2ELi1EEviiiiiiPKT_S3_S3_PS1_ii,"axG",@progbits,_Z16wvSplitK_hf_sml_I14__hip_bfloat16Li64ELi2ELi16ELi8ELi2ELi1EEviiiiiiPKT_S3_S3_PS1_ii,comdat
	.protected	_Z16wvSplitK_hf_sml_I14__hip_bfloat16Li64ELi2ELi16ELi8ELi2ELi1EEviiiiiiPKT_S3_S3_PS1_ii ; -- Begin function _Z16wvSplitK_hf_sml_I14__hip_bfloat16Li64ELi2ELi16ELi8ELi2ELi1EEviiiiiiPKT_S3_S3_PS1_ii
	.globl	_Z16wvSplitK_hf_sml_I14__hip_bfloat16Li64ELi2ELi16ELi8ELi2ELi1EEviiiiiiPKT_S3_S3_PS1_ii
	.p2align	8
	.type	_Z16wvSplitK_hf_sml_I14__hip_bfloat16Li64ELi2ELi16ELi8ELi2ELi1EEviiiiiiPKT_S3_S3_PS1_ii,@function
_Z16wvSplitK_hf_sml_I14__hip_bfloat16Li64ELi2ELi16ELi8ELi2ELi1EEviiiiiiPKT_S3_S3_PS1_ii: ; @_Z16wvSplitK_hf_sml_I14__hip_bfloat16Li64ELi2ELi16ELi8ELi2ELi1EEviiiiiiPKT_S3_S3_PS1_ii
; %bb.0:
	s_load_dwordx4 s[8:11], s[0:1], 0x0
	s_load_dword s22, s[0:1], 0x10
	s_load_dwordx2 s[6:7], s[0:1], 0x28
	v_and_b32_e32 v2, 0x3ff, v0
	v_bfe_u32 v3, v0, 10, 10
	v_lshlrev_b32_e32 v40, 3, v2
	v_lshl_add_u32 v4, v3, 9, v40
	s_waitcnt lgkmcnt(0)
	s_min_u32 s3, s10, 0x8000
	v_cmp_gt_u32_e32 vcc, s3, v4
	s_and_saveexec_b64 s[4:5], vcc
	s_cbranch_execz .LBB176_3
; %bb.1:
	s_load_dwordx2 s[12:13], s[0:1], 0x20
	v_mov_b32_e32 v7, 0
	v_lshlrev_b32_e32 v6, 10, v3
	v_lshlrev_b32_e32 v8, 4, v2
	v_mov_b32_e32 v9, v7
	v_lshl_add_u64 v[0:1], v[6:7], 0, v[8:9]
	s_waitcnt lgkmcnt(0)
	v_lshl_add_u64 v[0:1], s[12:13], 0, v[0:1]
	v_add_u32_e32 v5, v6, v8
	s_mov_b64 s[12:13], 0
	s_mov_b64 s[14:15], 0x4000
.LBB176_2:                              ; =>This Inner Loop Header: Depth=1
	global_load_dwordx4 v[6:9], v[0:1], off
	v_add_u32_e32 v4, 0x2000, v4
	v_cmp_le_u32_e32 vcc, s3, v4
	v_lshl_add_u64 v[0:1], v[0:1], 0, s[14:15]
	s_or_b64 s[12:13], vcc, s[12:13]
	s_waitcnt vmcnt(0)
	ds_write_b128 v5, v[6:9]
	v_add_u32_e32 v5, 0x4000, v5
	s_andn2_b64 exec, exec, s[12:13]
	s_cbranch_execnz .LBB176_2
.LBB176_3:
	s_or_b64 exec, exec, s[4:5]
	s_load_dwordx2 s[4:5], s[0:1], 0x38
	s_waitcnt lgkmcnt(0)
	s_barrier
	v_cmp_gt_u32_e32 vcc, s4, v3
	s_and_saveexec_b64 s[12:13], vcc
	s_cbranch_execz .LBB176_26
; %bb.4:
	s_mul_i32 s2, s2, s4
	v_add_lshl_u32 v32, s2, v3, 1
	v_cmp_gt_u32_e32 vcc, s11, v32
	s_and_b64 exec, exec, vcc
	s_cbranch_execz .LBB176_26
; %bb.5:
	v_cvt_f32_u32_e32 v0, s22
	s_cmp_lg_u32 s8, 0
	s_cselect_b64 s[2:3], -1, 0
	s_add_i32 s10, s8, -8
	v_rcp_iflag_f32_e32 v0, v0
	s_add_i32 s23, s11, -1
	s_mul_i32 s18, s4, s5
	s_cmp_lg_u64 s[6:7], 0
	v_mul_f32_e32 v0, 0x4f7ffffe, v0
	v_cvt_u32_f32_e32 v0, v0
	s_cselect_b64 s[4:5], -1, 0
	s_lshl_b32 s24, s18, 1
	s_sub_i32 s18, 0, s22
	s_load_dwordx2 s[12:13], s[0:1], 0x18
	s_load_dwordx2 s[14:15], s[0:1], 0x30
	v_mul_lo_u32 v1, s18, v0
	v_mul_hi_u32 v1, v0, v1
	v_add_u32_e32 v41, v0, v1
	v_cndmask_b32_e64 v0, 0, 1, s[2:3]
	v_cmp_ne_u32_e64 s[2:3], 1, v0
	v_cndmask_b32_e64 v0, 0, 1, s[4:5]
	v_cmp_eq_u32_e64 s[0:1], 63, v2
	s_mov_b64 s[16:17], 0
	v_mov_b32_e32 v35, 0
	v_lshlrev_b32_e32 v42, 4, v2
	s_mov_b32 s25, 0x7f800000
	s_movk_i32 s26, 0x7fff
	v_cmp_ne_u32_e64 s[4:5], 1, v0
	s_branch .LBB176_8
.LBB176_6:                              ;   in Loop: Header=BB176_8 Depth=1
	s_or_b64 exec, exec, s[20:21]
	global_store_short_d16_hi v[0:1], v3, off offset:2
.LBB176_7:                              ;   in Loop: Header=BB176_8 Depth=1
	s_or_b64 exec, exec, s[18:19]
	v_add_u32_e32 v32, s24, v32
	v_cmp_le_u32_e32 vcc, s11, v32
	s_or_b64 s[16:17], vcc, s[16:17]
	s_andn2_b64 exec, exec, s[16:17]
	s_cbranch_execz .LBB176_26
.LBB176_8:                              ; =>This Loop Header: Depth=1
                                        ;     Child Loop BB176_12 Depth 2
	s_and_b64 vcc, exec, s[2:3]
	v_mov_b32_e32 v7, v35
	v_mov_b32_e32 v6, v35
	;; [unrolled: 1-line block ×8, first 2 shown]
	s_cbranch_vccnz .LBB176_15
; %bb.9:                                ;   in Loop: Header=BB176_8 Depth=1
	v_min_u32_e32 v0, s23, v32
	v_mul_lo_u32 v34, v0, s9
	v_or_b32_e32 v0, 1, v32
	v_min_u32_e32 v0, s23, v0
	v_mul_lo_u32 v2, v0, s9
	v_mov_b32_e32 v3, v35
	v_mov_b32_e32 v0, 0
	s_mov_b32 s27, 0
	v_lshlrev_b64 v[36:37], 1, v[34:35]
	v_lshlrev_b64 v[38:39], 1, v[2:3]
	v_mov_b32_e32 v33, v42
	v_mov_b32_e32 v1, v0
	;; [unrolled: 1-line block ×8, first 2 shown]
	s_branch .LBB176_12
.LBB176_10:                             ;   in Loop: Header=BB176_12 Depth=2
	s_or_b64 exec, exec, s[20:21]
.LBB176_11:                             ;   in Loop: Header=BB176_12 Depth=2
	s_or_b64 exec, exec, s[18:19]
	s_waitcnt vmcnt(3) lgkmcnt(0)
	v_mfma_f32_4x4x4_16b_bf16 v[0:3], v[28:29], v[24:25], v[0:3]
	s_addk_i32 s27, 0x400
	s_waitcnt vmcnt(2)
	v_mfma_f32_4x4x4_16b_bf16 v[4:7], v[28:29], v[16:17], v[4:7]
	v_add_u32_e32 v33, 0x800, v33
	v_mfma_f32_4x4x4_16b_bf16 v[0:3], v[30:31], v[26:27], v[0:3]
	s_cmp_ge_u32 s27, s8
	v_mfma_f32_4x4x4_16b_bf16 v[4:7], v[30:31], v[18:19], v[4:7]
	s_waitcnt vmcnt(1)
	v_mfma_f32_4x4x4_16b_bf16 v[0:3], v[12:13], v[20:21], v[0:3]
	s_waitcnt vmcnt(0)
	v_mfma_f32_4x4x4_16b_bf16 v[4:7], v[12:13], v[8:9], v[4:7]
	v_mfma_f32_4x4x4_16b_bf16 v[0:3], v[14:15], v[22:23], v[0:3]
	s_nop 0
	v_mfma_f32_4x4x4_16b_bf16 v[4:7], v[14:15], v[10:11], v[4:7]
	s_cbranch_scc1 .LBB176_15
.LBB176_12:                             ;   Parent Loop BB176_8 Depth=1
                                        ; =>  This Inner Loop Header: Depth=2
	v_add_u32_e32 v28, s27, v40
	v_min_u32_e32 v34, s10, v28
	s_waitcnt lgkmcnt(0)
	v_lshl_add_u64 v[8:9], v[34:35], 1, s[12:13]
	v_add_u32_e32 v43, 0x200, v28
	v_lshl_add_u64 v[10:11], v[8:9], 0, v[36:37]
	v_lshl_add_u64 v[8:9], v[8:9], 0, v[38:39]
	v_min_u32_e32 v34, s10, v43
	global_load_dwordx4 v[24:27], v[10:11], off nt
	global_load_dwordx4 v[16:19], v[8:9], off nt
	v_lshl_add_u64 v[8:9], v[34:35], 1, s[12:13]
	v_lshl_add_u64 v[12:13], v[8:9], 0, v[36:37]
	;; [unrolled: 1-line block ×3, first 2 shown]
	global_load_dwordx4 v[20:23], v[12:13], off nt
	global_load_dwordx4 v[8:11], v[14:15], off nt
	v_cmp_gt_u32_e32 vcc, s8, v28
	v_mov_b32_e32 v30, 0
	v_mov_b32_e32 v31, 0
	;; [unrolled: 1-line block ×8, first 2 shown]
	s_and_saveexec_b64 s[18:19], vcc
	s_cbranch_execz .LBB176_11
; %bb.13:                               ;   in Loop: Header=BB176_12 Depth=2
	ds_read_b128 v[28:31], v33
	v_cmp_gt_u32_e32 vcc, s8, v43
	v_mov_b32_e32 v15, 0
	v_mov_b32_e32 v14, 0
	;; [unrolled: 1-line block ×4, first 2 shown]
	s_and_saveexec_b64 s[20:21], vcc
	s_cbranch_execz .LBB176_10
; %bb.14:                               ;   in Loop: Header=BB176_12 Depth=2
	ds_read_b128 v[12:15], v33 offset:1024
	s_branch .LBB176_10
.LBB176_15:                             ;   in Loop: Header=BB176_8 Depth=1
	; sched_barrier mask(0x00000000)
	s_nop 1
	v_cvt_i32_f32_e32 v1, v1
	v_cvt_i32_f32_e32 v2, v2
	v_cvt_i32_f32_e32 v3, v3
	v_cvt_i32_f32_e32 v5, v5
	v_cvt_f32_i32_dpp v1, v1 row_shl:1 row_mask:0xf bank_mask:0xf bound_ctrl:1
	v_cvt_f32_i32_dpp v2, v2 row_shl:2 row_mask:0xf bank_mask:0xf bound_ctrl:1
	v_cvt_i32_f32_e32 v6, v6
	v_cvt_f32_i32_dpp v3, v3 row_shl:3 row_mask:0xf bank_mask:0xf bound_ctrl:1
	v_add_f32_e32 v0, v0, v1
	v_cvt_i32_f32_e32 v1, v7
	v_add_f32_e32 v0, v0, v2
	v_cvt_f32_i32_dpp v2, v5 row_shl:1 row_mask:0xf bank_mask:0xf bound_ctrl:1
	v_add_f32_e32 v0, v0, v3
	v_cvt_f32_i32_dpp v3, v6 row_shl:2 row_mask:0xf bank_mask:0xf bound_ctrl:1
	v_cvt_f32_i32_dpp v1, v1 row_shl:3 row_mask:0xf bank_mask:0xf bound_ctrl:1
	v_add_f32_e32 v2, v4, v2
	v_cvt_i32_f32_e32 v5, v0
	v_add_f32_e32 v2, v2, v3
	v_add_f32_e32 v1, v2, v1
	v_cvt_i32_f32_e32 v2, v1
	v_cvt_f32_i32_dpp v3, v5 row_shl:4 row_mask:0xf bank_mask:0xf bound_ctrl:1
	v_add_f32_e32 v0, v0, v3
	v_cvt_f32_i32_dpp v2, v2 row_shl:4 row_mask:0xf bank_mask:0xf bound_ctrl:1
	v_cvt_i32_f32_e32 v3, v0
	v_add_f32_e32 v1, v1, v2
	v_cvt_i32_f32_e32 v2, v1
	v_cvt_f32_i32_dpp v3, v3 row_shl:8 row_mask:0xf bank_mask:0xf bound_ctrl:1
	v_add_f32_e32 v0, v0, v3
	v_cvt_f32_i32_dpp v2, v2 row_shl:8 row_mask:0xf bank_mask:0xf bound_ctrl:1
	v_cvt_i32_f32_e32 v0, v0
	v_add_f32_e32 v1, v1, v2
	v_cvt_i32_f32_e32 v1, v1
	v_cvt_f32_i32_dpp v0, v0 row_shr:15 row_mask:0xf bank_mask:0xf bound_ctrl:1
	s_nop 0
	v_cvt_f32_i32_dpp v2, v1 row_shr:15 row_mask:0xf bank_mask:0xf bound_ctrl:1
	v_cvt_i32_f32_e32 v1, v0
	v_cvt_i32_f32_e32 v3, v2
	s_nop 0
	v_cvt_f32_i32_dpp v1, v1 row_bcast:15 row_mask:0xf bank_mask:0xf bound_ctrl:1
	v_cvt_f32_i32_dpp v3, v3 row_bcast:15 row_mask:0xf bank_mask:0xf bound_ctrl:1
	v_add_f32_e32 v1, v0, v1
	v_cvt_i32_f32_e32 v0, v1
	v_add_f32_e32 v2, v2, v3
	v_cvt_i32_f32_e32 v3, v2
	v_mov_b32_dpp v4, v0 row_bcast:31 row_mask:0xf bank_mask:0xf bound_ctrl:1
	s_nop 0
	v_mov_b32_dpp v0, v3 row_bcast:31 row_mask:0xf bank_mask:0xf bound_ctrl:1
	s_and_saveexec_b64 s[18:19], s[0:1]
	s_cbranch_execz .LBB176_7
; %bb.16:                               ;   in Loop: Header=BB176_8 Depth=1
	s_and_b64 vcc, exec, s[4:5]
	v_mov_b32_e32 v3, 0
	v_mov_b32_e32 v5, 0
	s_cbranch_vccnz .LBB176_18
; %bb.17:                               ;   in Loop: Header=BB176_8 Depth=1
	v_mul_hi_u32 v3, v32, v41
	v_mul_lo_u32 v3, v3, s22
	v_sub_u32_e32 v3, v32, v3
	v_subrev_u32_e32 v5, s22, v3
	v_cmp_le_u32_e32 vcc, s22, v3
	s_nop 1
	v_cndmask_b32_e32 v3, v3, v5, vcc
	v_subrev_u32_e32 v5, s22, v3
	v_cmp_le_u32_e32 vcc, s22, v3
	s_nop 1
	v_cndmask_b32_e32 v34, v3, v5, vcc
	v_or_b32_e32 v3, 1, v32
	v_mul_hi_u32 v5, v3, v41
	v_mul_lo_u32 v5, v5, s22
	v_sub_u32_e32 v3, v3, v5
	v_subrev_u32_e32 v5, s22, v3
	v_cmp_le_u32_e32 vcc, s22, v3
	v_lshl_add_u64 v[6:7], v[34:35], 1, s[6:7]
	s_nop 0
	v_cndmask_b32_e32 v3, v3, v5, vcc
	v_subrev_u32_e32 v5, s22, v3
	v_cmp_le_u32_e32 vcc, s22, v3
	s_nop 1
	v_cndmask_b32_e32 v34, v3, v5, vcc
	v_lshl_add_u64 v[8:9], v[34:35], 1, s[6:7]
	global_load_ushort v5, v[6:7], off
	global_load_ushort v3, v[8:9], off
.LBB176_18:                             ;   in Loop: Header=BB176_8 Depth=1
	v_cvt_f32_i32_e32 v4, v4
	v_add_f32_e32 v1, v1, v4
	s_waitcnt vmcnt(1)
	v_lshlrev_b32_e32 v4, 16, v5
	v_add_f32_e32 v1, v1, v4
	v_and_b32_e32 v4, 0x7f800000, v1
	v_cmp_ne_u32_e32 vcc, s25, v4
                                        ; implicit-def: $vgpr4
	s_and_saveexec_b64 s[20:21], vcc
	s_xor_b64 s[20:21], exec, s[20:21]
; %bb.19:                               ;   in Loop: Header=BB176_8 Depth=1
	v_bfe_u32 v4, v1, 16, 1
	v_add3_u32 v4, v1, v4, s26
                                        ; implicit-def: $vgpr1
; %bb.20:                               ;   in Loop: Header=BB176_8 Depth=1
	s_andn2_saveexec_b64 s[20:21], s[20:21]
; %bb.21:                               ;   in Loop: Header=BB176_8 Depth=1
	v_or_b32_e32 v4, 0x10000, v1
	v_cmp_eq_u32_sdwa vcc, v1, v35 src0_sel:WORD_0 src1_sel:DWORD
	s_nop 1
	v_cndmask_b32_e32 v4, v4, v1, vcc
; %bb.22:                               ;   in Loop: Header=BB176_8 Depth=1
	s_or_b64 exec, exec, s[20:21]
	v_cvt_f32_i32_e32 v5, v0
	s_waitcnt vmcnt(0)
	v_lshlrev_b32_e32 v3, 16, v3
	v_mov_b32_e32 v33, v35
	s_waitcnt lgkmcnt(0)
	v_lshl_add_u64 v[0:1], v[32:33], 1, s[14:15]
	v_add_f32_e32 v2, v2, v5
	v_add_f32_e32 v2, v2, v3
	v_and_b32_e32 v3, 0x7f800000, v2
	v_cmp_ne_u32_e32 vcc, s25, v3
	global_store_short_d16_hi v[0:1], v4, off
                                        ; implicit-def: $vgpr3
	s_and_saveexec_b64 s[20:21], vcc
	s_xor_b64 s[20:21], exec, s[20:21]
; %bb.23:                               ;   in Loop: Header=BB176_8 Depth=1
	v_bfe_u32 v3, v2, 16, 1
	v_add3_u32 v3, v2, v3, s26
                                        ; implicit-def: $vgpr2
; %bb.24:                               ;   in Loop: Header=BB176_8 Depth=1
	s_andn2_saveexec_b64 s[20:21], s[20:21]
	s_cbranch_execz .LBB176_6
; %bb.25:                               ;   in Loop: Header=BB176_8 Depth=1
	v_or_b32_e32 v3, 0x10000, v2
	v_cmp_eq_u32_sdwa vcc, v2, v35 src0_sel:WORD_0 src1_sel:DWORD
	s_nop 1
	v_cndmask_b32_e32 v3, v3, v2, vcc
	s_branch .LBB176_6
.LBB176_26:
	s_endpgm
	.section	.rodata,"a",@progbits
	.p2align	6, 0x0
	.amdhsa_kernel _Z16wvSplitK_hf_sml_I14__hip_bfloat16Li64ELi2ELi16ELi8ELi2ELi1EEviiiiiiPKT_S3_S3_PS1_ii
		.amdhsa_group_segment_fixed_size 65536
		.amdhsa_private_segment_fixed_size 0
		.amdhsa_kernarg_size 64
		.amdhsa_user_sgpr_count 2
		.amdhsa_user_sgpr_dispatch_ptr 0
		.amdhsa_user_sgpr_queue_ptr 0
		.amdhsa_user_sgpr_kernarg_segment_ptr 1
		.amdhsa_user_sgpr_dispatch_id 0
		.amdhsa_user_sgpr_kernarg_preload_length 0
		.amdhsa_user_sgpr_kernarg_preload_offset 0
		.amdhsa_user_sgpr_private_segment_size 0
		.amdhsa_uses_dynamic_stack 0
		.amdhsa_enable_private_segment 0
		.amdhsa_system_sgpr_workgroup_id_x 1
		.amdhsa_system_sgpr_workgroup_id_y 0
		.amdhsa_system_sgpr_workgroup_id_z 0
		.amdhsa_system_sgpr_workgroup_info 0
		.amdhsa_system_vgpr_workitem_id 1
		.amdhsa_next_free_vgpr 44
		.amdhsa_next_free_sgpr 28
		.amdhsa_accum_offset 44
		.amdhsa_reserve_vcc 1
		.amdhsa_float_round_mode_32 0
		.amdhsa_float_round_mode_16_64 0
		.amdhsa_float_denorm_mode_32 3
		.amdhsa_float_denorm_mode_16_64 3
		.amdhsa_dx10_clamp 1
		.amdhsa_ieee_mode 1
		.amdhsa_fp16_overflow 0
		.amdhsa_tg_split 0
		.amdhsa_exception_fp_ieee_invalid_op 0
		.amdhsa_exception_fp_denorm_src 0
		.amdhsa_exception_fp_ieee_div_zero 0
		.amdhsa_exception_fp_ieee_overflow 0
		.amdhsa_exception_fp_ieee_underflow 0
		.amdhsa_exception_fp_ieee_inexact 0
		.amdhsa_exception_int_div_zero 0
	.end_amdhsa_kernel
	.section	.text._Z16wvSplitK_hf_sml_I14__hip_bfloat16Li64ELi2ELi16ELi8ELi2ELi1EEviiiiiiPKT_S3_S3_PS1_ii,"axG",@progbits,_Z16wvSplitK_hf_sml_I14__hip_bfloat16Li64ELi2ELi16ELi8ELi2ELi1EEviiiiiiPKT_S3_S3_PS1_ii,comdat
.Lfunc_end176:
	.size	_Z16wvSplitK_hf_sml_I14__hip_bfloat16Li64ELi2ELi16ELi8ELi2ELi1EEviiiiiiPKT_S3_S3_PS1_ii, .Lfunc_end176-_Z16wvSplitK_hf_sml_I14__hip_bfloat16Li64ELi2ELi16ELi8ELi2ELi1EEviiiiiiPKT_S3_S3_PS1_ii
                                        ; -- End function
	.section	.AMDGPU.csdata,"",@progbits
; Kernel info:
; codeLenInByte = 1516
; NumSgprs: 34
; NumVgprs: 44
; NumAgprs: 0
; TotalNumVgprs: 44
; ScratchSize: 0
; MemoryBound: 0
; FloatMode: 240
; IeeeMode: 1
; LDSByteSize: 65536 bytes/workgroup (compile time only)
; SGPRBlocks: 4
; VGPRBlocks: 5
; NumSGPRsForWavesPerEU: 34
; NumVGPRsForWavesPerEU: 44
; AccumOffset: 44
; Occupancy: 4
; WaveLimiterHint : 0
; COMPUTE_PGM_RSRC2:SCRATCH_EN: 0
; COMPUTE_PGM_RSRC2:USER_SGPR: 2
; COMPUTE_PGM_RSRC2:TRAP_HANDLER: 0
; COMPUTE_PGM_RSRC2:TGID_X_EN: 1
; COMPUTE_PGM_RSRC2:TGID_Y_EN: 0
; COMPUTE_PGM_RSRC2:TGID_Z_EN: 0
; COMPUTE_PGM_RSRC2:TIDIG_COMP_CNT: 1
; COMPUTE_PGM_RSRC3_GFX90A:ACCUM_OFFSET: 10
; COMPUTE_PGM_RSRC3_GFX90A:TG_SPLIT: 0
	.section	.text._Z12wvSplitK_hf_I14__hip_bfloat16Li64ELi2ELi16ELi8ELi2ELi1EEviiiiiiPKT_S3_S3_PS1_ii,"axG",@progbits,_Z12wvSplitK_hf_I14__hip_bfloat16Li64ELi2ELi16ELi8ELi2ELi1EEviiiiiiPKT_S3_S3_PS1_ii,comdat
	.protected	_Z12wvSplitK_hf_I14__hip_bfloat16Li64ELi2ELi16ELi8ELi2ELi1EEviiiiiiPKT_S3_S3_PS1_ii ; -- Begin function _Z12wvSplitK_hf_I14__hip_bfloat16Li64ELi2ELi16ELi8ELi2ELi1EEviiiiiiPKT_S3_S3_PS1_ii
	.globl	_Z12wvSplitK_hf_I14__hip_bfloat16Li64ELi2ELi16ELi8ELi2ELi1EEviiiiiiPKT_S3_S3_PS1_ii
	.p2align	8
	.type	_Z12wvSplitK_hf_I14__hip_bfloat16Li64ELi2ELi16ELi8ELi2ELi1EEviiiiiiPKT_S3_S3_PS1_ii,@function
_Z12wvSplitK_hf_I14__hip_bfloat16Li64ELi2ELi16ELi8ELi2ELi1EEviiiiiiPKT_S3_S3_PS1_ii: ; @_Z12wvSplitK_hf_I14__hip_bfloat16Li64ELi2ELi16ELi8ELi2ELi1EEviiiiiiPKT_S3_S3_PS1_ii
; %bb.0:
	s_load_dwordx2 s[4:5], s[0:1], 0x38
	s_load_dwordx4 s[8:11], s[0:1], 0x0
	s_load_dword s30, s[0:1], 0x10
	v_bfe_u32 v3, v0, 10, 10
	s_mov_b32 s6, 1
	s_waitcnt lgkmcnt(0)
	s_mul_i32 s2, s2, s4
	v_add_lshl_u32 v34, s2, v3, 1
	v_add_u32_e32 v1, 2, v34
	v_cmp_gt_u32_e32 vcc, s11, v34
	v_cmp_le_u32_e64 s[2:3], s11, v1
	s_mov_b32 s7, s6
	s_and_b64 s[12:13], vcc, s[2:3]
	v_mov_b64_e32 v[32:33], s[6:7]
	s_and_saveexec_b64 s[2:3], s[12:13]
	s_cbranch_execz .LBB177_6
; %bb.1:
	s_add_i32 s18, s11, -2
	v_cmp_ne_u32_e32 vcc, s18, v34
	v_mov_b64_e32 v[32:33], s[6:7]
	s_and_saveexec_b64 s[6:7], vcc
	s_cbranch_execz .LBB177_5
; %bb.2:
	v_subrev_u32_e32 v1, s18, v34
	s_mov_b32 s12, 1
	v_cmp_lt_u32_e32 vcc, 1, v1
	s_mov_b64 s[14:15], 0
	s_mov_b64 s[16:17], 0
	v_cndmask_b32_e32 v2, 1, v1, vcc
	s_mov_b32 s13, s12
.LBB177_3:                              ; =>This Inner Loop Header: Depth=1
	s_cmp_lg_u32 s16, 1
	s_cselect_b32 s13, s13, 0
	s_cmp_lg_u32 s16, 0
	s_cselect_b32 s12, s12, 0
	s_add_u32 s16, s16, 1
	s_addc_u32 s17, s17, 0
	v_cmp_eq_u32_e32 vcc, s16, v2
	s_or_b64 s[14:15], vcc, s[14:15]
	v_mov_b64_e32 v[32:33], s[12:13]
	s_andn2_b64 exec, exec, s[14:15]
	s_cbranch_execnz .LBB177_3
; %bb.4:
	s_or_b64 exec, exec, s[14:15]
	v_mov_b32_e32 v34, s18
.LBB177_5:
	s_or_b64 exec, exec, s[6:7]
.LBB177_6:
	s_or_b64 exec, exec, s[2:3]
	s_load_dwordx4 s[12:15], s[0:1], 0x20
	v_and_b32_e32 v2, 0x3ff, v0
	v_lshlrev_b32_e32 v48, 3, v2
	v_lshl_add_u32 v4, v3, 9, v48
	s_min_u32 s10, s10, 0x8000
	v_cmp_gt_u32_e32 vcc, s10, v4
	s_and_saveexec_b64 s[2:3], vcc
	s_cbranch_execz .LBB177_9
; %bb.7:
	v_mov_b32_e32 v7, 0
	v_lshlrev_b32_e32 v6, 10, v3
	v_lshlrev_b32_e32 v8, 4, v2
	v_mov_b32_e32 v9, v7
	v_lshl_add_u64 v[0:1], v[6:7], 0, v[8:9]
	s_waitcnt lgkmcnt(0)
	v_lshl_add_u64 v[0:1], s[12:13], 0, v[0:1]
	v_add_u32_e32 v5, v6, v8
	s_mov_b64 s[6:7], 0
	s_mov_b64 s[16:17], 0x4000
.LBB177_8:                              ; =>This Inner Loop Header: Depth=1
	global_load_dwordx4 v[6:9], v[0:1], off
	v_add_u32_e32 v4, 0x2000, v4
	v_cmp_le_u32_e32 vcc, s10, v4
	v_lshl_add_u64 v[0:1], v[0:1], 0, s[16:17]
	s_or_b64 s[6:7], vcc, s[6:7]
	s_waitcnt vmcnt(0)
	ds_write_b128 v5, v[6:9]
	v_add_u32_e32 v5, 0x4000, v5
	s_andn2_b64 exec, exec, s[6:7]
	s_cbranch_execnz .LBB177_8
.LBB177_9:
	s_or_b64 exec, exec, s[2:3]
	v_cmp_gt_u32_e32 vcc, s4, v3
	v_cmp_gt_u32_e64 s[2:3], s11, v34
	s_and_b64 s[2:3], vcc, s[2:3]
	s_waitcnt lgkmcnt(0)
	s_barrier
	s_and_saveexec_b64 s[6:7], s[2:3]
	s_cbranch_execz .LBB177_48
; %bb.10:
	v_cvt_f32_u32_e32 v0, s30
	s_cmp_lg_u32 s8, 0
	s_cselect_b64 s[2:3], -1, 0
	s_add_i32 s10, s8, -8
	v_rcp_iflag_f32_e32 v0, v0
	s_add_i32 s31, s11, -1
	s_mul_i32 s4, s4, s5
	s_cmp_lg_u64 s[14:15], 0
	v_mul_f32_e32 v0, 0x4f7ffffe, v0
	v_cvt_u32_f32_e32 v0, v0
	s_load_dwordx2 s[6:7], s[0:1], 0x18
	s_load_dwordx2 s[16:17], s[0:1], 0x30
	s_cselect_b64 s[20:21], -1, 0
	s_lshl_b32 s33, s4, 1
	s_sub_i32 s4, 0, s30
	v_mul_lo_u32 v1, s4, v0
	v_mul_hi_u32 v1, v0, v1
	v_add_u32_e32 v49, v0, v1
	v_cndmask_b32_e64 v0, 0, 1, s[2:3]
	v_cmp_eq_u32_e64 s[0:1], 63, v2
	s_mov_b64 s[18:19], 0
	s_add_i32 s34, s11, -2
	v_mov_b32_e32 v37, 0
	v_lshlrev_b32_e32 v50, 4, v2
	v_cmp_ne_u32_e64 s[2:3], 1, v0
	s_movk_i32 s35, 0x7fff
	s_mov_b32 s36, 0x7f800000
	s_branch .LBB177_13
.LBB177_11:                             ;   in Loop: Header=BB177_13 Depth=1
	s_or_b64 exec, exec, s[24:25]
	v_mov_b32_e32 v34, s34
.LBB177_12:                             ;   in Loop: Header=BB177_13 Depth=1
	s_or_b64 exec, exec, s[22:23]
	v_cmp_le_u32_e32 vcc, s11, v34
	s_or_b64 s[18:19], vcc, s[18:19]
	s_andn2_b64 exec, exec, s[18:19]
	s_cbranch_execz .LBB177_48
.LBB177_13:                             ; =>This Loop Header: Depth=1
                                        ;     Child Loop BB177_18 Depth 2
                                        ;     Child Loop BB177_46 Depth 2
	s_and_b64 vcc, exec, s[2:3]
	v_add_u32_e32 v38, 1, v34
	v_mov_b32_e32 v7, v37
	v_mov_b32_e32 v6, v37
	s_waitcnt vmcnt(1)
	v_mov_b32_e32 v5, v37
	v_mov_b32_e32 v4, v37
	v_mov_b32_e32 v3, v37
	s_waitcnt vmcnt(0)
	v_mov_b32_e32 v2, v37
	v_mov_b32_e32 v1, v37
	;; [unrolled: 1-line block ×3, first 2 shown]
	s_cbranch_vccnz .LBB177_28
; %bb.14:                               ;   in Loop: Header=BB177_13 Depth=1
	v_min_u32_e32 v0, s31, v34
	v_mul_lo_u32 v36, v0, s9
	v_min_u32_e32 v0, s31, v38
	v_mul_lo_u32 v2, v0, s9
	v_mov_b32_e32 v3, v37
	v_mov_b32_e32 v0, 0
	s_mov_b32 s4, 0
	v_lshlrev_b64 v[40:41], 1, v[36:37]
	v_lshlrev_b64 v[42:43], 1, v[2:3]
	v_mov_b32_e32 v35, v50
	s_mov_b32 s28, 0
	v_mov_b32_e32 v1, v0
	v_mov_b32_e32 v2, v0
	;; [unrolled: 1-line block ×7, first 2 shown]
	s_branch .LBB177_18
.LBB177_15:                             ;   in Loop: Header=BB177_18 Depth=2
	s_or_b64 exec, exec, s[26:27]
.LBB177_16:                             ;   in Loop: Header=BB177_18 Depth=2
	s_or_b64 exec, exec, s[24:25]
.LBB177_17:                             ;   in Loop: Header=BB177_18 Depth=2
	s_or_b64 exec, exec, s[22:23]
	s_waitcnt vmcnt(0) lgkmcnt(0)
	v_mfma_f32_4x4x4_16b_bf16 v[0:3], v[24:25], v[20:21], v[0:3]
	s_addk_i32 s28, 0x400
	v_mfma_f32_4x4x4_16b_bf16 v[4:7], v[24:25], v[12:13], v[4:7]
	v_add_u32_e32 v35, 0x800, v35
	v_mfma_f32_4x4x4_16b_bf16 v[0:3], v[26:27], v[22:23], v[0:3]
	s_cmp_ge_u32 s28, s8
	v_mfma_f32_4x4x4_16b_bf16 v[4:7], v[26:27], v[14:15], v[4:7]
	v_mfma_f32_4x4x4_16b_bf16 v[0:3], v[28:29], v[16:17], v[0:3]
	s_nop 0
	v_mfma_f32_4x4x4_16b_bf16 v[4:7], v[28:29], v[8:9], v[4:7]
	v_mfma_f32_4x4x4_16b_bf16 v[0:3], v[30:31], v[18:19], v[0:3]
	s_nop 0
	v_mfma_f32_4x4x4_16b_bf16 v[4:7], v[30:31], v[10:11], v[4:7]
	s_cbranch_scc1 .LBB177_28
.LBB177_18:                             ;   Parent Loop BB177_13 Depth=1
                                        ; =>  This Inner Loop Header: Depth=2
	v_add_u32_e32 v46, s28, v48
	v_min_u32_e32 v36, s10, v46
	s_waitcnt lgkmcnt(0)
	v_lshl_add_u64 v[8:9], v[36:37], 1, s[6:7]
	v_add_u32_e32 v44, 0x200, v46
	v_lshl_add_u64 v[10:11], v[8:9], 0, v[40:41]
	v_lshl_add_u64 v[8:9], v[8:9], 0, v[42:43]
	v_min_u32_e32 v36, s10, v44
	global_load_dwordx4 v[20:23], v[10:11], off nt
	global_load_dwordx4 v[12:15], v[8:9], off nt
	v_lshl_add_u64 v[8:9], v[36:37], 1, s[6:7]
	v_lshl_add_u64 v[24:25], v[8:9], 0, v[40:41]
	;; [unrolled: 1-line block ×3, first 2 shown]
	global_load_dwordx4 v[16:19], v[24:25], off nt
	global_load_dwordx4 v[8:11], v[26:27], off nt
	s_mov_b32 s5, s4
	v_cmp_gt_u32_e32 vcc, s8, v46
	v_mov_b64_e32 v[24:25], s[4:5]
	v_mov_b32_e32 v31, 0
	v_mov_b32_e32 v30, 0
	;; [unrolled: 1-line block ×4, first 2 shown]
	v_mov_b64_e32 v[26:27], s[4:5]
	s_and_saveexec_b64 s[22:23], vcc
	s_cbranch_execz .LBB177_17
; %bb.19:                               ;   in Loop: Header=BB177_18 Depth=2
	v_cmp_lt_u32_e32 vcc, s35, v46
                                        ; implicit-def: $vgpr24_vgpr25
	s_and_saveexec_b64 s[24:25], vcc
	s_xor_b64 s[24:25], exec, s[24:25]
	s_cbranch_execz .LBB177_21
; %bb.20:                               ;   in Loop: Header=BB177_18 Depth=2
	v_mov_b32_e32 v47, v37
	v_lshl_add_u64 v[24:25], v[46:47], 1, s[12:13]
	global_load_dwordx4 v[24:27], v[24:25], off
.LBB177_21:                             ;   in Loop: Header=BB177_18 Depth=2
	s_andn2_saveexec_b64 s[24:25], s[24:25]
	s_cbranch_execz .LBB177_23
; %bb.22:                               ;   in Loop: Header=BB177_18 Depth=2
	s_waitcnt vmcnt(0)
	ds_read_b128 v[24:27], v35
.LBB177_23:                             ;   in Loop: Header=BB177_18 Depth=2
	s_or_b64 exec, exec, s[24:25]
	v_cmp_gt_u32_e32 vcc, s8, v44
	v_mov_b32_e32 v31, 0
	v_mov_b32_e32 v30, 0
	;; [unrolled: 1-line block ×4, first 2 shown]
	s_and_saveexec_b64 s[24:25], vcc
	s_cbranch_execz .LBB177_16
; %bb.24:                               ;   in Loop: Header=BB177_18 Depth=2
	v_cmp_lt_u32_e32 vcc, s35, v44
                                        ; implicit-def: $vgpr31
	s_and_saveexec_b64 s[26:27], vcc
	s_xor_b64 s[26:27], exec, s[26:27]
	s_cbranch_execz .LBB177_26
; %bb.25:                               ;   in Loop: Header=BB177_18 Depth=2
	v_mov_b32_e32 v45, v37
	v_lshl_add_u64 v[28:29], v[44:45], 1, s[12:13]
	global_load_dwordx4 v[28:31], v[28:29], off
.LBB177_26:                             ;   in Loop: Header=BB177_18 Depth=2
	s_andn2_saveexec_b64 s[26:27], s[26:27]
	s_cbranch_execz .LBB177_15
; %bb.27:                               ;   in Loop: Header=BB177_18 Depth=2
	s_waitcnt vmcnt(0)
	ds_read_b128 v[28:31], v35 offset:1024
	s_branch .LBB177_15
.LBB177_28:                             ;   in Loop: Header=BB177_13 Depth=1
	s_nop 1
	v_cvt_i32_f32_e32 v1, v1
	v_cvt_i32_f32_e32 v2, v2
	v_cvt_i32_f32_e32 v3, v3
	v_cvt_i32_f32_e32 v5, v5
	v_cvt_f32_i32_dpp v1, v1 row_shl:1 row_mask:0xf bank_mask:0xf bound_ctrl:1
	v_cvt_f32_i32_dpp v2, v2 row_shl:2 row_mask:0xf bank_mask:0xf bound_ctrl:1
	v_cvt_i32_f32_e32 v6, v6
	v_cvt_f32_i32_dpp v3, v3 row_shl:3 row_mask:0xf bank_mask:0xf bound_ctrl:1
	v_add_f32_e32 v0, v0, v1
	v_cvt_i32_f32_e32 v1, v7
	v_add_f32_e32 v0, v0, v2
	v_cvt_f32_i32_dpp v2, v5 row_shl:1 row_mask:0xf bank_mask:0xf bound_ctrl:1
	v_add_f32_e32 v0, v0, v3
	v_cvt_f32_i32_dpp v3, v6 row_shl:2 row_mask:0xf bank_mask:0xf bound_ctrl:1
	v_cvt_f32_i32_dpp v1, v1 row_shl:3 row_mask:0xf bank_mask:0xf bound_ctrl:1
	v_add_f32_e32 v2, v4, v2
	v_cvt_i32_f32_e32 v5, v0
	v_add_f32_e32 v2, v2, v3
	v_add_f32_e32 v1, v2, v1
	v_cvt_i32_f32_e32 v2, v1
	v_cvt_f32_i32_dpp v3, v5 row_shl:4 row_mask:0xf bank_mask:0xf bound_ctrl:1
	v_add_f32_e32 v0, v0, v3
	v_cvt_f32_i32_dpp v2, v2 row_shl:4 row_mask:0xf bank_mask:0xf bound_ctrl:1
	v_cvt_i32_f32_e32 v3, v0
	v_add_f32_e32 v1, v1, v2
	v_cvt_i32_f32_e32 v2, v1
	v_cvt_f32_i32_dpp v3, v3 row_shl:8 row_mask:0xf bank_mask:0xf bound_ctrl:1
	v_add_f32_e32 v0, v0, v3
	v_cvt_f32_i32_dpp v2, v2 row_shl:8 row_mask:0xf bank_mask:0xf bound_ctrl:1
	v_cvt_i32_f32_e32 v0, v0
	v_add_f32_e32 v1, v1, v2
	v_cvt_i32_f32_e32 v1, v1
	v_cvt_f32_i32_dpp v0, v0 row_shr:15 row_mask:0xf bank_mask:0xf bound_ctrl:1
	v_cvt_i32_f32_e32 v2, v0
	v_cvt_f32_i32_dpp v1, v1 row_shr:15 row_mask:0xf bank_mask:0xf bound_ctrl:1
	s_nop 0
	v_cvt_f32_i32_dpp v2, v2 row_bcast:15 row_mask:0xf bank_mask:0xf bound_ctrl:1
	v_cvt_i32_f32_e32 v3, v1
	s_nop 1
	v_cvt_f32_i32_dpp v4, v3 row_bcast:15 row_mask:0xf bank_mask:0xf bound_ctrl:1
	v_add_f32_e32 v3, v0, v2
	v_add_f32_e32 v0, v1, v4
	v_cvt_i32_f32_e32 v1, v3
	v_cvt_i32_f32_e32 v2, v0
	s_nop 0
	v_mov_b32_dpp v4, v1 row_bcast:31 row_mask:0xf bank_mask:0xf bound_ctrl:1
	v_mov_b32_dpp v1, v2 row_bcast:31 row_mask:0xf bank_mask:0xf bound_ctrl:1
	s_and_saveexec_b64 s[4:5], s[0:1]
	s_cbranch_execz .LBB177_43
; %bb.29:                               ;   in Loop: Header=BB177_13 Depth=1
	s_andn2_b64 vcc, exec, s[20:21]
	v_mov_b32_e32 v2, 0
	v_mov_b32_e32 v5, 0
	s_cbranch_vccnz .LBB177_31
; %bb.30:                               ;   in Loop: Header=BB177_13 Depth=1
	v_mul_hi_u32 v2, v34, v49
	v_mul_lo_u32 v2, v2, s30
	v_sub_u32_e32 v2, v34, v2
	v_subrev_u32_e32 v5, s30, v2
	v_cmp_le_u32_e32 vcc, s30, v2
	s_nop 1
	v_cndmask_b32_e32 v2, v2, v5, vcc
	v_subrev_u32_e32 v5, s30, v2
	v_cmp_le_u32_e32 vcc, s30, v2
	s_nop 1
	v_cndmask_b32_e32 v36, v2, v5, vcc
	v_mul_hi_u32 v2, v38, v49
	v_mul_lo_u32 v2, v2, s30
	v_sub_u32_e32 v2, v38, v2
	v_subrev_u32_e32 v5, s30, v2
	v_cmp_le_u32_e32 vcc, s30, v2
	v_lshl_add_u64 v[6:7], v[36:37], 1, s[14:15]
	s_nop 0
	v_cndmask_b32_e32 v2, v2, v5, vcc
	v_subrev_u32_e32 v5, s30, v2
	v_cmp_le_u32_e32 vcc, s30, v2
	s_nop 1
	v_cndmask_b32_e32 v36, v2, v5, vcc
	v_lshl_add_u64 v[8:9], v[36:37], 1, s[14:15]
	global_load_ushort v5, v[6:7], off
	global_load_ushort v2, v[8:9], off
.LBB177_31:                             ;   in Loop: Header=BB177_13 Depth=1
	v_cmp_ne_u32_e32 vcc, 0, v32
	s_and_saveexec_b64 s[22:23], vcc
	s_cbranch_execz .LBB177_37
; %bb.32:                               ;   in Loop: Header=BB177_13 Depth=1
	v_cvt_f32_i32_e32 v4, v4
	v_add_f32_e32 v3, v3, v4
	s_waitcnt vmcnt(1)
	v_lshlrev_b32_e32 v4, 16, v5
	v_add_f32_e32 v4, v3, v4
	v_and_b32_e32 v3, 0x7f800000, v4
	v_cmp_ne_u32_e32 vcc, s36, v3
                                        ; implicit-def: $vgpr3
	s_and_saveexec_b64 s[24:25], vcc
	s_xor_b64 s[24:25], exec, s[24:25]
; %bb.33:                               ;   in Loop: Header=BB177_13 Depth=1
	v_bfe_u32 v3, v4, 16, 1
	v_add3_u32 v3, v4, v3, s35
                                        ; implicit-def: $vgpr4
; %bb.34:                               ;   in Loop: Header=BB177_13 Depth=1
	s_andn2_saveexec_b64 s[24:25], s[24:25]
; %bb.35:                               ;   in Loop: Header=BB177_13 Depth=1
	v_or_b32_e32 v3, 0x10000, v4
	v_cmp_eq_u32_sdwa vcc, v4, v37 src0_sel:WORD_0 src1_sel:DWORD
	s_nop 1
	v_cndmask_b32_e32 v3, v3, v4, vcc
; %bb.36:                               ;   in Loop: Header=BB177_13 Depth=1
	s_or_b64 exec, exec, s[24:25]
	v_mov_b32_e32 v35, v37
	s_waitcnt lgkmcnt(0)
	v_lshl_add_u64 v[4:5], v[34:35], 1, s[16:17]
	global_store_short_d16_hi v[4:5], v3, off
.LBB177_37:                             ;   in Loop: Header=BB177_13 Depth=1
	s_or_b64 exec, exec, s[22:23]
	v_cmp_ne_u32_e32 vcc, 0, v33
	s_and_b64 exec, exec, vcc
	s_cbranch_execz .LBB177_43
; %bb.38:                               ;   in Loop: Header=BB177_13 Depth=1
	v_cvt_f32_i32_e32 v1, v1
	v_add_f32_e32 v0, v0, v1
	s_waitcnt vmcnt(0)
	v_lshlrev_b32_e32 v1, 16, v2
	v_add_f32_e32 v1, v0, v1
	v_and_b32_e32 v0, 0x7f800000, v1
	v_cmp_ne_u32_e32 vcc, s36, v0
                                        ; implicit-def: $vgpr0
	s_and_saveexec_b64 s[22:23], vcc
	s_xor_b64 s[22:23], exec, s[22:23]
; %bb.39:                               ;   in Loop: Header=BB177_13 Depth=1
	v_bfe_u32 v0, v1, 16, 1
	v_add3_u32 v0, v1, v0, s35
                                        ; implicit-def: $vgpr1
; %bb.40:                               ;   in Loop: Header=BB177_13 Depth=1
	s_andn2_saveexec_b64 s[22:23], s[22:23]
; %bb.41:                               ;   in Loop: Header=BB177_13 Depth=1
	v_or_b32_e32 v0, 0x10000, v1
	v_cmp_eq_u32_sdwa vcc, v1, v37 src0_sel:WORD_0 src1_sel:DWORD
	s_nop 1
	v_cndmask_b32_e32 v0, v0, v1, vcc
; %bb.42:                               ;   in Loop: Header=BB177_13 Depth=1
	s_or_b64 exec, exec, s[22:23]
	v_mov_b32_e32 v39, v37
	s_waitcnt lgkmcnt(0)
	v_lshl_add_u64 v[2:3], v[38:39], 1, s[16:17]
	global_store_short_d16_hi v[2:3], v0, off
.LBB177_43:                             ;   in Loop: Header=BB177_13 Depth=1
	s_or_b64 exec, exec, s[4:5]
	v_add_u32_e32 v34, s33, v34
	v_add_u32_e32 v0, 2, v34
	v_cmp_gt_u32_e32 vcc, s11, v34
	v_cmp_le_u32_e64 s[4:5], s11, v0
	s_and_b64 s[4:5], vcc, s[4:5]
	s_and_saveexec_b64 s[22:23], s[4:5]
	s_cbranch_execz .LBB177_12
; %bb.44:                               ;   in Loop: Header=BB177_13 Depth=1
	v_cmp_ne_u32_e32 vcc, s34, v34
	s_and_saveexec_b64 s[24:25], vcc
	s_cbranch_execz .LBB177_11
; %bb.45:                               ;   in Loop: Header=BB177_13 Depth=1
	v_subrev_u32_e32 v0, s34, v34
	v_cmp_lt_u32_e32 vcc, 1, v0
	s_mov_b64 s[26:27], 0
	s_mov_b64 s[28:29], 0
	v_cndmask_b32_e32 v0, 1, v0, vcc
.LBB177_46:                             ;   Parent Loop BB177_13 Depth=1
                                        ; =>  This Inner Loop Header: Depth=2
	s_cmp_lg_u32 s28, 1
	s_cselect_b64 vcc, -1, 0
	s_cmp_lg_u32 s28, 0
	v_cndmask_b32_e32 v33, 0, v33, vcc
	s_cselect_b64 vcc, -1, 0
	s_add_u32 s28, s28, 1
	s_addc_u32 s29, s29, 0
	v_cmp_eq_u32_e64 s[4:5], s28, v0
	s_or_b64 s[26:27], s[4:5], s[26:27]
	v_cndmask_b32_e32 v32, 0, v32, vcc
	s_andn2_b64 exec, exec, s[26:27]
	s_cbranch_execnz .LBB177_46
; %bb.47:                               ;   in Loop: Header=BB177_13 Depth=1
	s_or_b64 exec, exec, s[26:27]
	s_branch .LBB177_11
.LBB177_48:
	s_endpgm
	.section	.rodata,"a",@progbits
	.p2align	6, 0x0
	.amdhsa_kernel _Z12wvSplitK_hf_I14__hip_bfloat16Li64ELi2ELi16ELi8ELi2ELi1EEviiiiiiPKT_S3_S3_PS1_ii
		.amdhsa_group_segment_fixed_size 65536
		.amdhsa_private_segment_fixed_size 0
		.amdhsa_kernarg_size 64
		.amdhsa_user_sgpr_count 2
		.amdhsa_user_sgpr_dispatch_ptr 0
		.amdhsa_user_sgpr_queue_ptr 0
		.amdhsa_user_sgpr_kernarg_segment_ptr 1
		.amdhsa_user_sgpr_dispatch_id 0
		.amdhsa_user_sgpr_kernarg_preload_length 0
		.amdhsa_user_sgpr_kernarg_preload_offset 0
		.amdhsa_user_sgpr_private_segment_size 0
		.amdhsa_uses_dynamic_stack 0
		.amdhsa_enable_private_segment 0
		.amdhsa_system_sgpr_workgroup_id_x 1
		.amdhsa_system_sgpr_workgroup_id_y 0
		.amdhsa_system_sgpr_workgroup_id_z 0
		.amdhsa_system_sgpr_workgroup_info 0
		.amdhsa_system_vgpr_workitem_id 1
		.amdhsa_next_free_vgpr 51
		.amdhsa_next_free_sgpr 37
		.amdhsa_accum_offset 52
		.amdhsa_reserve_vcc 1
		.amdhsa_float_round_mode_32 0
		.amdhsa_float_round_mode_16_64 0
		.amdhsa_float_denorm_mode_32 3
		.amdhsa_float_denorm_mode_16_64 3
		.amdhsa_dx10_clamp 1
		.amdhsa_ieee_mode 1
		.amdhsa_fp16_overflow 0
		.amdhsa_tg_split 0
		.amdhsa_exception_fp_ieee_invalid_op 0
		.amdhsa_exception_fp_denorm_src 0
		.amdhsa_exception_fp_ieee_div_zero 0
		.amdhsa_exception_fp_ieee_overflow 0
		.amdhsa_exception_fp_ieee_underflow 0
		.amdhsa_exception_fp_ieee_inexact 0
		.amdhsa_exception_int_div_zero 0
	.end_amdhsa_kernel
	.section	.text._Z12wvSplitK_hf_I14__hip_bfloat16Li64ELi2ELi16ELi8ELi2ELi1EEviiiiiiPKT_S3_S3_PS1_ii,"axG",@progbits,_Z12wvSplitK_hf_I14__hip_bfloat16Li64ELi2ELi16ELi8ELi2ELi1EEviiiiiiPKT_S3_S3_PS1_ii,comdat
.Lfunc_end177:
	.size	_Z12wvSplitK_hf_I14__hip_bfloat16Li64ELi2ELi16ELi8ELi2ELi1EEviiiiiiPKT_S3_S3_PS1_ii, .Lfunc_end177-_Z12wvSplitK_hf_I14__hip_bfloat16Li64ELi2ELi16ELi8ELi2ELi1EEviiiiiiPKT_S3_S3_PS1_ii
                                        ; -- End function
	.section	.AMDGPU.csdata,"",@progbits
; Kernel info:
; codeLenInByte = 1912
; NumSgprs: 43
; NumVgprs: 51
; NumAgprs: 0
; TotalNumVgprs: 51
; ScratchSize: 0
; MemoryBound: 1
; FloatMode: 240
; IeeeMode: 1
; LDSByteSize: 65536 bytes/workgroup (compile time only)
; SGPRBlocks: 5
; VGPRBlocks: 6
; NumSGPRsForWavesPerEU: 43
; NumVGPRsForWavesPerEU: 51
; AccumOffset: 52
; Occupancy: 4
; WaveLimiterHint : 0
; COMPUTE_PGM_RSRC2:SCRATCH_EN: 0
; COMPUTE_PGM_RSRC2:USER_SGPR: 2
; COMPUTE_PGM_RSRC2:TRAP_HANDLER: 0
; COMPUTE_PGM_RSRC2:TGID_X_EN: 1
; COMPUTE_PGM_RSRC2:TGID_Y_EN: 0
; COMPUTE_PGM_RSRC2:TGID_Z_EN: 0
; COMPUTE_PGM_RSRC2:TIDIG_COMP_CNT: 1
; COMPUTE_PGM_RSRC3_GFX90A:ACCUM_OFFSET: 12
; COMPUTE_PGM_RSRC3_GFX90A:TG_SPLIT: 0
	.section	.text._Z16wvSplitK_hf_big_I14__hip_bfloat16Li64ELi2ELi16ELi8ELi2ELi1EEviiiiiiPKT_S3_S3_PS1_ii,"axG",@progbits,_Z16wvSplitK_hf_big_I14__hip_bfloat16Li64ELi2ELi16ELi8ELi2ELi1EEviiiiiiPKT_S3_S3_PS1_ii,comdat
	.protected	_Z16wvSplitK_hf_big_I14__hip_bfloat16Li64ELi2ELi16ELi8ELi2ELi1EEviiiiiiPKT_S3_S3_PS1_ii ; -- Begin function _Z16wvSplitK_hf_big_I14__hip_bfloat16Li64ELi2ELi16ELi8ELi2ELi1EEviiiiiiPKT_S3_S3_PS1_ii
	.globl	_Z16wvSplitK_hf_big_I14__hip_bfloat16Li64ELi2ELi16ELi8ELi2ELi1EEviiiiiiPKT_S3_S3_PS1_ii
	.p2align	8
	.type	_Z16wvSplitK_hf_big_I14__hip_bfloat16Li64ELi2ELi16ELi8ELi2ELi1EEviiiiiiPKT_S3_S3_PS1_ii,@function
_Z16wvSplitK_hf_big_I14__hip_bfloat16Li64ELi2ELi16ELi8ELi2ELi1EEviiiiiiPKT_S3_S3_PS1_ii: ; @_Z16wvSplitK_hf_big_I14__hip_bfloat16Li64ELi2ELi16ELi8ELi2ELi1EEviiiiiiPKT_S3_S3_PS1_ii
; %bb.0:
	s_load_dwordx2 s[4:5], s[0:1], 0x38
	v_bfe_u32 v1, v0, 10, 10
	s_waitcnt lgkmcnt(0)
	v_cmp_gt_u32_e32 vcc, s4, v1
	s_and_saveexec_b64 s[6:7], vcc
	s_cbranch_execz .LBB178_52
; %bb.1:
	s_load_dwordx4 s[20:23], s[0:1], 0x0
	s_mul_i32 s2, s2, s4
	v_add_lshl_u32 v34, s2, v1, 1
	s_mov_b32 s6, 1
	v_add_u32_e32 v2, 2, v34
	s_waitcnt lgkmcnt(0)
	v_cmp_gt_u32_e32 vcc, s23, v34
	v_cmp_le_u32_e64 s[2:3], s23, v2
	s_mov_b32 s7, s6
	s_and_b64 s[8:9], vcc, s[2:3]
	v_mov_b64_e32 v[32:33], s[6:7]
	s_and_saveexec_b64 s[2:3], s[8:9]
	s_cbranch_execz .LBB178_7
; %bb.2:
	s_add_i32 s14, s23, -2
	v_cmp_ne_u32_e32 vcc, s14, v34
	v_mov_b64_e32 v[32:33], s[6:7]
	s_and_saveexec_b64 s[6:7], vcc
	s_cbranch_execz .LBB178_6
; %bb.3:
	v_subrev_u32_e32 v2, s14, v34
	s_mov_b32 s8, 1
	v_cmp_lt_u32_e32 vcc, 1, v2
	s_mov_b64 s[10:11], 0
	s_mov_b64 s[12:13], 0
	v_cndmask_b32_e32 v2, 1, v2, vcc
	s_mov_b32 s9, s8
.LBB178_4:                              ; =>This Inner Loop Header: Depth=1
	s_cmp_lg_u32 s12, 1
	s_cselect_b32 s9, s9, 0
	s_cmp_lg_u32 s12, 0
	s_cselect_b32 s8, s8, 0
	s_add_u32 s12, s12, 1
	s_addc_u32 s13, s13, 0
	v_cmp_eq_u32_e32 vcc, s12, v2
	s_or_b64 s[10:11], vcc, s[10:11]
	v_mov_b64_e32 v[32:33], s[8:9]
	s_andn2_b64 exec, exec, s[10:11]
	s_cbranch_execnz .LBB178_4
; %bb.5:
	s_or_b64 exec, exec, s[10:11]
	v_mov_b32_e32 v34, s14
.LBB178_6:
	s_or_b64 exec, exec, s[6:7]
.LBB178_7:
	s_or_b64 exec, exec, s[2:3]
	s_lshl_b32 s2, s4, 1
	s_abs_i32 s3, s2
	v_cvt_f32_u32_e32 v2, s3
	s_sub_i32 s8, 0, s3
	s_abs_i32 s7, s23
	s_ashr_i32 s6, s23, 31
	v_rcp_iflag_f32_e32 v2, v2
	s_nop 0
	v_mul_f32_e32 v2, 0x4f7ffffe, v2
	v_cvt_u32_f32_e32 v2, v2
	s_nop 0
	v_readfirstlane_b32 s9, v2
	s_mul_i32 s8, s8, s9
	s_mul_hi_u32 s8, s9, s8
	s_add_i32 s9, s9, s8
	s_mul_hi_u32 s8, s7, s9
	s_mul_i32 s8, s8, s3
	s_sub_i32 s7, s7, s8
	s_sub_i32 s8, s7, s3
	s_cmp_ge_u32 s7, s3
	s_cselect_b32 s7, s8, s7
	s_sub_i32 s8, s7, s3
	s_cmp_ge_u32 s7, s3
	s_cselect_b32 s3, s8, s7
	s_xor_b32 s3, s3, s6
	s_sub_i32 s3, s3, s6
	s_add_i32 s2, s2, s23
	s_sub_i32 s2, s2, s3
	s_cmp_eq_u32 s3, 0
	s_cselect_b32 s33, s23, s2
	v_cmp_gt_u32_e32 vcc, s33, v34
	s_and_b64 exec, exec, vcc
	s_cbranch_execz .LBB178_52
; %bb.8:
	s_load_dwordx8 s[12:19], s[0:1], 0x18
	s_load_dword s38, s[0:1], 0x10
	s_min_u32 s39, s22, 0x8000
	s_cmp_lg_u32 s20, 0
	s_cselect_b64 s[2:3], -1, 0
	s_cmp_lg_u32 s22, 0
	s_waitcnt lgkmcnt(0)
	v_cvt_f32_u32_e32 v2, s38
	s_mul_i32 s0, s5, s4
	s_cselect_b64 s[6:7], -1, 0
	s_lshl_b32 s40, s4, 9
	v_rcp_iflag_f32_e32 v2, v2
	s_add_i32 s41, s20, -8
	s_add_i32 s42, s23, -1
	s_lshl_b32 s43, s0, 1
	v_mul_f32_e32 v2, 0x4f7ffffe, v2
	v_cvt_u32_f32_e32 v2, v2
	v_and_b32_e32 v0, 0x3ff, v0
	s_cmp_lg_u64 s[16:17], 0
	v_lshlrev_b32_e32 v42, 3, v0
	v_cmp_eq_u32_e64 s[0:1], 63, v0
	s_cselect_b64 s[24:25], -1, 0
	s_sub_i32 s5, 0, s38
	v_lshlrev_b32_e32 v0, 4, v0
	s_add_i32 s44, s23, -2
	v_mul_lo_u32 v3, s5, v2
	v_lshl_add_u32 v44, v1, 10, v0
	v_cndmask_b32_e64 v0, 0, 1, s[2:3]
	v_mul_hi_u32 v3, v2, v3
	s_add_u32 s26, s18, 2
	v_cmp_ne_u32_e64 s[2:3], 1, v0
	v_cndmask_b32_e64 v0, 0, 1, s[6:7]
	s_mov_b64 s[10:11], 0
	v_add_u32_e32 v43, v2, v3
	v_mov_b32_e32 v37, 0
	s_addc_u32 s27, s19, 0
	s_lshl_b32 s45, s4, 10
	v_lshl_add_u32 v45, v1, 9, v42
	v_cmp_ne_u32_e64 s[4:5], 1, v0
	s_mov_b32 s46, 0x7f800000
	s_movk_i32 s47, 0x7fff
	s_branch .LBB178_12
.LBB178_9:                              ;   in Loop: Header=BB178_12 Depth=1
	s_or_b64 exec, exec, s[30:31]
	v_mov_b32_e32 v34, s44
.LBB178_10:                             ;   in Loop: Header=BB178_12 Depth=1
	s_or_b64 exec, exec, s[28:29]
.LBB178_11:                             ;   in Loop: Header=BB178_12 Depth=1
	s_or_b64 exec, exec, s[8:9]
	v_cmp_le_u32_e32 vcc, s33, v34
	s_or_b64 s[10:11], vcc, s[10:11]
	s_andn2_b64 exec, exec, s[10:11]
	s_cbranch_execz .LBB178_52
.LBB178_12:                             ; =>This Loop Header: Depth=1
                                        ;     Child Loop BB178_17 Depth 2
                                        ;       Child Loop BB178_22 Depth 3
                                        ;     Child Loop BB178_50 Depth 2
	s_and_b64 vcc, exec, s[2:3]
	v_mov_b32_e32 v3, v37
	s_waitcnt vmcnt(0)
	v_mov_b32_e32 v2, v37
	v_mov_b32_e32 v1, v37
	;; [unrolled: 1-line block ×7, first 2 shown]
	s_cbranch_vccnz .LBB178_29
; %bb.13:                               ;   in Loop: Header=BB178_12 Depth=1
	v_min_u32_e32 v0, s42, v34
	v_mul_lo_u32 v36, v0, s21
	v_add_u32_e32 v0, 1, v34
	v_min_u32_e32 v0, s42, v0
	v_mul_lo_u32 v0, v0, s21
	v_mov_b32_e32 v1, v37
	v_mov_b32_e32 v4, 0
	v_cmp_gt_u32_e64 s[6:7], s23, v34
	s_mov_b32 s34, 0
	v_lshlrev_b64 v[38:39], 1, v[36:37]
	v_lshlrev_b64 v[40:41], 1, v[0:1]
	s_mov_b32 s35, 0
	v_mov_b32_e32 v5, v4
	v_mov_b32_e32 v6, v4
	;; [unrolled: 1-line block ×7, first 2 shown]
	s_branch .LBB178_17
.LBB178_14:                             ;   in Loop: Header=BB178_17 Depth=2
	s_or_b64 exec, exec, s[30:31]
.LBB178_15:                             ;   in Loop: Header=BB178_17 Depth=2
	s_or_b64 exec, exec, s[28:29]
	s_waitcnt vmcnt(3) lgkmcnt(0)
	v_mfma_f32_4x4x4_16b_bf16 v[4:7], v[28:29], v[24:25], v[4:7]
	s_waitcnt vmcnt(2)
	v_mfma_f32_4x4x4_16b_bf16 v[0:3], v[28:29], v[12:13], v[0:3]
	v_mfma_f32_4x4x4_16b_bf16 v[4:7], v[30:31], v[26:27], v[4:7]
	s_nop 0
	v_mfma_f32_4x4x4_16b_bf16 v[0:3], v[30:31], v[14:15], v[0:3]
	s_waitcnt vmcnt(1)
	v_mfma_f32_4x4x4_16b_bf16 v[4:7], v[20:21], v[16:17], v[4:7]
	s_waitcnt vmcnt(0)
	v_mfma_f32_4x4x4_16b_bf16 v[0:3], v[20:21], v[8:9], v[0:3]
	v_mfma_f32_4x4x4_16b_bf16 v[4:7], v[22:23], v[18:19], v[4:7]
	s_nop 0
	v_mfma_f32_4x4x4_16b_bf16 v[0:3], v[22:23], v[10:11], v[0:3]
.LBB178_16:                             ;   in Loop: Header=BB178_17 Depth=2
	s_or_b64 exec, exec, s[8:9]
	s_addk_i32 s35, 0x400
	s_cmp_ge_u32 s35, s20
	s_cbranch_scc1 .LBB178_29
.LBB178_17:                             ;   Parent Loop BB178_12 Depth=1
                                        ; =>  This Loop Header: Depth=2
                                        ;       Child Loop BB178_22 Depth 3
	s_cmp_eq_u32 s35, 0
	s_cselect_b64 s[8:9], -1, 0
	s_add_i32 s28, s34, s39
	s_cmp_eq_u32 s35, s28
	s_cselect_b64 s[30:31], -1, 0
	s_or_b64 s[30:31], s[8:9], s[30:31]
	s_andn2_b64 vcc, exec, s[30:31]
	s_cbranch_vccz .LBB178_19
; %bb.18:                               ;   in Loop: Header=BB178_17 Depth=2
	s_and_saveexec_b64 s[8:9], s[6:7]
	s_cbranch_execz .LBB178_16
	s_branch .LBB178_26
.LBB178_19:                             ;   in Loop: Header=BB178_17 Depth=2
	s_and_b64 s[8:9], s[8:9], exec
	s_cselect_b32 s34, s34, s28
	s_and_b64 vcc, exec, s[4:5]
	s_barrier
	s_cbranch_vccnz .LBB178_25
; %bb.20:                               ;   in Loop: Header=BB178_17 Depth=2
	v_add_u32_e32 v8, s34, v45
	s_mov_b32 s36, 0
	s_mov_b64 s[28:29], 0
	v_mov_b32_e32 v9, v44
                                        ; implicit-def: $sgpr30_sgpr31
	s_branch .LBB178_22
.LBB178_21:                             ;   in Loop: Header=BB178_22 Depth=3
	s_or_b64 exec, exec, s[8:9]
	s_and_b64 s[8:9], exec, s[30:31]
	s_or_b64 s[28:29], s[8:9], s[28:29]
	s_andn2_b64 exec, exec, s[28:29]
	s_cbranch_execz .LBB178_24
.LBB178_22:                             ;   Parent Loop BB178_12 Depth=1
                                        ;     Parent Loop BB178_17 Depth=2
                                        ; =>    This Inner Loop Header: Depth=3
	v_add_u32_e32 v10, s36, v45
	v_add_u32_e32 v36, s36, v8
	v_cmp_gt_u32_e32 vcc, s22, v36
	v_cmp_gt_u32_e64 s[8:9], s39, v10
	s_and_b64 s[48:49], s[8:9], vcc
	s_or_b64 s[30:31], s[30:31], exec
	s_and_saveexec_b64 s[8:9], s[48:49]
	s_cbranch_execz .LBB178_21
; %bb.23:                               ;   in Loop: Header=BB178_22 Depth=3
	v_lshl_add_u64 v[10:11], v[36:37], 1, s[14:15]
	global_load_dwordx4 v[10:13], v[10:11], off
	s_add_i32 s36, s36, s40
	s_cmp_ge_u32 s36, s39
	s_cselect_b64 s[48:49], -1, 0
	s_andn2_b64 s[30:31], s[30:31], exec
	s_and_b64 s[48:49], s[48:49], exec
	s_or_b64 s[30:31], s[30:31], s[48:49]
	s_waitcnt vmcnt(0)
	ds_write_b128 v9, v[10:13]
	v_add_u32_e32 v9, s45, v9
	s_branch .LBB178_21
.LBB178_24:                             ;   in Loop: Header=BB178_17 Depth=2
	s_or_b64 exec, exec, s[28:29]
.LBB178_25:                             ;   in Loop: Header=BB178_17 Depth=2
	s_waitcnt lgkmcnt(0)
	s_barrier
	s_and_saveexec_b64 s[8:9], s[6:7]
	s_cbranch_execz .LBB178_16
.LBB178_26:                             ;   in Loop: Header=BB178_17 Depth=2
	v_add_u32_e32 v35, s35, v42
	v_min_u32_e32 v36, s41, v35
	v_lshl_add_u64 v[8:9], v[36:37], 1, s[12:13]
	v_add_u32_e32 v46, 0x200, v35
	v_lshl_add_u64 v[10:11], v[8:9], 0, v[38:39]
	v_lshl_add_u64 v[8:9], v[8:9], 0, v[40:41]
	v_min_u32_e32 v36, s41, v46
	global_load_dwordx4 v[24:27], v[10:11], off nt
	global_load_dwordx4 v[12:15], v[8:9], off nt
	v_lshl_add_u64 v[8:9], v[36:37], 1, s[12:13]
	v_lshl_add_u64 v[20:21], v[8:9], 0, v[38:39]
	;; [unrolled: 1-line block ×3, first 2 shown]
	global_load_dwordx4 v[16:19], v[20:21], off nt
	global_load_dwordx4 v[8:11], v[22:23], off nt
	v_cmp_gt_u32_e32 vcc, s20, v35
	v_mov_b32_e32 v30, 0
	v_mov_b32_e32 v31, 0
	;; [unrolled: 1-line block ×8, first 2 shown]
	s_and_saveexec_b64 s[28:29], vcc
	s_cbranch_execz .LBB178_15
; %bb.27:                               ;   in Loop: Header=BB178_17 Depth=2
	v_subrev_u32_e32 v20, s34, v35
	v_lshlrev_b32_e32 v35, 1, v20
	ds_read_b128 v[28:31], v35
	v_cmp_gt_u32_e32 vcc, s20, v46
	v_mov_b32_e32 v23, 0
	v_mov_b32_e32 v22, 0
	;; [unrolled: 1-line block ×4, first 2 shown]
	s_and_saveexec_b64 s[30:31], vcc
	s_cbranch_execz .LBB178_14
; %bb.28:                               ;   in Loop: Header=BB178_17 Depth=2
	ds_read_b128 v[20:23], v35 offset:1024
	s_branch .LBB178_14
.LBB178_29:                             ;   in Loop: Header=BB178_12 Depth=1
	v_cmp_le_u32_e32 vcc, s23, v34
	s_and_saveexec_b64 s[6:7], vcc
	s_xor_b64 s[6:7], exec, s[6:7]
; %bb.30:                               ;   in Loop: Header=BB178_12 Depth=1
	v_add_u32_e32 v34, s43, v34
                                        ; implicit-def: $vgpr3
                                        ; implicit-def: $vgpr7
; %bb.31:                               ;   in Loop: Header=BB178_12 Depth=1
	s_andn2_saveexec_b64 s[8:9], s[6:7]
	s_cbranch_execz .LBB178_11
; %bb.32:                               ;   in Loop: Header=BB178_12 Depth=1
	v_cvt_i32_f32_e32 v5, v5
	v_cvt_i32_f32_e32 v1, v1
	v_cvt_i32_f32_e32 v6, v6
	v_cvt_i32_f32_e32 v2, v2
	v_cvt_i32_f32_e32 v7, v7
	v_cvt_i32_f32_e32 v3, v3
	v_cvt_f32_i32_dpp v5, v5 row_shl:1 row_mask:0xf bank_mask:0xf bound_ctrl:1
	v_cvt_f32_i32_dpp v1, v1 row_shl:1 row_mask:0xf bank_mask:0xf bound_ctrl:1
	;; [unrolled: 1-line block ×6, first 2 shown]
	v_add_f32_e32 v4, v4, v5
	v_add_f32_e32 v0, v0, v1
	;; [unrolled: 1-line block ×6, first 2 shown]
	v_cvt_i32_f32_e32 v5, v4
	v_cvt_i32_f32_e32 v1, v0
	s_nop 0
	v_cvt_f32_i32_dpp v2, v5 row_shl:4 row_mask:0xf bank_mask:0xf bound_ctrl:1
	v_cvt_f32_i32_dpp v1, v1 row_shl:4 row_mask:0xf bank_mask:0xf bound_ctrl:1
	v_add_f32_e32 v2, v4, v2
	v_add_f32_e32 v0, v0, v1
	v_cvt_i32_f32_e32 v3, v2
	v_cvt_i32_f32_e32 v1, v0
	s_nop 0
	v_cvt_f32_i32_dpp v3, v3 row_shl:8 row_mask:0xf bank_mask:0xf bound_ctrl:1
	v_cvt_f32_i32_dpp v1, v1 row_shl:8 row_mask:0xf bank_mask:0xf bound_ctrl:1
	v_add_f32_e32 v2, v2, v3
	v_add_f32_e32 v0, v0, v1
	v_cvt_i32_f32_e32 v2, v2
	v_cvt_i32_f32_e32 v0, v0
	s_nop 0
	v_cvt_f32_i32_dpp v1, v2 row_shr:15 row_mask:0xf bank_mask:0xf bound_ctrl:1
	v_cvt_f32_i32_dpp v0, v0 row_shr:15 row_mask:0xf bank_mask:0xf bound_ctrl:1
	v_cvt_i32_f32_e32 v2, v1
	v_cvt_i32_f32_e32 v3, v0
	s_nop 0
	v_cvt_f32_i32_dpp v2, v2 row_bcast:15 row_mask:0xf bank_mask:0xf bound_ctrl:1
	v_cvt_f32_i32_dpp v4, v3 row_bcast:15 row_mask:0xf bank_mask:0xf bound_ctrl:1
	v_add_f32_e32 v3, v1, v2
	v_add_f32_e32 v0, v0, v4
	v_cvt_i32_f32_e32 v1, v3
	v_cvt_i32_f32_e32 v2, v0
	s_nop 0
	v_mov_b32_dpp v4, v1 row_bcast:31 row_mask:0xf bank_mask:0xf bound_ctrl:1
	v_mov_b32_dpp v1, v2 row_bcast:31 row_mask:0xf bank_mask:0xf bound_ctrl:1
	s_and_saveexec_b64 s[6:7], s[0:1]
	s_cbranch_execz .LBB178_47
; %bb.33:                               ;   in Loop: Header=BB178_12 Depth=1
	s_andn2_b64 vcc, exec, s[24:25]
	v_mov_b32_e32 v2, 0
	v_mov_b32_e32 v5, 0
	s_cbranch_vccnz .LBB178_35
; %bb.34:                               ;   in Loop: Header=BB178_12 Depth=1
	v_mul_hi_u32 v2, v34, v43
	v_mul_lo_u32 v2, v2, s38
	v_sub_u32_e32 v2, v34, v2
	v_subrev_u32_e32 v5, s38, v2
	v_cmp_le_u32_e32 vcc, s38, v2
	s_nop 1
	v_cndmask_b32_e32 v2, v2, v5, vcc
	v_subrev_u32_e32 v5, s38, v2
	v_cmp_le_u32_e32 vcc, s38, v2
	s_nop 1
	v_cndmask_b32_e32 v36, v2, v5, vcc
	v_add_u32_e32 v2, 1, v34
	v_mul_hi_u32 v5, v2, v43
	v_mul_lo_u32 v5, v5, s38
	v_sub_u32_e32 v2, v2, v5
	v_subrev_u32_e32 v5, s38, v2
	v_cmp_le_u32_e32 vcc, s38, v2
	v_lshl_add_u64 v[6:7], v[36:37], 1, s[16:17]
	s_nop 0
	v_cndmask_b32_e32 v2, v2, v5, vcc
	v_subrev_u32_e32 v5, s38, v2
	v_cmp_le_u32_e32 vcc, s38, v2
	s_nop 1
	v_cndmask_b32_e32 v36, v2, v5, vcc
	v_lshl_add_u64 v[8:9], v[36:37], 1, s[16:17]
	global_load_ushort v5, v[6:7], off
	global_load_ushort v2, v[8:9], off
.LBB178_35:                             ;   in Loop: Header=BB178_12 Depth=1
	v_cmp_ne_u32_e32 vcc, 0, v32
	s_and_saveexec_b64 s[28:29], vcc
	s_cbranch_execz .LBB178_41
; %bb.36:                               ;   in Loop: Header=BB178_12 Depth=1
	v_cvt_f32_i32_e32 v4, v4
	v_add_f32_e32 v3, v3, v4
	s_waitcnt vmcnt(1)
	v_lshlrev_b32_e32 v4, 16, v5
	v_add_f32_e32 v4, v3, v4
	v_and_b32_e32 v3, 0x7f800000, v4
	v_cmp_ne_u32_e32 vcc, s46, v3
                                        ; implicit-def: $vgpr3
	s_and_saveexec_b64 s[30:31], vcc
	s_xor_b64 s[30:31], exec, s[30:31]
; %bb.37:                               ;   in Loop: Header=BB178_12 Depth=1
	v_bfe_u32 v3, v4, 16, 1
	v_add3_u32 v3, v4, v3, s47
                                        ; implicit-def: $vgpr4
; %bb.38:                               ;   in Loop: Header=BB178_12 Depth=1
	s_andn2_saveexec_b64 s[30:31], s[30:31]
; %bb.39:                               ;   in Loop: Header=BB178_12 Depth=1
	v_or_b32_e32 v3, 0x10000, v4
	v_cmp_eq_u32_sdwa vcc, v4, v37 src0_sel:WORD_0 src1_sel:DWORD
	s_nop 1
	v_cndmask_b32_e32 v3, v3, v4, vcc
; %bb.40:                               ;   in Loop: Header=BB178_12 Depth=1
	s_or_b64 exec, exec, s[30:31]
	v_mov_b32_e32 v35, v37
	v_lshl_add_u64 v[4:5], v[34:35], 1, s[18:19]
	global_store_short_d16_hi v[4:5], v3, off
.LBB178_41:                             ;   in Loop: Header=BB178_12 Depth=1
	s_or_b64 exec, exec, s[28:29]
	v_cmp_ne_u32_e32 vcc, 0, v33
	s_and_b64 exec, exec, vcc
	s_cbranch_execz .LBB178_47
; %bb.42:                               ;   in Loop: Header=BB178_12 Depth=1
	v_cvt_f32_i32_e32 v1, v1
	v_add_f32_e32 v0, v0, v1
	s_waitcnt vmcnt(0)
	v_lshlrev_b32_e32 v1, 16, v2
	v_add_f32_e32 v1, v0, v1
	v_and_b32_e32 v0, 0x7f800000, v1
	v_cmp_ne_u32_e32 vcc, s46, v0
                                        ; implicit-def: $vgpr0
	s_and_saveexec_b64 s[28:29], vcc
	s_xor_b64 s[28:29], exec, s[28:29]
; %bb.43:                               ;   in Loop: Header=BB178_12 Depth=1
	v_bfe_u32 v0, v1, 16, 1
	v_add3_u32 v0, v1, v0, s47
                                        ; implicit-def: $vgpr1
; %bb.44:                               ;   in Loop: Header=BB178_12 Depth=1
	s_andn2_saveexec_b64 s[28:29], s[28:29]
; %bb.45:                               ;   in Loop: Header=BB178_12 Depth=1
	v_or_b32_e32 v0, 0x10000, v1
	v_cmp_eq_u32_sdwa vcc, v1, v37 src0_sel:WORD_0 src1_sel:DWORD
	s_nop 1
	v_cndmask_b32_e32 v0, v0, v1, vcc
; %bb.46:                               ;   in Loop: Header=BB178_12 Depth=1
	s_or_b64 exec, exec, s[28:29]
	v_mov_b32_e32 v35, v37
	v_lshl_add_u64 v[2:3], v[34:35], 1, s[26:27]
	global_store_short_d16_hi v[2:3], v0, off
.LBB178_47:                             ;   in Loop: Header=BB178_12 Depth=1
	s_or_b64 exec, exec, s[6:7]
	v_add_u32_e32 v34, s43, v34
	v_add_u32_e32 v0, 2, v34
	v_cmp_gt_u32_e32 vcc, s23, v34
	v_cmp_le_u32_e64 s[6:7], s23, v0
	s_and_b64 s[6:7], vcc, s[6:7]
	s_and_saveexec_b64 s[28:29], s[6:7]
	s_cbranch_execz .LBB178_10
; %bb.48:                               ;   in Loop: Header=BB178_12 Depth=1
	v_cmp_ne_u32_e32 vcc, s44, v34
	s_and_saveexec_b64 s[30:31], vcc
	s_cbranch_execz .LBB178_9
; %bb.49:                               ;   in Loop: Header=BB178_12 Depth=1
	v_subrev_u32_e32 v0, s44, v34
	v_cmp_lt_u32_e32 vcc, 1, v0
	s_mov_b64 s[34:35], 0
	s_mov_b64 s[36:37], 0
	v_cndmask_b32_e32 v0, 1, v0, vcc
.LBB178_50:                             ;   Parent Loop BB178_12 Depth=1
                                        ; =>  This Inner Loop Header: Depth=2
	s_cmp_lg_u32 s36, 1
	s_cselect_b64 vcc, -1, 0
	s_cmp_lg_u32 s36, 0
	v_cndmask_b32_e32 v33, 0, v33, vcc
	s_cselect_b64 vcc, -1, 0
	s_add_u32 s36, s36, 1
	s_addc_u32 s37, s37, 0
	v_cmp_eq_u32_e64 s[6:7], s36, v0
	s_or_b64 s[34:35], s[6:7], s[34:35]
	v_cndmask_b32_e32 v32, 0, v32, vcc
	s_andn2_b64 exec, exec, s[34:35]
	s_cbranch_execnz .LBB178_50
; %bb.51:                               ;   in Loop: Header=BB178_12 Depth=1
	s_or_b64 exec, exec, s[34:35]
	s_branch .LBB178_9
.LBB178_52:
	s_endpgm
	.section	.rodata,"a",@progbits
	.p2align	6, 0x0
	.amdhsa_kernel _Z16wvSplitK_hf_big_I14__hip_bfloat16Li64ELi2ELi16ELi8ELi2ELi1EEviiiiiiPKT_S3_S3_PS1_ii
		.amdhsa_group_segment_fixed_size 65536
		.amdhsa_private_segment_fixed_size 0
		.amdhsa_kernarg_size 64
		.amdhsa_user_sgpr_count 2
		.amdhsa_user_sgpr_dispatch_ptr 0
		.amdhsa_user_sgpr_queue_ptr 0
		.amdhsa_user_sgpr_kernarg_segment_ptr 1
		.amdhsa_user_sgpr_dispatch_id 0
		.amdhsa_user_sgpr_kernarg_preload_length 0
		.amdhsa_user_sgpr_kernarg_preload_offset 0
		.amdhsa_user_sgpr_private_segment_size 0
		.amdhsa_uses_dynamic_stack 0
		.amdhsa_enable_private_segment 0
		.amdhsa_system_sgpr_workgroup_id_x 1
		.amdhsa_system_sgpr_workgroup_id_y 0
		.amdhsa_system_sgpr_workgroup_id_z 0
		.amdhsa_system_sgpr_workgroup_info 0
		.amdhsa_system_vgpr_workitem_id 1
		.amdhsa_next_free_vgpr 47
		.amdhsa_next_free_sgpr 50
		.amdhsa_accum_offset 48
		.amdhsa_reserve_vcc 1
		.amdhsa_float_round_mode_32 0
		.amdhsa_float_round_mode_16_64 0
		.amdhsa_float_denorm_mode_32 3
		.amdhsa_float_denorm_mode_16_64 3
		.amdhsa_dx10_clamp 1
		.amdhsa_ieee_mode 1
		.amdhsa_fp16_overflow 0
		.amdhsa_tg_split 0
		.amdhsa_exception_fp_ieee_invalid_op 0
		.amdhsa_exception_fp_denorm_src 0
		.amdhsa_exception_fp_ieee_div_zero 0
		.amdhsa_exception_fp_ieee_overflow 0
		.amdhsa_exception_fp_ieee_underflow 0
		.amdhsa_exception_fp_ieee_inexact 0
		.amdhsa_exception_int_div_zero 0
	.end_amdhsa_kernel
	.section	.text._Z16wvSplitK_hf_big_I14__hip_bfloat16Li64ELi2ELi16ELi8ELi2ELi1EEviiiiiiPKT_S3_S3_PS1_ii,"axG",@progbits,_Z16wvSplitK_hf_big_I14__hip_bfloat16Li64ELi2ELi16ELi8ELi2ELi1EEviiiiiiPKT_S3_S3_PS1_ii,comdat
.Lfunc_end178:
	.size	_Z16wvSplitK_hf_big_I14__hip_bfloat16Li64ELi2ELi16ELi8ELi2ELi1EEviiiiiiPKT_S3_S3_PS1_ii, .Lfunc_end178-_Z16wvSplitK_hf_big_I14__hip_bfloat16Li64ELi2ELi16ELi8ELi2ELi1EEviiiiiiPKT_S3_S3_PS1_ii
                                        ; -- End function
	.section	.AMDGPU.csdata,"",@progbits
; Kernel info:
; codeLenInByte = 2100
; NumSgprs: 56
; NumVgprs: 47
; NumAgprs: 0
; TotalNumVgprs: 47
; ScratchSize: 0
; MemoryBound: 0
; FloatMode: 240
; IeeeMode: 1
; LDSByteSize: 65536 bytes/workgroup (compile time only)
; SGPRBlocks: 6
; VGPRBlocks: 5
; NumSGPRsForWavesPerEU: 56
; NumVGPRsForWavesPerEU: 47
; AccumOffset: 48
; Occupancy: 4
; WaveLimiterHint : 0
; COMPUTE_PGM_RSRC2:SCRATCH_EN: 0
; COMPUTE_PGM_RSRC2:USER_SGPR: 2
; COMPUTE_PGM_RSRC2:TRAP_HANDLER: 0
; COMPUTE_PGM_RSRC2:TGID_X_EN: 1
; COMPUTE_PGM_RSRC2:TGID_Y_EN: 0
; COMPUTE_PGM_RSRC2:TGID_Z_EN: 0
; COMPUTE_PGM_RSRC2:TIDIG_COMP_CNT: 1
; COMPUTE_PGM_RSRC3_GFX90A:ACCUM_OFFSET: 11
; COMPUTE_PGM_RSRC3_GFX90A:TG_SPLIT: 0
	.section	.text._Z16wvSplitK_hf_sml_I14__hip_bfloat16Li64ELi3ELi16ELi8ELi2ELi1EEviiiiiiPKT_S3_S3_PS1_ii,"axG",@progbits,_Z16wvSplitK_hf_sml_I14__hip_bfloat16Li64ELi3ELi16ELi8ELi2ELi1EEviiiiiiPKT_S3_S3_PS1_ii,comdat
	.protected	_Z16wvSplitK_hf_sml_I14__hip_bfloat16Li64ELi3ELi16ELi8ELi2ELi1EEviiiiiiPKT_S3_S3_PS1_ii ; -- Begin function _Z16wvSplitK_hf_sml_I14__hip_bfloat16Li64ELi3ELi16ELi8ELi2ELi1EEviiiiiiPKT_S3_S3_PS1_ii
	.globl	_Z16wvSplitK_hf_sml_I14__hip_bfloat16Li64ELi3ELi16ELi8ELi2ELi1EEviiiiiiPKT_S3_S3_PS1_ii
	.p2align	8
	.type	_Z16wvSplitK_hf_sml_I14__hip_bfloat16Li64ELi3ELi16ELi8ELi2ELi1EEviiiiiiPKT_S3_S3_PS1_ii,@function
_Z16wvSplitK_hf_sml_I14__hip_bfloat16Li64ELi3ELi16ELi8ELi2ELi1EEviiiiiiPKT_S3_S3_PS1_ii: ; @_Z16wvSplitK_hf_sml_I14__hip_bfloat16Li64ELi3ELi16ELi8ELi2ELi1EEviiiiiiPKT_S3_S3_PS1_ii
; %bb.0:
	s_load_dwordx4 s[4:7], s[0:1], 0x0
	s_load_dword s22, s[0:1], 0x10
	s_load_dwordx2 s[8:9], s[0:1], 0x28
	v_and_b32_e32 v2, 0x3ff, v0
	v_bfe_u32 v3, v0, 10, 10
	v_lshlrev_b32_e32 v58, 3, v2
	v_lshl_add_u32 v4, v3, 9, v58
	s_waitcnt lgkmcnt(0)
	s_min_u32 s3, s6, 0x8000
	v_cmp_gt_u32_e32 vcc, s3, v4
	s_and_saveexec_b64 s[10:11], vcc
	s_cbranch_execz .LBB179_3
; %bb.1:
	s_load_dwordx2 s[12:13], s[0:1], 0x20
	v_mov_b32_e32 v7, 0
	v_lshlrev_b32_e32 v6, 10, v3
	v_lshlrev_b32_e32 v8, 4, v2
	v_mov_b32_e32 v9, v7
	v_lshl_add_u64 v[0:1], v[6:7], 0, v[8:9]
	s_waitcnt lgkmcnt(0)
	v_lshl_add_u64 v[0:1], s[12:13], 0, v[0:1]
	v_add_u32_e32 v5, v6, v8
	s_mov_b64 s[12:13], 0
	s_mov_b64 s[14:15], 0x4000
.LBB179_2:                              ; =>This Inner Loop Header: Depth=1
	global_load_dwordx4 v[6:9], v[0:1], off
	v_add_u32_e32 v4, 0x2000, v4
	v_cmp_le_u32_e32 vcc, s3, v4
	v_lshl_add_u64 v[0:1], v[0:1], 0, s[14:15]
	s_or_b64 s[12:13], vcc, s[12:13]
	s_waitcnt vmcnt(0)
	ds_write_b128 v5, v[6:9]
	v_add_u32_e32 v5, 0x4000, v5
	s_andn2_b64 exec, exec, s[12:13]
	s_cbranch_execnz .LBB179_2
.LBB179_3:
	s_or_b64 exec, exec, s[10:11]
	s_load_dwordx2 s[14:15], s[0:1], 0x38
	s_waitcnt lgkmcnt(0)
	s_barrier
	v_cmp_gt_u32_e32 vcc, s14, v3
	s_and_saveexec_b64 s[10:11], vcc
	s_cbranch_execz .LBB179_30
; %bb.4:
	s_mul_i32 s2, s2, s14
	v_add_u32_e32 v0, s2, v3
	v_lshl_add_u32 v44, v0, 1, v0
	v_cmp_gt_u32_e32 vcc, s7, v44
	s_and_b64 exec, exec, vcc
	s_cbranch_execz .LBB179_30
; %bb.5:
	v_cvt_f32_u32_e32 v0, s22
	s_cmp_lg_u32 s4, 0
	s_cselect_b64 s[2:3], -1, 0
	s_add_i32 s6, s4, -8
	v_rcp_iflag_f32_e32 v0, v0
	s_add_i32 s23, s7, -1
	s_cmp_lg_u64 s[8:9], 0
	s_load_dwordx2 s[10:11], s[0:1], 0x18
	s_load_dwordx2 s[12:13], s[0:1], 0x30
	v_mul_f32_e32 v0, 0x4f7ffffe, v0
	v_cvt_u32_f32_e32 v0, v0
	s_cselect_b64 s[16:17], -1, 0
	s_sub_i32 s18, 0, s22
	s_mul_i32 s24, s14, s15
	v_mul_lo_u32 v1, s18, v0
	v_mul_hi_u32 v1, v0, v1
	v_add_u32_e32 v59, v0, v1
	v_cndmask_b32_e64 v0, 0, 1, s[2:3]
	v_cmp_eq_u32_e64 s[0:1], 63, v2
	s_mov_b64 s[14:15], 0
	s_mul_i32 s24, s24, 3
	v_mov_b32_e32 v47, 0
	v_lshlrev_b32_e32 v60, 4, v2
	v_cmp_ne_u32_e64 s[2:3], 1, v0
	s_mov_b32 s25, 0x7f800000
	s_movk_i32 s26, 0x7fff
	s_branch .LBB179_8
.LBB179_6:                              ;   in Loop: Header=BB179_8 Depth=1
	s_or_b64 exec, exec, s[20:21]
	v_mov_b32_e32 v49, v47
	v_lshl_add_u64 v[2:3], v[48:49], 1, s[12:13]
	global_store_short_d16_hi v[2:3], v0, off
.LBB179_7:                              ;   in Loop: Header=BB179_8 Depth=1
	s_or_b64 exec, exec, s[18:19]
	v_add_u32_e32 v44, s24, v44
	v_cmp_le_u32_e32 vcc, s7, v44
	s_or_b64 s[14:15], vcc, s[14:15]
	s_andn2_b64 exec, exec, s[14:15]
	s_cbranch_execz .LBB179_30
.LBB179_8:                              ; =>This Loop Header: Depth=1
                                        ;     Child Loop BB179_12 Depth 2
	s_and_b64 vcc, exec, s[2:3]
	v_add_u32_e32 v50, 1, v44
	v_add_u32_e32 v48, 2, v44
	v_mov_b32_e32 v3, v47
	v_mov_b32_e32 v2, v47
	;; [unrolled: 1-line block ×12, first 2 shown]
	s_cbranch_vccnz .LBB179_15
; %bb.9:                                ;   in Loop: Header=BB179_8 Depth=1
	v_min_u32_e32 v0, s23, v44
	v_mul_lo_u32 v46, v0, s5
	v_min_u32_e32 v0, s23, v50
	v_min_u32_e32 v2, s23, v48
	v_mul_lo_u32 v0, v0, s5
	v_mov_b32_e32 v1, v47
	v_mul_lo_u32 v2, v2, s5
	v_mov_b32_e32 v3, v47
	v_mov_b32_e32 v8, 0
	s_mov_b32 s27, 0
	v_lshlrev_b64 v[52:53], 1, v[46:47]
	v_lshlrev_b64 v[54:55], 1, v[0:1]
	v_lshlrev_b64 v[56:57], 1, v[2:3]
	v_mov_b32_e32 v45, v60
	v_mov_b32_e32 v9, v8
	;; [unrolled: 1-line block ×12, first 2 shown]
	s_branch .LBB179_12
.LBB179_10:                             ;   in Loop: Header=BB179_12 Depth=2
	s_or_b64 exec, exec, s[20:21]
.LBB179_11:                             ;   in Loop: Header=BB179_12 Depth=2
	s_or_b64 exec, exec, s[18:19]
	s_waitcnt vmcnt(5) lgkmcnt(0)
	v_mfma_f32_4x4x4_16b_bf16 v[8:11], v[40:41], v[36:37], v[8:11]
	s_addk_i32 s27, 0x400
	s_waitcnt vmcnt(4)
	v_mfma_f32_4x4x4_16b_bf16 v[4:7], v[40:41], v[28:29], v[4:7]
	v_add_u32_e32 v45, 0x800, v45
	s_waitcnt vmcnt(3)
	v_mfma_f32_4x4x4_16b_bf16 v[0:3], v[40:41], v[32:33], v[0:3]
	s_cmp_ge_u32 s27, s4
	v_mfma_f32_4x4x4_16b_bf16 v[8:11], v[42:43], v[38:39], v[8:11]
	v_mfma_f32_4x4x4_16b_bf16 v[4:7], v[42:43], v[30:31], v[4:7]
	;; [unrolled: 1-line block ×3, first 2 shown]
	s_waitcnt vmcnt(2)
	v_mfma_f32_4x4x4_16b_bf16 v[8:11], v[16:17], v[24:25], v[8:11]
	s_waitcnt vmcnt(1)
	v_mfma_f32_4x4x4_16b_bf16 v[4:7], v[16:17], v[20:21], v[4:7]
	;; [unrolled: 2-line block ×3, first 2 shown]
	v_mfma_f32_4x4x4_16b_bf16 v[8:11], v[18:19], v[26:27], v[8:11]
	v_mfma_f32_4x4x4_16b_bf16 v[4:7], v[18:19], v[22:23], v[4:7]
	;; [unrolled: 1-line block ×3, first 2 shown]
	s_cbranch_scc1 .LBB179_15
.LBB179_12:                             ;   Parent Loop BB179_8 Depth=1
                                        ; =>  This Inner Loop Header: Depth=2
	v_add_u32_e32 v40, s27, v58
	v_min_u32_e32 v46, s6, v40
	s_waitcnt lgkmcnt(0)
	v_lshl_add_u64 v[12:13], v[46:47], 1, s[10:11]
	v_add_u32_e32 v49, 0x200, v40
	v_lshl_add_u64 v[14:15], v[12:13], 0, v[52:53]
	v_min_u32_e32 v46, s6, v49
	v_lshl_add_u64 v[16:17], v[12:13], 0, v[54:55]
	global_load_dwordx4 v[36:39], v[14:15], off nt
	global_load_dwordx4 v[28:31], v[16:17], off nt
	v_lshl_add_u64 v[14:15], v[46:47], 1, s[10:11]
	v_lshl_add_u64 v[12:13], v[12:13], 0, v[56:57]
	v_lshl_add_u64 v[16:17], v[14:15], 0, v[52:53]
	global_load_dwordx4 v[32:35], v[12:13], off nt
	global_load_dwordx4 v[24:27], v[16:17], off nt
	v_lshl_add_u64 v[16:17], v[14:15], 0, v[54:55]
	v_lshl_add_u64 v[18:19], v[14:15], 0, v[56:57]
	global_load_dwordx4 v[20:23], v[16:17], off nt
	global_load_dwordx4 v[12:15], v[18:19], off nt
	v_cmp_gt_u32_e32 vcc, s4, v40
	v_mov_b32_e32 v40, 0
	v_mov_b32_e32 v41, 0
	;; [unrolled: 1-line block ×8, first 2 shown]
	s_and_saveexec_b64 s[18:19], vcc
	s_cbranch_execz .LBB179_11
; %bb.13:                               ;   in Loop: Header=BB179_12 Depth=2
	ds_read_b128 v[40:43], v45
	v_cmp_gt_u32_e32 vcc, s4, v49
	v_mov_b32_e32 v19, 0
	v_mov_b32_e32 v18, 0
	;; [unrolled: 1-line block ×4, first 2 shown]
	s_and_saveexec_b64 s[20:21], vcc
	s_cbranch_execz .LBB179_10
; %bb.14:                               ;   in Loop: Header=BB179_12 Depth=2
	ds_read_b128 v[16:19], v45 offset:1024
	s_branch .LBB179_10
.LBB179_15:                             ;   in Loop: Header=BB179_8 Depth=1
	; sched_barrier mask(0x00000000)
	s_nop 1
	v_cvt_i32_f32_e32 v9, v9
	v_cvt_i32_f32_e32 v10, v10
	;; [unrolled: 1-line block ×4, first 2 shown]
	v_cvt_f32_i32_dpp v9, v9 row_shl:1 row_mask:0xf bank_mask:0xf bound_ctrl:1
	v_cvt_i32_f32_e32 v1, v1
	v_cvt_f32_i32_dpp v10, v10 row_shl:2 row_mask:0xf bank_mask:0xf bound_ctrl:1
	v_cvt_i32_f32_e32 v6, v6
	v_cvt_i32_f32_e32 v2, v2
	v_cvt_f32_i32_dpp v11, v11 row_shl:3 row_mask:0xf bank_mask:0xf bound_ctrl:1
	v_cvt_i32_f32_e32 v7, v7
	v_cvt_i32_f32_e32 v3, v3
	v_add_f32_e32 v8, v8, v9
	v_cvt_f32_i32_dpp v5, v5 row_shl:1 row_mask:0xf bank_mask:0xf bound_ctrl:1
	v_cvt_f32_i32_dpp v1, v1 row_shl:1 row_mask:0xf bank_mask:0xf bound_ctrl:1
	v_add_f32_e32 v8, v8, v10
	v_cvt_f32_i32_dpp v6, v6 row_shl:2 row_mask:0xf bank_mask:0xf bound_ctrl:1
	v_cvt_f32_i32_dpp v2, v2 row_shl:2 row_mask:0xf bank_mask:0xf bound_ctrl:1
	;; [unrolled: 3-line block ×3, first 2 shown]
	v_cvt_i32_f32_e32 v9, v8
	v_add_f32_e32 v4, v4, v5
	v_add_f32_e32 v0, v0, v1
	v_add_f32_e32 v4, v4, v6
	v_add_f32_e32 v0, v0, v2
	v_add_f32_e32 v4, v4, v7
	v_add_f32_e32 v0, v0, v3
	v_cvt_f32_i32_dpp v9, v9 row_shl:4 row_mask:0xf bank_mask:0xf bound_ctrl:1
	v_cvt_i32_f32_e32 v7, v4
	v_cvt_i32_f32_e32 v1, v0
	v_add_f32_e32 v5, v8, v9
	v_cvt_f32_i32_dpp v3, v7 row_shl:4 row_mask:0xf bank_mask:0xf bound_ctrl:1
	v_cvt_f32_i32_dpp v1, v1 row_shl:4 row_mask:0xf bank_mask:0xf bound_ctrl:1
	v_cvt_i32_f32_e32 v6, v5
	v_add_f32_e32 v3, v4, v3
	v_add_f32_e32 v0, v0, v1
	v_cvt_f32_i32_dpp v2, v6 row_shl:8 row_mask:0xf bank_mask:0xf bound_ctrl:1
	v_cvt_i32_f32_e32 v4, v3
	v_cvt_i32_f32_e32 v1, v0
	v_add_f32_e32 v2, v5, v2
	v_cvt_f32_i32_dpp v4, v4 row_shl:8 row_mask:0xf bank_mask:0xf bound_ctrl:1
	v_cvt_f32_i32_dpp v1, v1 row_shl:8 row_mask:0xf bank_mask:0xf bound_ctrl:1
	v_cvt_i32_f32_e32 v2, v2
	v_add_f32_e32 v3, v3, v4
	v_add_f32_e32 v0, v0, v1
	v_cvt_f32_i32_dpp v2, v2 row_shr:15 row_mask:0xf bank_mask:0xf bound_ctrl:1
	v_cvt_i32_f32_e32 v3, v3
	v_cvt_i32_f32_e32 v0, v0
	s_nop 0
	v_cvt_f32_i32_dpp v1, v3 row_shr:15 row_mask:0xf bank_mask:0xf bound_ctrl:1
	v_cvt_i32_f32_e32 v3, v2
	v_cvt_f32_i32_dpp v0, v0 row_shr:15 row_mask:0xf bank_mask:0xf bound_ctrl:1
	v_cvt_i32_f32_e32 v4, v1
	v_cvt_f32_i32_dpp v3, v3 row_bcast:15 row_mask:0xf bank_mask:0xf bound_ctrl:1
	v_cvt_i32_f32_e32 v6, v0
	v_cvt_f32_i32_dpp v4, v4 row_bcast:15 row_mask:0xf bank_mask:0xf bound_ctrl:1
	v_add_f32_e32 v5, v2, v3
	v_cvt_f32_i32_dpp v3, v6 row_bcast:15 row_mask:0xf bank_mask:0xf bound_ctrl:1
	v_cvt_i32_f32_e32 v6, v5
	v_add_f32_e32 v2, v1, v4
	v_cvt_i32_f32_e32 v1, v2
	v_add_f32_e32 v0, v0, v3
	v_cvt_i32_f32_e32 v4, v0
	v_mov_b32_dpp v6, v6 row_bcast:31 row_mask:0xf bank_mask:0xf bound_ctrl:1
	v_mov_b32_dpp v3, v1 row_bcast:31 row_mask:0xf bank_mask:0xf bound_ctrl:1
	;; [unrolled: 1-line block ×3, first 2 shown]
	s_and_saveexec_b64 s[18:19], s[0:1]
	s_cbranch_execz .LBB179_7
; %bb.16:                               ;   in Loop: Header=BB179_8 Depth=1
	s_andn2_b64 vcc, exec, s[16:17]
	v_mov_b32_e32 v8, 0
	v_mov_b32_e32 v7, 0
	;; [unrolled: 1-line block ×3, first 2 shown]
	s_cbranch_vccnz .LBB179_18
; %bb.17:                               ;   in Loop: Header=BB179_8 Depth=1
	v_mul_hi_u32 v4, v44, v59
	v_mul_lo_u32 v4, v4, s22
	v_sub_u32_e32 v4, v44, v4
	v_subrev_u32_e32 v7, s22, v4
	v_cmp_le_u32_e32 vcc, s22, v4
	s_nop 1
	v_cndmask_b32_e32 v4, v4, v7, vcc
	v_subrev_u32_e32 v7, s22, v4
	v_cmp_le_u32_e32 vcc, s22, v4
	s_nop 1
	v_cndmask_b32_e32 v46, v4, v7, vcc
	v_mul_hi_u32 v4, v50, v59
	v_mul_lo_u32 v4, v4, s22
	v_sub_u32_e32 v4, v50, v4
	v_subrev_u32_e32 v7, s22, v4
	v_cmp_le_u32_e32 vcc, s22, v4
	v_lshl_add_u64 v[10:11], v[46:47], 1, s[8:9]
	s_nop 0
	v_cndmask_b32_e32 v4, v4, v7, vcc
	v_subrev_u32_e32 v7, s22, v4
	v_cmp_le_u32_e32 vcc, s22, v4
	s_nop 1
	v_cndmask_b32_e32 v46, v4, v7, vcc
	v_mul_hi_u32 v4, v48, v59
	v_mul_lo_u32 v4, v4, s22
	v_sub_u32_e32 v4, v48, v4
	v_subrev_u32_e32 v7, s22, v4
	v_cmp_le_u32_e32 vcc, s22, v4
	v_lshl_add_u64 v[12:13], v[46:47], 1, s[8:9]
	s_nop 0
	v_cndmask_b32_e32 v4, v4, v7, vcc
	v_subrev_u32_e32 v7, s22, v4
	v_cmp_le_u32_e32 vcc, s22, v4
	s_nop 1
	v_cndmask_b32_e32 v46, v4, v7, vcc
	v_lshl_add_u64 v[14:15], v[46:47], 1, s[8:9]
	global_load_ushort v8, v[10:11], off
	global_load_ushort v7, v[12:13], off
	;; [unrolled: 1-line block ×3, first 2 shown]
.LBB179_18:                             ;   in Loop: Header=BB179_8 Depth=1
	v_cvt_f32_i32_e32 v6, v6
	v_add_f32_e32 v5, v5, v6
	s_waitcnt vmcnt(2)
	v_lshlrev_b32_e32 v6, 16, v8
	v_add_f32_e32 v6, v5, v6
	v_and_b32_e32 v5, 0x7f800000, v6
	v_cmp_ne_u32_e32 vcc, s25, v5
                                        ; implicit-def: $vgpr5
	s_and_saveexec_b64 s[20:21], vcc
	s_xor_b64 s[20:21], exec, s[20:21]
; %bb.19:                               ;   in Loop: Header=BB179_8 Depth=1
	v_bfe_u32 v5, v6, 16, 1
	v_add3_u32 v5, v6, v5, s26
                                        ; implicit-def: $vgpr6
; %bb.20:                               ;   in Loop: Header=BB179_8 Depth=1
	s_andn2_saveexec_b64 s[20:21], s[20:21]
; %bb.21:                               ;   in Loop: Header=BB179_8 Depth=1
	v_or_b32_e32 v5, 0x10000, v6
	v_cmp_eq_u32_sdwa vcc, v6, v47 src0_sel:WORD_0 src1_sel:DWORD
	s_nop 1
	v_cndmask_b32_e32 v5, v5, v6, vcc
; %bb.22:                               ;   in Loop: Header=BB179_8 Depth=1
	s_or_b64 exec, exec, s[20:21]
	v_cvt_f32_i32_e32 v3, v3
	v_mov_b32_e32 v45, v47
	s_waitcnt lgkmcnt(0)
	v_lshl_add_u64 v[8:9], v[44:45], 1, s[12:13]
	global_store_short_d16_hi v[8:9], v5, off
	v_add_f32_e32 v2, v2, v3
	s_waitcnt vmcnt(2)
	v_lshlrev_b32_e32 v3, 16, v7
	v_add_f32_e32 v3, v2, v3
	v_and_b32_e32 v2, 0x7f800000, v3
	v_cmp_ne_u32_e32 vcc, s25, v2
                                        ; implicit-def: $vgpr2
	s_and_saveexec_b64 s[20:21], vcc
	s_xor_b64 s[20:21], exec, s[20:21]
; %bb.23:                               ;   in Loop: Header=BB179_8 Depth=1
	v_bfe_u32 v2, v3, 16, 1
	v_add3_u32 v2, v3, v2, s26
                                        ; implicit-def: $vgpr3
; %bb.24:                               ;   in Loop: Header=BB179_8 Depth=1
	s_andn2_saveexec_b64 s[20:21], s[20:21]
; %bb.25:                               ;   in Loop: Header=BB179_8 Depth=1
	v_or_b32_e32 v2, 0x10000, v3
	v_cmp_eq_u32_sdwa vcc, v3, v47 src0_sel:WORD_0 src1_sel:DWORD
	s_nop 1
	v_cndmask_b32_e32 v2, v2, v3, vcc
; %bb.26:                               ;   in Loop: Header=BB179_8 Depth=1
	s_or_b64 exec, exec, s[20:21]
	v_cvt_f32_i32_e32 v1, v1
	v_mov_b32_e32 v51, v47
	v_lshl_add_u64 v[6:7], v[50:51], 1, s[12:13]
	global_store_short_d16_hi v[6:7], v2, off
	v_add_f32_e32 v0, v0, v1
	s_waitcnt vmcnt(2)
	v_lshlrev_b32_e32 v1, 16, v4
	v_add_f32_e32 v1, v0, v1
	v_and_b32_e32 v0, 0x7f800000, v1
	v_cmp_ne_u32_e32 vcc, s25, v0
                                        ; implicit-def: $vgpr0
	s_and_saveexec_b64 s[20:21], vcc
	s_xor_b64 s[20:21], exec, s[20:21]
; %bb.27:                               ;   in Loop: Header=BB179_8 Depth=1
	v_bfe_u32 v0, v1, 16, 1
	v_add3_u32 v0, v1, v0, s26
                                        ; implicit-def: $vgpr1
; %bb.28:                               ;   in Loop: Header=BB179_8 Depth=1
	s_andn2_saveexec_b64 s[20:21], s[20:21]
	s_cbranch_execz .LBB179_6
; %bb.29:                               ;   in Loop: Header=BB179_8 Depth=1
	v_or_b32_e32 v0, 0x10000, v1
	v_cmp_eq_u32_sdwa vcc, v1, v47 src0_sel:WORD_0 src1_sel:DWORD
	s_nop 1
	v_cndmask_b32_e32 v0, v0, v1, vcc
	s_branch .LBB179_6
.LBB179_30:
	s_endpgm
	.section	.rodata,"a",@progbits
	.p2align	6, 0x0
	.amdhsa_kernel _Z16wvSplitK_hf_sml_I14__hip_bfloat16Li64ELi3ELi16ELi8ELi2ELi1EEviiiiiiPKT_S3_S3_PS1_ii
		.amdhsa_group_segment_fixed_size 65536
		.amdhsa_private_segment_fixed_size 0
		.amdhsa_kernarg_size 64
		.amdhsa_user_sgpr_count 2
		.amdhsa_user_sgpr_dispatch_ptr 0
		.amdhsa_user_sgpr_queue_ptr 0
		.amdhsa_user_sgpr_kernarg_segment_ptr 1
		.amdhsa_user_sgpr_dispatch_id 0
		.amdhsa_user_sgpr_kernarg_preload_length 0
		.amdhsa_user_sgpr_kernarg_preload_offset 0
		.amdhsa_user_sgpr_private_segment_size 0
		.amdhsa_uses_dynamic_stack 0
		.amdhsa_enable_private_segment 0
		.amdhsa_system_sgpr_workgroup_id_x 1
		.amdhsa_system_sgpr_workgroup_id_y 0
		.amdhsa_system_sgpr_workgroup_id_z 0
		.amdhsa_system_sgpr_workgroup_info 0
		.amdhsa_system_vgpr_workitem_id 1
		.amdhsa_next_free_vgpr 61
		.amdhsa_next_free_sgpr 28
		.amdhsa_accum_offset 64
		.amdhsa_reserve_vcc 1
		.amdhsa_float_round_mode_32 0
		.amdhsa_float_round_mode_16_64 0
		.amdhsa_float_denorm_mode_32 3
		.amdhsa_float_denorm_mode_16_64 3
		.amdhsa_dx10_clamp 1
		.amdhsa_ieee_mode 1
		.amdhsa_fp16_overflow 0
		.amdhsa_tg_split 0
		.amdhsa_exception_fp_ieee_invalid_op 0
		.amdhsa_exception_fp_denorm_src 0
		.amdhsa_exception_fp_ieee_div_zero 0
		.amdhsa_exception_fp_ieee_overflow 0
		.amdhsa_exception_fp_ieee_underflow 0
		.amdhsa_exception_fp_ieee_inexact 0
		.amdhsa_exception_int_div_zero 0
	.end_amdhsa_kernel
	.section	.text._Z16wvSplitK_hf_sml_I14__hip_bfloat16Li64ELi3ELi16ELi8ELi2ELi1EEviiiiiiPKT_S3_S3_PS1_ii,"axG",@progbits,_Z16wvSplitK_hf_sml_I14__hip_bfloat16Li64ELi3ELi16ELi8ELi2ELi1EEviiiiiiPKT_S3_S3_PS1_ii,comdat
.Lfunc_end179:
	.size	_Z16wvSplitK_hf_sml_I14__hip_bfloat16Li64ELi3ELi16ELi8ELi2ELi1EEviiiiiiPKT_S3_S3_PS1_ii, .Lfunc_end179-_Z16wvSplitK_hf_sml_I14__hip_bfloat16Li64ELi3ELi16ELi8ELi2ELi1EEviiiiiiPKT_S3_S3_PS1_ii
                                        ; -- End function
	.section	.AMDGPU.csdata,"",@progbits
; Kernel info:
; codeLenInByte = 1932
; NumSgprs: 34
; NumVgprs: 61
; NumAgprs: 0
; TotalNumVgprs: 61
; ScratchSize: 0
; MemoryBound: 0
; FloatMode: 240
; IeeeMode: 1
; LDSByteSize: 65536 bytes/workgroup (compile time only)
; SGPRBlocks: 4
; VGPRBlocks: 7
; NumSGPRsForWavesPerEU: 34
; NumVGPRsForWavesPerEU: 61
; AccumOffset: 64
; Occupancy: 4
; WaveLimiterHint : 0
; COMPUTE_PGM_RSRC2:SCRATCH_EN: 0
; COMPUTE_PGM_RSRC2:USER_SGPR: 2
; COMPUTE_PGM_RSRC2:TRAP_HANDLER: 0
; COMPUTE_PGM_RSRC2:TGID_X_EN: 1
; COMPUTE_PGM_RSRC2:TGID_Y_EN: 0
; COMPUTE_PGM_RSRC2:TGID_Z_EN: 0
; COMPUTE_PGM_RSRC2:TIDIG_COMP_CNT: 1
; COMPUTE_PGM_RSRC3_GFX90A:ACCUM_OFFSET: 15
; COMPUTE_PGM_RSRC3_GFX90A:TG_SPLIT: 0
	.section	.text._Z12wvSplitK_hf_I14__hip_bfloat16Li64ELi3ELi16ELi8ELi2ELi1EEviiiiiiPKT_S3_S3_PS1_ii,"axG",@progbits,_Z12wvSplitK_hf_I14__hip_bfloat16Li64ELi3ELi16ELi8ELi2ELi1EEviiiiiiPKT_S3_S3_PS1_ii,comdat
	.protected	_Z12wvSplitK_hf_I14__hip_bfloat16Li64ELi3ELi16ELi8ELi2ELi1EEviiiiiiPKT_S3_S3_PS1_ii ; -- Begin function _Z12wvSplitK_hf_I14__hip_bfloat16Li64ELi3ELi16ELi8ELi2ELi1EEviiiiiiPKT_S3_S3_PS1_ii
	.globl	_Z12wvSplitK_hf_I14__hip_bfloat16Li64ELi3ELi16ELi8ELi2ELi1EEviiiiiiPKT_S3_S3_PS1_ii
	.p2align	8
	.type	_Z12wvSplitK_hf_I14__hip_bfloat16Li64ELi3ELi16ELi8ELi2ELi1EEviiiiiiPKT_S3_S3_PS1_ii,@function
_Z12wvSplitK_hf_I14__hip_bfloat16Li64ELi3ELi16ELi8ELi2ELi1EEviiiiiiPKT_S3_S3_PS1_ii: ; @_Z12wvSplitK_hf_I14__hip_bfloat16Li64ELi3ELi16ELi8ELi2ELi1EEviiiiiiPKT_S3_S3_PS1_ii
; %bb.0:
	s_load_dwordx2 s[18:19], s[0:1], 0x38
	s_load_dwordx4 s[8:11], s[0:1], 0x0
	s_load_dword s30, s[0:1], 0x10
	v_bfe_u32 v3, v0, 10, 10
	s_mov_b32 s4, 1
	s_waitcnt lgkmcnt(0)
	s_mul_i32 s2, s2, s18
	v_add_u32_e32 v1, s2, v3
	v_lshl_add_u32 v48, v1, 1, v1
	v_add_u32_e32 v1, 3, v48
	s_mov_b32 s6, s4
	v_cmp_gt_u32_e32 vcc, s11, v48
	v_cmp_le_u32_e64 s[2:3], s11, v1
	s_mov_b32 s5, s4
	v_mov_b32_e32 v46, s6
	s_and_b64 s[12:13], vcc, s[2:3]
	v_mov_b32_e32 v45, s5
	v_mov_b32_e32 v44, s4
	s_and_saveexec_b64 s[2:3], s[12:13]
	s_cbranch_execz .LBB180_6
; %bb.1:
	s_add_i32 s7, s11, -3
	v_mov_b32_e32 v46, s6
	v_cmp_ne_u32_e32 vcc, s7, v48
	v_mov_b32_e32 v45, s5
	v_mov_b32_e32 v44, s4
	s_and_saveexec_b64 s[12:13], vcc
	s_cbranch_execz .LBB180_5
; %bb.2:
	v_subrev_u32_e32 v1, s7, v48
	v_cmp_lt_u32_e32 vcc, 1, v1
	s_mov_b64 s[14:15], 0
	s_mov_b64 s[16:17], 0
	v_cndmask_b32_e32 v2, 1, v1, vcc
	s_mov_b32 s5, s4
	s_mov_b32 s6, s4
.LBB180_3:                              ; =>This Inner Loop Header: Depth=1
	s_cmp_lg_u32 s16, 2
	s_cselect_b32 s6, s6, 0
	s_cmp_lg_u32 s16, 1
	s_cselect_b32 s5, s5, 0
	;; [unrolled: 2-line block ×3, first 2 shown]
	s_add_u32 s16, s16, 1
	s_addc_u32 s17, s17, 0
	v_cmp_eq_u32_e32 vcc, s16, v2
	v_mov_b32_e32 v46, s6
	s_or_b64 s[14:15], vcc, s[14:15]
	v_mov_b32_e32 v45, s5
	v_mov_b32_e32 v44, s4
	s_andn2_b64 exec, exec, s[14:15]
	s_cbranch_execnz .LBB180_3
; %bb.4:
	s_or_b64 exec, exec, s[14:15]
	v_mov_b32_e32 v48, s7
.LBB180_5:
	s_or_b64 exec, exec, s[12:13]
.LBB180_6:
	s_or_b64 exec, exec, s[2:3]
	s_load_dwordx4 s[12:15], s[0:1], 0x20
	v_and_b32_e32 v2, 0x3ff, v0
	v_lshlrev_b32_e32 v47, 3, v2
	v_lshl_add_u32 v4, v3, 9, v47
	s_min_u32 s10, s10, 0x8000
	v_cmp_gt_u32_e32 vcc, s10, v4
	s_and_saveexec_b64 s[2:3], vcc
	s_cbranch_execz .LBB180_9
; %bb.7:
	v_mov_b32_e32 v7, 0
	v_lshlrev_b32_e32 v6, 10, v3
	v_lshlrev_b32_e32 v8, 4, v2
	v_mov_b32_e32 v9, v7
	v_lshl_add_u64 v[0:1], v[6:7], 0, v[8:9]
	s_waitcnt lgkmcnt(0)
	v_lshl_add_u64 v[0:1], s[12:13], 0, v[0:1]
	v_add_u32_e32 v5, v6, v8
	s_mov_b64 s[4:5], 0
	s_mov_b64 s[6:7], 0x4000
.LBB180_8:                              ; =>This Inner Loop Header: Depth=1
	global_load_dwordx4 v[6:9], v[0:1], off
	v_add_u32_e32 v4, 0x2000, v4
	v_cmp_le_u32_e32 vcc, s10, v4
	v_lshl_add_u64 v[0:1], v[0:1], 0, s[6:7]
	s_or_b64 s[4:5], vcc, s[4:5]
	s_waitcnt vmcnt(0)
	ds_write_b128 v5, v[6:9]
	v_add_u32_e32 v5, 0x4000, v5
	s_andn2_b64 exec, exec, s[4:5]
	s_cbranch_execnz .LBB180_8
.LBB180_9:
	s_or_b64 exec, exec, s[2:3]
	v_cmp_gt_u32_e32 vcc, s18, v3
	v_cmp_gt_u32_e64 s[2:3], s11, v48
	s_and_b64 s[2:3], vcc, s[2:3]
	s_waitcnt lgkmcnt(0)
	s_barrier
	s_and_saveexec_b64 s[4:5], s[2:3]
	s_cbranch_execz .LBB180_54
; %bb.10:
	v_cvt_f32_u32_e32 v0, s30
	s_cmp_lg_u32 s8, 0
	s_cselect_b64 s[2:3], -1, 0
	s_add_i32 s10, s8, -8
	v_rcp_iflag_f32_e32 v0, v0
	s_add_i32 s31, s11, -1
	s_cmp_lg_u64 s[14:15], 0
	s_load_dwordx2 s[6:7], s[0:1], 0x18
	s_load_dwordx2 s[16:17], s[0:1], 0x30
	v_mul_f32_e32 v0, 0x4f7ffffe, v0
	v_cvt_u32_f32_e32 v0, v0
	s_cselect_b64 s[20:21], -1, 0
	s_sub_i32 s4, 0, s30
	s_mul_i32 s33, s18, s19
	v_mul_lo_u32 v1, s4, v0
	v_mul_hi_u32 v1, v0, v1
	v_add_u32_e32 v66, v0, v1
	v_cndmask_b32_e64 v0, 0, 1, s[2:3]
	v_cmp_eq_u32_e64 s[0:1], 63, v2
	s_mov_b64 s[18:19], 0
	s_mul_i32 s33, s33, 3
	s_add_i32 s34, s11, -3
	v_mov_b32_e32 v51, 0
	v_lshlrev_b32_e32 v67, 4, v2
	v_cmp_ne_u32_e64 s[2:3], 1, v0
	s_movk_i32 s35, 0x7fff
	s_mov_b32 s36, 0x7f800000
	s_branch .LBB180_13
.LBB180_11:                             ;   in Loop: Header=BB180_13 Depth=1
	s_or_b64 exec, exec, s[24:25]
	v_mov_b32_e32 v48, s34
.LBB180_12:                             ;   in Loop: Header=BB180_13 Depth=1
	s_or_b64 exec, exec, s[22:23]
	v_cmp_le_u32_e32 vcc, s11, v48
	s_or_b64 s[18:19], vcc, s[18:19]
	s_andn2_b64 exec, exec, s[18:19]
	s_cbranch_execz .LBB180_54
.LBB180_13:                             ; =>This Loop Header: Depth=1
                                        ;     Child Loop BB180_18 Depth 2
                                        ;     Child Loop BB180_52 Depth 2
	s_and_b64 vcc, exec, s[2:3]
	v_add_u32_e32 v54, 1, v48
	v_add_u32_e32 v52, 2, v48
	v_mov_b32_e32 v3, v51
	v_mov_b32_e32 v2, v51
	;; [unrolled: 1-line block ×4, first 2 shown]
	s_waitcnt vmcnt(1)
	v_mov_b32_e32 v7, v51
	v_mov_b32_e32 v6, v51
	;; [unrolled: 1-line block ×3, first 2 shown]
	s_waitcnt vmcnt(0)
	v_mov_b32_e32 v4, v51
	v_mov_b32_e32 v11, v51
	;; [unrolled: 1-line block ×5, first 2 shown]
	s_cbranch_vccnz .LBB180_28
; %bb.14:                               ;   in Loop: Header=BB180_13 Depth=1
	v_min_u32_e32 v0, s31, v48
	v_mul_lo_u32 v50, v0, s9
	v_min_u32_e32 v0, s31, v54
	v_min_u32_e32 v2, s31, v52
	v_mul_lo_u32 v0, v0, s9
	v_mov_b32_e32 v1, v51
	v_mul_lo_u32 v2, v2, s9
	v_mov_b32_e32 v3, v51
	v_mov_b32_e32 v8, 0
	s_mov_b32 s4, 0
	v_lshlrev_b64 v[56:57], 1, v[50:51]
	v_lshlrev_b64 v[58:59], 1, v[0:1]
	;; [unrolled: 1-line block ×3, first 2 shown]
	v_mov_b32_e32 v49, v67
	s_mov_b32 s28, 0
	v_mov_b32_e32 v9, v8
	v_mov_b32_e32 v10, v8
	;; [unrolled: 1-line block ×11, first 2 shown]
	s_branch .LBB180_18
.LBB180_15:                             ;   in Loop: Header=BB180_18 Depth=2
	s_or_b64 exec, exec, s[26:27]
.LBB180_16:                             ;   in Loop: Header=BB180_18 Depth=2
	s_or_b64 exec, exec, s[24:25]
.LBB180_17:                             ;   in Loop: Header=BB180_18 Depth=2
	s_or_b64 exec, exec, s[22:23]
	s_waitcnt vmcnt(0) lgkmcnt(0)
	v_mfma_f32_4x4x4_16b_bf16 v[8:11], v[36:37], v[32:33], v[8:11]
	s_addk_i32 s28, 0x400
	v_mfma_f32_4x4x4_16b_bf16 v[4:7], v[36:37], v[24:25], v[4:7]
	v_add_u32_e32 v49, 0x800, v49
	v_mfma_f32_4x4x4_16b_bf16 v[0:3], v[36:37], v[28:29], v[0:3]
	s_cmp_ge_u32 s28, s8
	v_mfma_f32_4x4x4_16b_bf16 v[8:11], v[38:39], v[34:35], v[8:11]
	v_mfma_f32_4x4x4_16b_bf16 v[4:7], v[38:39], v[26:27], v[4:7]
	;; [unrolled: 1-line block ×9, first 2 shown]
	s_cbranch_scc1 .LBB180_28
.LBB180_18:                             ;   Parent Loop BB180_13 Depth=1
                                        ; =>  This Inner Loop Header: Depth=2
	v_add_u32_e32 v64, s28, v47
	v_min_u32_e32 v50, s10, v64
	s_waitcnt lgkmcnt(0)
	v_lshl_add_u64 v[12:13], v[50:51], 1, s[6:7]
	v_add_u32_e32 v62, 0x200, v64
	v_lshl_add_u64 v[14:15], v[12:13], 0, v[56:57]
	v_min_u32_e32 v50, s10, v62
	v_lshl_add_u64 v[16:17], v[12:13], 0, v[58:59]
	global_load_dwordx4 v[32:35], v[14:15], off nt
	global_load_dwordx4 v[24:27], v[16:17], off nt
	v_lshl_add_u64 v[14:15], v[50:51], 1, s[6:7]
	v_lshl_add_u64 v[12:13], v[12:13], 0, v[60:61]
	;; [unrolled: 1-line block ×4, first 2 shown]
	global_load_dwordx4 v[28:31], v[12:13], off nt
	global_load_dwordx4 v[20:23], v[16:17], off nt
	v_lshl_add_u64 v[38:39], v[14:15], 0, v[60:61]
	global_load_dwordx4 v[16:19], v[36:37], off nt
	global_load_dwordx4 v[12:15], v[38:39], off nt
	s_mov_b32 s5, s4
	v_cmp_gt_u32_e32 vcc, s8, v64
	v_mov_b64_e32 v[38:39], s[4:5]
	v_mov_b32_e32 v43, 0
	v_mov_b32_e32 v42, 0
	;; [unrolled: 1-line block ×4, first 2 shown]
	v_mov_b64_e32 v[36:37], s[4:5]
	s_and_saveexec_b64 s[22:23], vcc
	s_cbranch_execz .LBB180_17
; %bb.19:                               ;   in Loop: Header=BB180_18 Depth=2
	v_cmp_lt_u32_e32 vcc, s35, v64
                                        ; implicit-def: $vgpr38_vgpr39
	s_and_saveexec_b64 s[24:25], vcc
	s_xor_b64 s[24:25], exec, s[24:25]
	s_cbranch_execz .LBB180_21
; %bb.20:                               ;   in Loop: Header=BB180_18 Depth=2
	v_mov_b32_e32 v65, v51
	v_lshl_add_u64 v[36:37], v[64:65], 1, s[12:13]
	global_load_dwordx4 v[36:39], v[36:37], off
.LBB180_21:                             ;   in Loop: Header=BB180_18 Depth=2
	s_andn2_saveexec_b64 s[24:25], s[24:25]
	s_cbranch_execz .LBB180_23
; %bb.22:                               ;   in Loop: Header=BB180_18 Depth=2
	s_waitcnt vmcnt(0)
	ds_read_b128 v[36:39], v49
.LBB180_23:                             ;   in Loop: Header=BB180_18 Depth=2
	s_or_b64 exec, exec, s[24:25]
	v_cmp_gt_u32_e32 vcc, s8, v62
	v_mov_b32_e32 v43, 0
	v_mov_b32_e32 v42, 0
	;; [unrolled: 1-line block ×4, first 2 shown]
	s_and_saveexec_b64 s[24:25], vcc
	s_cbranch_execz .LBB180_16
; %bb.24:                               ;   in Loop: Header=BB180_18 Depth=2
	v_cmp_lt_u32_e32 vcc, s35, v62
                                        ; implicit-def: $vgpr43
	s_and_saveexec_b64 s[26:27], vcc
	s_xor_b64 s[26:27], exec, s[26:27]
	s_cbranch_execz .LBB180_26
; %bb.25:                               ;   in Loop: Header=BB180_18 Depth=2
	v_mov_b32_e32 v63, v51
	v_lshl_add_u64 v[40:41], v[62:63], 1, s[12:13]
	global_load_dwordx4 v[40:43], v[40:41], off
.LBB180_26:                             ;   in Loop: Header=BB180_18 Depth=2
	s_andn2_saveexec_b64 s[26:27], s[26:27]
	s_cbranch_execz .LBB180_15
; %bb.27:                               ;   in Loop: Header=BB180_18 Depth=2
	s_waitcnt vmcnt(0)
	ds_read_b128 v[40:43], v49 offset:1024
	s_branch .LBB180_15
.LBB180_28:                             ;   in Loop: Header=BB180_13 Depth=1
	s_nop 1
	v_cvt_i32_f32_e32 v9, v9
	v_cvt_i32_f32_e32 v10, v10
	;; [unrolled: 1-line block ×4, first 2 shown]
	v_cvt_f32_i32_dpp v9, v9 row_shl:1 row_mask:0xf bank_mask:0xf bound_ctrl:1
	v_cvt_i32_f32_e32 v1, v1
	v_cvt_f32_i32_dpp v10, v10 row_shl:2 row_mask:0xf bank_mask:0xf bound_ctrl:1
	v_cvt_i32_f32_e32 v6, v6
	v_cvt_i32_f32_e32 v2, v2
	v_cvt_f32_i32_dpp v11, v11 row_shl:3 row_mask:0xf bank_mask:0xf bound_ctrl:1
	v_cvt_i32_f32_e32 v7, v7
	v_cvt_i32_f32_e32 v3, v3
	v_add_f32_e32 v8, v8, v9
	v_cvt_f32_i32_dpp v5, v5 row_shl:1 row_mask:0xf bank_mask:0xf bound_ctrl:1
	v_cvt_f32_i32_dpp v1, v1 row_shl:1 row_mask:0xf bank_mask:0xf bound_ctrl:1
	v_add_f32_e32 v8, v8, v10
	v_cvt_f32_i32_dpp v6, v6 row_shl:2 row_mask:0xf bank_mask:0xf bound_ctrl:1
	v_cvt_f32_i32_dpp v2, v2 row_shl:2 row_mask:0xf bank_mask:0xf bound_ctrl:1
	;; [unrolled: 3-line block ×3, first 2 shown]
	v_cvt_i32_f32_e32 v9, v8
	v_add_f32_e32 v4, v4, v5
	v_add_f32_e32 v0, v0, v1
	;; [unrolled: 1-line block ×6, first 2 shown]
	v_cvt_f32_i32_dpp v9, v9 row_shl:4 row_mask:0xf bank_mask:0xf bound_ctrl:1
	v_cvt_i32_f32_e32 v7, v4
	v_cvt_i32_f32_e32 v1, v0
	v_add_f32_e32 v5, v8, v9
	v_cvt_f32_i32_dpp v3, v7 row_shl:4 row_mask:0xf bank_mask:0xf bound_ctrl:1
	v_cvt_f32_i32_dpp v1, v1 row_shl:4 row_mask:0xf bank_mask:0xf bound_ctrl:1
	v_cvt_i32_f32_e32 v6, v5
	v_add_f32_e32 v3, v4, v3
	v_add_f32_e32 v0, v0, v1
	v_cvt_f32_i32_dpp v2, v6 row_shl:8 row_mask:0xf bank_mask:0xf bound_ctrl:1
	v_cvt_i32_f32_e32 v4, v3
	v_cvt_i32_f32_e32 v1, v0
	v_add_f32_e32 v2, v5, v2
	v_cvt_f32_i32_dpp v4, v4 row_shl:8 row_mask:0xf bank_mask:0xf bound_ctrl:1
	v_cvt_f32_i32_dpp v1, v1 row_shl:8 row_mask:0xf bank_mask:0xf bound_ctrl:1
	v_cvt_i32_f32_e32 v2, v2
	v_add_f32_e32 v3, v3, v4
	v_add_f32_e32 v0, v0, v1
	v_cvt_f32_i32_dpp v2, v2 row_shr:15 row_mask:0xf bank_mask:0xf bound_ctrl:1
	v_cvt_i32_f32_e32 v3, v3
	v_cvt_i32_f32_e32 v0, v0
	s_nop 0
	v_cvt_f32_i32_dpp v1, v3 row_shr:15 row_mask:0xf bank_mask:0xf bound_ctrl:1
	v_cvt_i32_f32_e32 v3, v2
	v_cvt_f32_i32_dpp v0, v0 row_shr:15 row_mask:0xf bank_mask:0xf bound_ctrl:1
	v_cvt_i32_f32_e32 v4, v1
	v_cvt_f32_i32_dpp v3, v3 row_bcast:15 row_mask:0xf bank_mask:0xf bound_ctrl:1
	v_cvt_i32_f32_e32 v6, v0
	v_cvt_f32_i32_dpp v4, v4 row_bcast:15 row_mask:0xf bank_mask:0xf bound_ctrl:1
	v_add_f32_e32 v5, v2, v3
	v_cvt_f32_i32_dpp v3, v6 row_bcast:15 row_mask:0xf bank_mask:0xf bound_ctrl:1
	v_cvt_i32_f32_e32 v6, v5
	v_add_f32_e32 v2, v1, v4
	v_cvt_i32_f32_e32 v1, v2
	v_add_f32_e32 v0, v0, v3
	v_cvt_i32_f32_e32 v4, v0
	v_mov_b32_dpp v6, v6 row_bcast:31 row_mask:0xf bank_mask:0xf bound_ctrl:1
	v_mov_b32_dpp v3, v1 row_bcast:31 row_mask:0xf bank_mask:0xf bound_ctrl:1
	;; [unrolled: 1-line block ×3, first 2 shown]
	s_and_saveexec_b64 s[4:5], s[0:1]
	s_cbranch_execz .LBB180_49
; %bb.29:                               ;   in Loop: Header=BB180_13 Depth=1
	s_andn2_b64 vcc, exec, s[20:21]
	v_mov_b32_e32 v8, 0
	v_mov_b32_e32 v7, 0
	;; [unrolled: 1-line block ×3, first 2 shown]
	s_cbranch_vccnz .LBB180_31
; %bb.30:                               ;   in Loop: Header=BB180_13 Depth=1
	v_mul_hi_u32 v4, v48, v66
	v_mul_lo_u32 v4, v4, s30
	v_sub_u32_e32 v4, v48, v4
	v_subrev_u32_e32 v7, s30, v4
	v_cmp_le_u32_e32 vcc, s30, v4
	s_nop 1
	v_cndmask_b32_e32 v4, v4, v7, vcc
	v_subrev_u32_e32 v7, s30, v4
	v_cmp_le_u32_e32 vcc, s30, v4
	s_nop 1
	v_cndmask_b32_e32 v50, v4, v7, vcc
	v_mul_hi_u32 v4, v54, v66
	v_mul_lo_u32 v4, v4, s30
	v_sub_u32_e32 v4, v54, v4
	v_subrev_u32_e32 v7, s30, v4
	v_cmp_le_u32_e32 vcc, s30, v4
	v_lshl_add_u64 v[10:11], v[50:51], 1, s[14:15]
	s_nop 0
	v_cndmask_b32_e32 v4, v4, v7, vcc
	v_subrev_u32_e32 v7, s30, v4
	v_cmp_le_u32_e32 vcc, s30, v4
	s_nop 1
	v_cndmask_b32_e32 v50, v4, v7, vcc
	v_mul_hi_u32 v4, v52, v66
	v_mul_lo_u32 v4, v4, s30
	v_sub_u32_e32 v4, v52, v4
	v_subrev_u32_e32 v7, s30, v4
	v_cmp_le_u32_e32 vcc, s30, v4
	v_lshl_add_u64 v[12:13], v[50:51], 1, s[14:15]
	s_nop 0
	v_cndmask_b32_e32 v4, v4, v7, vcc
	v_subrev_u32_e32 v7, s30, v4
	v_cmp_le_u32_e32 vcc, s30, v4
	s_nop 1
	v_cndmask_b32_e32 v50, v4, v7, vcc
	v_lshl_add_u64 v[14:15], v[50:51], 1, s[14:15]
	global_load_ushort v8, v[10:11], off
	global_load_ushort v7, v[12:13], off
	;; [unrolled: 1-line block ×3, first 2 shown]
.LBB180_31:                             ;   in Loop: Header=BB180_13 Depth=1
	v_cmp_ne_u32_e32 vcc, 0, v44
	s_and_saveexec_b64 s[22:23], vcc
	s_cbranch_execnz .LBB180_34
; %bb.32:                               ;   in Loop: Header=BB180_13 Depth=1
	s_or_b64 exec, exec, s[22:23]
	v_cmp_ne_u32_e32 vcc, 0, v45
	s_and_saveexec_b64 s[22:23], vcc
	s_cbranch_execnz .LBB180_39
.LBB180_33:                             ;   in Loop: Header=BB180_13 Depth=1
	s_or_b64 exec, exec, s[22:23]
	v_cmp_ne_u32_e32 vcc, 0, v46
	s_and_b64 exec, exec, vcc
	s_cbranch_execnz .LBB180_44
	s_branch .LBB180_49
.LBB180_34:                             ;   in Loop: Header=BB180_13 Depth=1
	v_cvt_f32_i32_e32 v6, v6
	v_add_f32_e32 v5, v5, v6
	s_waitcnt vmcnt(2)
	v_lshlrev_b32_e32 v6, 16, v8
	v_add_f32_e32 v6, v5, v6
	v_and_b32_e32 v5, 0x7f800000, v6
	v_cmp_ne_u32_e32 vcc, s36, v5
                                        ; implicit-def: $vgpr5
	s_and_saveexec_b64 s[24:25], vcc
	s_xor_b64 s[24:25], exec, s[24:25]
; %bb.35:                               ;   in Loop: Header=BB180_13 Depth=1
	v_bfe_u32 v5, v6, 16, 1
	v_add3_u32 v5, v6, v5, s35
                                        ; implicit-def: $vgpr6
; %bb.36:                               ;   in Loop: Header=BB180_13 Depth=1
	s_andn2_saveexec_b64 s[24:25], s[24:25]
; %bb.37:                               ;   in Loop: Header=BB180_13 Depth=1
	v_or_b32_e32 v5, 0x10000, v6
	v_cmp_eq_u32_sdwa vcc, v6, v51 src0_sel:WORD_0 src1_sel:DWORD
	s_nop 1
	v_cndmask_b32_e32 v5, v5, v6, vcc
; %bb.38:                               ;   in Loop: Header=BB180_13 Depth=1
	s_or_b64 exec, exec, s[24:25]
	v_mov_b32_e32 v49, v51
	s_waitcnt lgkmcnt(0)
	v_lshl_add_u64 v[8:9], v[48:49], 1, s[16:17]
	global_store_short_d16_hi v[8:9], v5, off
	s_or_b64 exec, exec, s[22:23]
	v_cmp_ne_u32_e32 vcc, 0, v45
	s_and_saveexec_b64 s[22:23], vcc
	s_cbranch_execz .LBB180_33
.LBB180_39:                             ;   in Loop: Header=BB180_13 Depth=1
	v_cvt_f32_i32_e32 v3, v3
	v_add_f32_e32 v2, v2, v3
	s_waitcnt vmcnt(1)
	v_lshlrev_b32_e32 v3, 16, v7
	v_add_f32_e32 v3, v2, v3
	v_and_b32_e32 v2, 0x7f800000, v3
	v_cmp_ne_u32_e32 vcc, s36, v2
                                        ; implicit-def: $vgpr2
	s_and_saveexec_b64 s[24:25], vcc
	s_xor_b64 s[24:25], exec, s[24:25]
; %bb.40:                               ;   in Loop: Header=BB180_13 Depth=1
	v_bfe_u32 v2, v3, 16, 1
	v_add3_u32 v2, v3, v2, s35
                                        ; implicit-def: $vgpr3
; %bb.41:                               ;   in Loop: Header=BB180_13 Depth=1
	s_andn2_saveexec_b64 s[24:25], s[24:25]
; %bb.42:                               ;   in Loop: Header=BB180_13 Depth=1
	v_or_b32_e32 v2, 0x10000, v3
	v_cmp_eq_u32_sdwa vcc, v3, v51 src0_sel:WORD_0 src1_sel:DWORD
	s_nop 1
	v_cndmask_b32_e32 v2, v2, v3, vcc
; %bb.43:                               ;   in Loop: Header=BB180_13 Depth=1
	s_or_b64 exec, exec, s[24:25]
	v_mov_b32_e32 v55, v51
	s_waitcnt lgkmcnt(0)
	v_lshl_add_u64 v[6:7], v[54:55], 1, s[16:17]
	global_store_short_d16_hi v[6:7], v2, off
	s_or_b64 exec, exec, s[22:23]
	v_cmp_ne_u32_e32 vcc, 0, v46
	s_and_b64 exec, exec, vcc
	s_cbranch_execz .LBB180_49
.LBB180_44:                             ;   in Loop: Header=BB180_13 Depth=1
	v_cvt_f32_i32_e32 v1, v1
	v_add_f32_e32 v0, v0, v1
	s_waitcnt vmcnt(0)
	v_lshlrev_b32_e32 v1, 16, v4
	v_add_f32_e32 v1, v0, v1
	v_and_b32_e32 v0, 0x7f800000, v1
	v_cmp_ne_u32_e32 vcc, s36, v0
                                        ; implicit-def: $vgpr0
	s_and_saveexec_b64 s[22:23], vcc
	s_xor_b64 s[22:23], exec, s[22:23]
; %bb.45:                               ;   in Loop: Header=BB180_13 Depth=1
	v_bfe_u32 v0, v1, 16, 1
	v_add3_u32 v0, v1, v0, s35
                                        ; implicit-def: $vgpr1
; %bb.46:                               ;   in Loop: Header=BB180_13 Depth=1
	s_andn2_saveexec_b64 s[22:23], s[22:23]
; %bb.47:                               ;   in Loop: Header=BB180_13 Depth=1
	v_or_b32_e32 v0, 0x10000, v1
	v_cmp_eq_u32_sdwa vcc, v1, v51 src0_sel:WORD_0 src1_sel:DWORD
	s_nop 1
	v_cndmask_b32_e32 v0, v0, v1, vcc
; %bb.48:                               ;   in Loop: Header=BB180_13 Depth=1
	s_or_b64 exec, exec, s[22:23]
	v_mov_b32_e32 v53, v51
	s_waitcnt lgkmcnt(0)
	v_lshl_add_u64 v[2:3], v[52:53], 1, s[16:17]
	global_store_short_d16_hi v[2:3], v0, off
.LBB180_49:                             ;   in Loop: Header=BB180_13 Depth=1
	s_or_b64 exec, exec, s[4:5]
	v_add_u32_e32 v48, s33, v48
	v_add_u32_e32 v0, 3, v48
	v_cmp_gt_u32_e32 vcc, s11, v48
	v_cmp_le_u32_e64 s[4:5], s11, v0
	s_and_b64 s[4:5], vcc, s[4:5]
	s_and_saveexec_b64 s[22:23], s[4:5]
	s_cbranch_execz .LBB180_12
; %bb.50:                               ;   in Loop: Header=BB180_13 Depth=1
	v_cmp_ne_u32_e32 vcc, s34, v48
	s_and_saveexec_b64 s[24:25], vcc
	s_cbranch_execz .LBB180_11
; %bb.51:                               ;   in Loop: Header=BB180_13 Depth=1
	v_subrev_u32_e32 v0, s34, v48
	v_cmp_lt_u32_e32 vcc, 1, v0
	s_mov_b64 s[26:27], 0
	s_mov_b64 s[28:29], 0
	v_cndmask_b32_e32 v0, 1, v0, vcc
.LBB180_52:                             ;   Parent Loop BB180_13 Depth=1
                                        ; =>  This Inner Loop Header: Depth=2
	s_cmp_lg_u32 s28, 2
	s_cselect_b64 vcc, -1, 0
	s_cmp_lg_u32 s28, 1
	v_cndmask_b32_e32 v46, 0, v46, vcc
	s_cselect_b64 vcc, -1, 0
	s_cmp_lg_u32 s28, 0
	v_cndmask_b32_e32 v45, 0, v45, vcc
	s_cselect_b64 vcc, -1, 0
	s_add_u32 s28, s28, 1
	s_addc_u32 s29, s29, 0
	v_cmp_eq_u32_e64 s[4:5], s28, v0
	s_or_b64 s[26:27], s[4:5], s[26:27]
	v_cndmask_b32_e32 v44, 0, v44, vcc
	s_andn2_b64 exec, exec, s[26:27]
	s_cbranch_execnz .LBB180_52
; %bb.53:                               ;   in Loop: Header=BB180_13 Depth=1
	s_or_b64 exec, exec, s[26:27]
	s_branch .LBB180_11
.LBB180_54:
	s_endpgm
	.section	.rodata,"a",@progbits
	.p2align	6, 0x0
	.amdhsa_kernel _Z12wvSplitK_hf_I14__hip_bfloat16Li64ELi3ELi16ELi8ELi2ELi1EEviiiiiiPKT_S3_S3_PS1_ii
		.amdhsa_group_segment_fixed_size 65536
		.amdhsa_private_segment_fixed_size 0
		.amdhsa_kernarg_size 64
		.amdhsa_user_sgpr_count 2
		.amdhsa_user_sgpr_dispatch_ptr 0
		.amdhsa_user_sgpr_queue_ptr 0
		.amdhsa_user_sgpr_kernarg_segment_ptr 1
		.amdhsa_user_sgpr_dispatch_id 0
		.amdhsa_user_sgpr_kernarg_preload_length 0
		.amdhsa_user_sgpr_kernarg_preload_offset 0
		.amdhsa_user_sgpr_private_segment_size 0
		.amdhsa_uses_dynamic_stack 0
		.amdhsa_enable_private_segment 0
		.amdhsa_system_sgpr_workgroup_id_x 1
		.amdhsa_system_sgpr_workgroup_id_y 0
		.amdhsa_system_sgpr_workgroup_id_z 0
		.amdhsa_system_sgpr_workgroup_info 0
		.amdhsa_system_vgpr_workitem_id 1
		.amdhsa_next_free_vgpr 68
		.amdhsa_next_free_sgpr 37
		.amdhsa_accum_offset 68
		.amdhsa_reserve_vcc 1
		.amdhsa_float_round_mode_32 0
		.amdhsa_float_round_mode_16_64 0
		.amdhsa_float_denorm_mode_32 3
		.amdhsa_float_denorm_mode_16_64 3
		.amdhsa_dx10_clamp 1
		.amdhsa_ieee_mode 1
		.amdhsa_fp16_overflow 0
		.amdhsa_tg_split 0
		.amdhsa_exception_fp_ieee_invalid_op 0
		.amdhsa_exception_fp_denorm_src 0
		.amdhsa_exception_fp_ieee_div_zero 0
		.amdhsa_exception_fp_ieee_overflow 0
		.amdhsa_exception_fp_ieee_underflow 0
		.amdhsa_exception_fp_ieee_inexact 0
		.amdhsa_exception_int_div_zero 0
	.end_amdhsa_kernel
	.section	.text._Z12wvSplitK_hf_I14__hip_bfloat16Li64ELi3ELi16ELi8ELi2ELi1EEviiiiiiPKT_S3_S3_PS1_ii,"axG",@progbits,_Z12wvSplitK_hf_I14__hip_bfloat16Li64ELi3ELi16ELi8ELi2ELi1EEviiiiiiPKT_S3_S3_PS1_ii,comdat
.Lfunc_end180:
	.size	_Z12wvSplitK_hf_I14__hip_bfloat16Li64ELi3ELi16ELi8ELi2ELi1EEviiiiiiPKT_S3_S3_PS1_ii, .Lfunc_end180-_Z12wvSplitK_hf_I14__hip_bfloat16Li64ELi3ELi16ELi8ELi2ELi1EEviiiiiiPKT_S3_S3_PS1_ii
                                        ; -- End function
	.section	.AMDGPU.csdata,"",@progbits
; Kernel info:
; codeLenInByte = 2428
; NumSgprs: 43
; NumVgprs: 68
; NumAgprs: 0
; TotalNumVgprs: 68
; ScratchSize: 0
; MemoryBound: 1
; FloatMode: 240
; IeeeMode: 1
; LDSByteSize: 65536 bytes/workgroup (compile time only)
; SGPRBlocks: 5
; VGPRBlocks: 8
; NumSGPRsForWavesPerEU: 43
; NumVGPRsForWavesPerEU: 68
; AccumOffset: 68
; Occupancy: 4
; WaveLimiterHint : 0
; COMPUTE_PGM_RSRC2:SCRATCH_EN: 0
; COMPUTE_PGM_RSRC2:USER_SGPR: 2
; COMPUTE_PGM_RSRC2:TRAP_HANDLER: 0
; COMPUTE_PGM_RSRC2:TGID_X_EN: 1
; COMPUTE_PGM_RSRC2:TGID_Y_EN: 0
; COMPUTE_PGM_RSRC2:TGID_Z_EN: 0
; COMPUTE_PGM_RSRC2:TIDIG_COMP_CNT: 1
; COMPUTE_PGM_RSRC3_GFX90A:ACCUM_OFFSET: 16
; COMPUTE_PGM_RSRC3_GFX90A:TG_SPLIT: 0
	.section	.text._Z16wvSplitK_hf_big_I14__hip_bfloat16Li64ELi3ELi16ELi8ELi2ELi1EEviiiiiiPKT_S3_S3_PS1_ii,"axG",@progbits,_Z16wvSplitK_hf_big_I14__hip_bfloat16Li64ELi3ELi16ELi8ELi2ELi1EEviiiiiiPKT_S3_S3_PS1_ii,comdat
	.protected	_Z16wvSplitK_hf_big_I14__hip_bfloat16Li64ELi3ELi16ELi8ELi2ELi1EEviiiiiiPKT_S3_S3_PS1_ii ; -- Begin function _Z16wvSplitK_hf_big_I14__hip_bfloat16Li64ELi3ELi16ELi8ELi2ELi1EEviiiiiiPKT_S3_S3_PS1_ii
	.globl	_Z16wvSplitK_hf_big_I14__hip_bfloat16Li64ELi3ELi16ELi8ELi2ELi1EEviiiiiiPKT_S3_S3_PS1_ii
	.p2align	8
	.type	_Z16wvSplitK_hf_big_I14__hip_bfloat16Li64ELi3ELi16ELi8ELi2ELi1EEviiiiiiPKT_S3_S3_PS1_ii,@function
_Z16wvSplitK_hf_big_I14__hip_bfloat16Li64ELi3ELi16ELi8ELi2ELi1EEviiiiiiPKT_S3_S3_PS1_ii: ; @_Z16wvSplitK_hf_big_I14__hip_bfloat16Li64ELi3ELi16ELi8ELi2ELi1EEviiiiiiPKT_S3_S3_PS1_ii
; %bb.0:
	s_load_dwordx2 s[8:9], s[0:1], 0x38
	v_bfe_u32 v1, v0, 10, 10
	s_waitcnt lgkmcnt(0)
	v_cmp_gt_u32_e32 vcc, s8, v1
	s_and_saveexec_b64 s[4:5], vcc
	s_cbranch_execz .LBB181_58
; %bb.1:
	s_load_dwordx4 s[20:23], s[0:1], 0x0
	s_mul_i32 s2, s2, s8
	v_add_u32_e32 v2, s2, v1
	v_lshl_add_u32 v48, v2, 1, v2
	s_mov_b32 s4, 1
	v_add_u32_e32 v2, 3, v48
	s_mov_b32 s6, s4
	s_waitcnt lgkmcnt(0)
	v_cmp_gt_u32_e32 vcc, s23, v48
	v_cmp_le_u32_e64 s[2:3], s23, v2
	s_mov_b32 s5, s4
	v_mov_b32_e32 v46, s6
	s_and_b64 s[10:11], vcc, s[2:3]
	v_mov_b32_e32 v45, s5
	v_mov_b32_e32 v44, s4
	s_and_saveexec_b64 s[2:3], s[10:11]
	s_cbranch_execz .LBB181_7
; %bb.2:
	s_add_i32 s7, s23, -3
	v_mov_b32_e32 v46, s6
	v_cmp_ne_u32_e32 vcc, s7, v48
	v_mov_b32_e32 v45, s5
	v_mov_b32_e32 v44, s4
	s_and_saveexec_b64 s[10:11], vcc
	s_cbranch_execz .LBB181_6
; %bb.3:
	v_subrev_u32_e32 v2, s7, v48
	v_cmp_lt_u32_e32 vcc, 1, v2
	s_mov_b64 s[12:13], 0
	s_mov_b64 s[14:15], 0
	v_cndmask_b32_e32 v2, 1, v2, vcc
	s_mov_b32 s5, s4
	s_mov_b32 s6, s4
.LBB181_4:                              ; =>This Inner Loop Header: Depth=1
	s_cmp_lg_u32 s14, 2
	s_cselect_b32 s6, s6, 0
	s_cmp_lg_u32 s14, 1
	s_cselect_b32 s5, s5, 0
	;; [unrolled: 2-line block ×3, first 2 shown]
	s_add_u32 s14, s14, 1
	s_addc_u32 s15, s15, 0
	v_cmp_eq_u32_e32 vcc, s14, v2
	v_mov_b32_e32 v46, s6
	s_or_b64 s[12:13], vcc, s[12:13]
	v_mov_b32_e32 v45, s5
	v_mov_b32_e32 v44, s4
	s_andn2_b64 exec, exec, s[12:13]
	s_cbranch_execnz .LBB181_4
; %bb.5:
	s_or_b64 exec, exec, s[12:13]
	v_mov_b32_e32 v48, s7
.LBB181_6:
	s_or_b64 exec, exec, s[10:11]
.LBB181_7:
	s_or_b64 exec, exec, s[2:3]
	s_mul_i32 s43, s8, 3
	s_abs_i32 s2, s43
	v_cvt_f32_u32_e32 v2, s2
	s_sub_i32 s5, 0, s2
	s_abs_i32 s4, s23
	s_ashr_i32 s3, s23, 31
	v_rcp_iflag_f32_e32 v2, v2
	s_nop 0
	v_mul_f32_e32 v2, 0x4f7ffffe, v2
	v_cvt_u32_f32_e32 v2, v2
	s_nop 0
	v_readfirstlane_b32 s6, v2
	s_mul_i32 s5, s5, s6
	s_mul_hi_u32 s5, s6, s5
	s_add_i32 s6, s6, s5
	s_mul_hi_u32 s5, s4, s6
	s_mul_i32 s5, s5, s2
	s_sub_i32 s4, s4, s5
	s_sub_i32 s5, s4, s2
	s_cmp_ge_u32 s4, s2
	s_cselect_b32 s4, s5, s4
	s_sub_i32 s5, s4, s2
	s_cmp_ge_u32 s4, s2
	s_cselect_b32 s2, s5, s4
	s_xor_b32 s2, s2, s3
	s_sub_i32 s2, s2, s3
	s_add_i32 s3, s43, s23
	s_sub_i32 s3, s3, s2
	s_cmp_eq_u32 s2, 0
	s_cselect_b32 s33, s23, s3
	v_cmp_gt_u32_e32 vcc, s33, v48
	s_and_b64 exec, exec, vcc
	s_cbranch_execz .LBB181_58
; %bb.8:
	s_load_dwordx8 s[12:19], s[0:1], 0x18
	s_load_dword s38, s[0:1], 0x10
	s_min_u32 s39, s22, 0x8000
	s_cmp_lg_u32 s20, 0
	s_cselect_b64 s[2:3], -1, 0
	s_cmp_lg_u32 s22, 0
	s_waitcnt lgkmcnt(0)
	v_cvt_f32_u32_e32 v2, s38
	s_cselect_b64 s[4:5], -1, 0
	s_lshl_b32 s40, s8, 9
	s_add_i32 s41, s20, -8
	v_rcp_iflag_f32_e32 v2, v2
	s_add_i32 s42, s23, -1
	v_and_b32_e32 v0, 0x3ff, v0
	s_cmp_lg_u64 s[16:17], 0
	v_mul_f32_e32 v2, 0x4f7ffffe, v2
	v_cvt_u32_f32_e32 v2, v2
	v_lshlrev_b32_e32 v47, 3, v0
	v_cmp_eq_u32_e64 s[0:1], 63, v0
	s_cselect_b64 s[24:25], -1, 0
	s_sub_i32 s6, 0, s38
	v_lshlrev_b32_e32 v0, 4, v0
	s_add_i32 s44, s23, -3
	v_mul_lo_u32 v3, s6, v2
	v_lshl_add_u32 v59, v1, 10, v0
	v_cndmask_b32_e64 v0, 0, 1, s[2:3]
	v_mul_hi_u32 v3, v2, v3
	s_add_u32 s26, s18, 2
	v_cmp_ne_u32_e64 s[2:3], 1, v0
	v_cndmask_b32_e64 v0, 0, 1, s[4:5]
	s_mul_i32 s43, s43, s9
	s_mov_b64 s[10:11], 0
	v_add_u32_e32 v58, v2, v3
	v_mov_b32_e32 v51, 0
	s_addc_u32 s27, s19, 0
	s_lshl_b32 s45, s8, 10
	v_lshl_add_u32 v60, v1, 9, v47
	v_cmp_ne_u32_e64 s[4:5], 1, v0
	s_mov_b32 s46, 0x7f800000
	s_movk_i32 s47, 0x7fff
	s_branch .LBB181_12
.LBB181_9:                              ;   in Loop: Header=BB181_12 Depth=1
	s_or_b64 exec, exec, s[30:31]
	v_mov_b32_e32 v48, s44
.LBB181_10:                             ;   in Loop: Header=BB181_12 Depth=1
	s_or_b64 exec, exec, s[28:29]
.LBB181_11:                             ;   in Loop: Header=BB181_12 Depth=1
	s_or_b64 exec, exec, s[8:9]
	v_cmp_le_u32_e32 vcc, s33, v48
	s_or_b64 s[10:11], vcc, s[10:11]
	s_andn2_b64 exec, exec, s[10:11]
	s_cbranch_execz .LBB181_58
.LBB181_12:                             ; =>This Loop Header: Depth=1
                                        ;     Child Loop BB181_17 Depth 2
                                        ;       Child Loop BB181_22 Depth 3
                                        ;     Child Loop BB181_56 Depth 2
	s_and_b64 vcc, exec, s[2:3]
	v_mov_b32_e32 v3, v51
	v_mov_b32_e32 v2, v51
	v_mov_b32_e32 v1, v51
	v_mov_b32_e32 v0, v51
	s_waitcnt vmcnt(1)
	v_mov_b32_e32 v7, v51
	v_mov_b32_e32 v6, v51
	v_mov_b32_e32 v5, v51
	s_waitcnt vmcnt(0)
	v_mov_b32_e32 v4, v51
	v_mov_b32_e32 v11, v51
	;; [unrolled: 1-line block ×5, first 2 shown]
	s_cbranch_vccnz .LBB181_29
; %bb.13:                               ;   in Loop: Header=BB181_12 Depth=1
	v_min_u32_e32 v0, s42, v48
	v_mul_lo_u32 v50, v0, s21
	v_add_u32_e32 v0, 1, v48
	v_add_u32_e32 v2, 2, v48
	v_min_u32_e32 v0, s42, v0
	v_min_u32_e32 v2, s42, v2
	v_mul_lo_u32 v0, v0, s21
	v_mov_b32_e32 v1, v51
	v_mul_lo_u32 v2, v2, s21
	v_mov_b32_e32 v3, v51
	v_mov_b32_e32 v8, 0
	v_cmp_gt_u32_e64 s[6:7], s23, v48
	s_mov_b32 s34, 0
	v_lshlrev_b64 v[52:53], 1, v[50:51]
	v_lshlrev_b64 v[54:55], 1, v[0:1]
	;; [unrolled: 1-line block ×3, first 2 shown]
	s_mov_b32 s35, 0
	v_mov_b32_e32 v9, v8
	v_mov_b32_e32 v10, v8
	;; [unrolled: 1-line block ×11, first 2 shown]
	s_branch .LBB181_17
.LBB181_14:                             ;   in Loop: Header=BB181_17 Depth=2
	s_or_b64 exec, exec, s[30:31]
.LBB181_15:                             ;   in Loop: Header=BB181_17 Depth=2
	s_or_b64 exec, exec, s[28:29]
	s_waitcnt vmcnt(5) lgkmcnt(0)
	v_mfma_f32_4x4x4_16b_bf16 v[8:11], v[40:41], v[36:37], v[8:11]
	s_waitcnt vmcnt(4)
	v_mfma_f32_4x4x4_16b_bf16 v[4:7], v[40:41], v[28:29], v[4:7]
	s_waitcnt vmcnt(3)
	v_mfma_f32_4x4x4_16b_bf16 v[0:3], v[40:41], v[32:33], v[0:3]
	v_mfma_f32_4x4x4_16b_bf16 v[8:11], v[42:43], v[38:39], v[8:11]
	;; [unrolled: 1-line block ×4, first 2 shown]
	s_waitcnt vmcnt(2)
	v_mfma_f32_4x4x4_16b_bf16 v[8:11], v[24:25], v[20:21], v[8:11]
	s_waitcnt vmcnt(1)
	v_mfma_f32_4x4x4_16b_bf16 v[4:7], v[24:25], v[16:17], v[4:7]
	;; [unrolled: 2-line block ×3, first 2 shown]
	v_mfma_f32_4x4x4_16b_bf16 v[8:11], v[26:27], v[22:23], v[8:11]
	v_mfma_f32_4x4x4_16b_bf16 v[4:7], v[26:27], v[18:19], v[4:7]
	;; [unrolled: 1-line block ×3, first 2 shown]
.LBB181_16:                             ;   in Loop: Header=BB181_17 Depth=2
	s_or_b64 exec, exec, s[8:9]
	s_addk_i32 s35, 0x400
	s_cmp_ge_u32 s35, s20
	s_cbranch_scc1 .LBB181_29
.LBB181_17:                             ;   Parent Loop BB181_12 Depth=1
                                        ; =>  This Loop Header: Depth=2
                                        ;       Child Loop BB181_22 Depth 3
	s_cmp_eq_u32 s35, 0
	s_cselect_b64 s[8:9], -1, 0
	s_add_i32 s28, s34, s39
	s_cmp_eq_u32 s35, s28
	s_cselect_b64 s[30:31], -1, 0
	s_or_b64 s[30:31], s[8:9], s[30:31]
	s_andn2_b64 vcc, exec, s[30:31]
	s_cbranch_vccz .LBB181_19
; %bb.18:                               ;   in Loop: Header=BB181_17 Depth=2
	s_and_saveexec_b64 s[8:9], s[6:7]
	s_cbranch_execz .LBB181_16
	s_branch .LBB181_26
.LBB181_19:                             ;   in Loop: Header=BB181_17 Depth=2
	s_and_b64 s[8:9], s[8:9], exec
	s_cselect_b32 s34, s34, s28
	s_and_b64 vcc, exec, s[4:5]
	s_barrier
	s_cbranch_vccnz .LBB181_25
; %bb.20:                               ;   in Loop: Header=BB181_17 Depth=2
	v_add_u32_e32 v12, s34, v60
	s_mov_b32 s36, 0
	s_mov_b64 s[28:29], 0
	v_mov_b32_e32 v13, v59
                                        ; implicit-def: $sgpr30_sgpr31
	s_branch .LBB181_22
.LBB181_21:                             ;   in Loop: Header=BB181_22 Depth=3
	s_or_b64 exec, exec, s[8:9]
	s_and_b64 s[8:9], exec, s[30:31]
	s_or_b64 s[28:29], s[8:9], s[28:29]
	s_andn2_b64 exec, exec, s[28:29]
	s_cbranch_execz .LBB181_24
.LBB181_22:                             ;   Parent Loop BB181_12 Depth=1
                                        ;     Parent Loop BB181_17 Depth=2
                                        ; =>    This Inner Loop Header: Depth=3
	v_add_u32_e32 v14, s36, v60
	v_add_u32_e32 v50, s36, v12
	v_cmp_gt_u32_e32 vcc, s22, v50
	v_cmp_gt_u32_e64 s[8:9], s39, v14
	s_and_b64 s[48:49], s[8:9], vcc
	s_or_b64 s[30:31], s[30:31], exec
	s_and_saveexec_b64 s[8:9], s[48:49]
	s_cbranch_execz .LBB181_21
; %bb.23:                               ;   in Loop: Header=BB181_22 Depth=3
	v_lshl_add_u64 v[14:15], v[50:51], 1, s[14:15]
	global_load_dwordx4 v[14:17], v[14:15], off
	s_add_i32 s36, s36, s40
	s_cmp_ge_u32 s36, s39
	s_cselect_b64 s[48:49], -1, 0
	s_andn2_b64 s[30:31], s[30:31], exec
	s_and_b64 s[48:49], s[48:49], exec
	s_or_b64 s[30:31], s[30:31], s[48:49]
	s_waitcnt vmcnt(0)
	ds_write_b128 v13, v[14:17]
	v_add_u32_e32 v13, s45, v13
	s_branch .LBB181_21
.LBB181_24:                             ;   in Loop: Header=BB181_17 Depth=2
	s_or_b64 exec, exec, s[28:29]
.LBB181_25:                             ;   in Loop: Header=BB181_17 Depth=2
	s_waitcnt lgkmcnt(0)
	s_barrier
	s_and_saveexec_b64 s[8:9], s[6:7]
	s_cbranch_execz .LBB181_16
.LBB181_26:                             ;   in Loop: Header=BB181_17 Depth=2
	v_add_u32_e32 v49, s35, v47
	v_min_u32_e32 v50, s41, v49
	v_lshl_add_u64 v[12:13], v[50:51], 1, s[12:13]
	v_add_u32_e32 v61, 0x200, v49
	v_lshl_add_u64 v[14:15], v[12:13], 0, v[52:53]
	v_min_u32_e32 v50, s41, v61
	v_lshl_add_u64 v[16:17], v[12:13], 0, v[54:55]
	global_load_dwordx4 v[36:39], v[14:15], off nt
	global_load_dwordx4 v[28:31], v[16:17], off nt
	v_lshl_add_u64 v[14:15], v[50:51], 1, s[12:13]
	v_lshl_add_u64 v[12:13], v[12:13], 0, v[56:57]
	;; [unrolled: 1-line block ×4, first 2 shown]
	global_load_dwordx4 v[32:35], v[12:13], off nt
	global_load_dwordx4 v[20:23], v[16:17], off nt
	v_lshl_add_u64 v[26:27], v[14:15], 0, v[56:57]
	global_load_dwordx4 v[16:19], v[24:25], off nt
	global_load_dwordx4 v[12:15], v[26:27], off nt
	v_cmp_gt_u32_e32 vcc, s20, v49
	v_mov_b32_e32 v40, 0
	v_mov_b32_e32 v41, 0
	;; [unrolled: 1-line block ×8, first 2 shown]
	s_and_saveexec_b64 s[28:29], vcc
	s_cbranch_execz .LBB181_15
; %bb.27:                               ;   in Loop: Header=BB181_17 Depth=2
	v_subrev_u32_e32 v24, s34, v49
	v_lshlrev_b32_e32 v49, 1, v24
	ds_read_b128 v[40:43], v49
	v_cmp_gt_u32_e32 vcc, s20, v61
	v_mov_b32_e32 v27, 0
	v_mov_b32_e32 v26, 0
	;; [unrolled: 1-line block ×4, first 2 shown]
	s_and_saveexec_b64 s[30:31], vcc
	s_cbranch_execz .LBB181_14
; %bb.28:                               ;   in Loop: Header=BB181_17 Depth=2
	ds_read_b128 v[24:27], v49 offset:1024
	s_branch .LBB181_14
.LBB181_29:                             ;   in Loop: Header=BB181_12 Depth=1
	v_cmp_le_u32_e32 vcc, s23, v48
	s_and_saveexec_b64 s[6:7], vcc
	s_xor_b64 s[6:7], exec, s[6:7]
; %bb.30:                               ;   in Loop: Header=BB181_12 Depth=1
	v_add_u32_e32 v48, s43, v48
                                        ; implicit-def: $vgpr3
                                        ; implicit-def: $vgpr7
                                        ; implicit-def: $vgpr11
; %bb.31:                               ;   in Loop: Header=BB181_12 Depth=1
	s_andn2_saveexec_b64 s[8:9], s[6:7]
	s_cbranch_execz .LBB181_11
; %bb.32:                               ;   in Loop: Header=BB181_12 Depth=1
	v_cvt_i32_f32_e32 v9, v9
	v_cvt_i32_f32_e32 v10, v10
	;; [unrolled: 1-line block ×4, first 2 shown]
	v_cvt_f32_i32_dpp v9, v9 row_shl:1 row_mask:0xf bank_mask:0xf bound_ctrl:1
	v_cvt_i32_f32_e32 v1, v1
	v_cvt_f32_i32_dpp v10, v10 row_shl:2 row_mask:0xf bank_mask:0xf bound_ctrl:1
	v_cvt_i32_f32_e32 v6, v6
	v_cvt_i32_f32_e32 v2, v2
	v_cvt_f32_i32_dpp v11, v11 row_shl:3 row_mask:0xf bank_mask:0xf bound_ctrl:1
	v_cvt_i32_f32_e32 v7, v7
	v_cvt_i32_f32_e32 v3, v3
	v_add_f32_e32 v8, v8, v9
	v_cvt_f32_i32_dpp v5, v5 row_shl:1 row_mask:0xf bank_mask:0xf bound_ctrl:1
	v_cvt_f32_i32_dpp v1, v1 row_shl:1 row_mask:0xf bank_mask:0xf bound_ctrl:1
	v_add_f32_e32 v8, v8, v10
	v_cvt_f32_i32_dpp v6, v6 row_shl:2 row_mask:0xf bank_mask:0xf bound_ctrl:1
	v_cvt_f32_i32_dpp v2, v2 row_shl:2 row_mask:0xf bank_mask:0xf bound_ctrl:1
	;; [unrolled: 3-line block ×3, first 2 shown]
	v_cvt_i32_f32_e32 v9, v8
	v_add_f32_e32 v4, v4, v5
	v_add_f32_e32 v0, v0, v1
	;; [unrolled: 1-line block ×6, first 2 shown]
	v_cvt_f32_i32_dpp v9, v9 row_shl:4 row_mask:0xf bank_mask:0xf bound_ctrl:1
	v_cvt_i32_f32_e32 v7, v4
	v_cvt_i32_f32_e32 v1, v0
	v_add_f32_e32 v5, v8, v9
	v_cvt_f32_i32_dpp v3, v7 row_shl:4 row_mask:0xf bank_mask:0xf bound_ctrl:1
	v_cvt_f32_i32_dpp v1, v1 row_shl:4 row_mask:0xf bank_mask:0xf bound_ctrl:1
	v_cvt_i32_f32_e32 v6, v5
	v_add_f32_e32 v3, v4, v3
	v_add_f32_e32 v0, v0, v1
	v_cvt_f32_i32_dpp v2, v6 row_shl:8 row_mask:0xf bank_mask:0xf bound_ctrl:1
	v_cvt_i32_f32_e32 v4, v3
	v_cvt_i32_f32_e32 v1, v0
	v_add_f32_e32 v2, v5, v2
	v_cvt_f32_i32_dpp v4, v4 row_shl:8 row_mask:0xf bank_mask:0xf bound_ctrl:1
	v_cvt_f32_i32_dpp v1, v1 row_shl:8 row_mask:0xf bank_mask:0xf bound_ctrl:1
	v_cvt_i32_f32_e32 v2, v2
	v_add_f32_e32 v3, v3, v4
	v_add_f32_e32 v0, v0, v1
	v_cvt_f32_i32_dpp v2, v2 row_shr:15 row_mask:0xf bank_mask:0xf bound_ctrl:1
	v_cvt_i32_f32_e32 v3, v3
	v_cvt_i32_f32_e32 v0, v0
	s_nop 0
	v_cvt_f32_i32_dpp v1, v3 row_shr:15 row_mask:0xf bank_mask:0xf bound_ctrl:1
	v_cvt_i32_f32_e32 v3, v2
	v_cvt_f32_i32_dpp v0, v0 row_shr:15 row_mask:0xf bank_mask:0xf bound_ctrl:1
	v_cvt_i32_f32_e32 v4, v1
	v_cvt_f32_i32_dpp v3, v3 row_bcast:15 row_mask:0xf bank_mask:0xf bound_ctrl:1
	v_cvt_i32_f32_e32 v6, v0
	v_cvt_f32_i32_dpp v4, v4 row_bcast:15 row_mask:0xf bank_mask:0xf bound_ctrl:1
	v_add_f32_e32 v5, v2, v3
	v_cvt_f32_i32_dpp v3, v6 row_bcast:15 row_mask:0xf bank_mask:0xf bound_ctrl:1
	v_cvt_i32_f32_e32 v6, v5
	v_add_f32_e32 v2, v1, v4
	v_cvt_i32_f32_e32 v1, v2
	v_add_f32_e32 v0, v0, v3
	v_cvt_i32_f32_e32 v4, v0
	v_mov_b32_dpp v6, v6 row_bcast:31 row_mask:0xf bank_mask:0xf bound_ctrl:1
	v_mov_b32_dpp v3, v1 row_bcast:31 row_mask:0xf bank_mask:0xf bound_ctrl:1
	;; [unrolled: 1-line block ×3, first 2 shown]
	s_and_saveexec_b64 s[6:7], s[0:1]
	s_cbranch_execz .LBB181_53
; %bb.33:                               ;   in Loop: Header=BB181_12 Depth=1
	s_andn2_b64 vcc, exec, s[24:25]
	v_mov_b32_e32 v8, 0
	v_add_u32_e32 v50, 2, v48
	v_mov_b32_e32 v7, 0
	v_mov_b32_e32 v4, 0
	s_cbranch_vccnz .LBB181_35
; %bb.34:                               ;   in Loop: Header=BB181_12 Depth=1
	v_mul_hi_u32 v4, v48, v58
	v_mul_lo_u32 v4, v4, s38
	v_sub_u32_e32 v4, v48, v4
	v_subrev_u32_e32 v7, s38, v4
	v_cmp_le_u32_e32 vcc, s38, v4
	v_mov_b32_e32 v9, v51
	s_nop 0
	v_cndmask_b32_e32 v4, v4, v7, vcc
	v_subrev_u32_e32 v7, s38, v4
	v_cmp_le_u32_e32 vcc, s38, v4
	s_nop 1
	v_cndmask_b32_e32 v8, v4, v7, vcc
	v_add_u32_e32 v4, 1, v48
	v_mul_hi_u32 v7, v4, v58
	v_mul_lo_u32 v7, v7, s38
	v_sub_u32_e32 v4, v4, v7
	v_subrev_u32_e32 v7, s38, v4
	v_cmp_le_u32_e32 vcc, s38, v4
	v_lshl_add_u64 v[10:11], v[8:9], 1, s[16:17]
	s_nop 0
	v_cndmask_b32_e32 v4, v4, v7, vcc
	v_subrev_u32_e32 v7, s38, v4
	v_cmp_le_u32_e32 vcc, s38, v4
	s_nop 1
	v_cndmask_b32_e32 v8, v4, v7, vcc
	v_mul_hi_u32 v4, v50, v58
	v_mul_lo_u32 v4, v4, s38
	v_sub_u32_e32 v4, v50, v4
	v_subrev_u32_e32 v7, s38, v4
	v_cmp_le_u32_e32 vcc, s38, v4
	v_lshl_add_u64 v[12:13], v[8:9], 1, s[16:17]
	s_nop 0
	v_cndmask_b32_e32 v4, v4, v7, vcc
	v_subrev_u32_e32 v7, s38, v4
	v_cmp_le_u32_e32 vcc, s38, v4
	s_nop 1
	v_cndmask_b32_e32 v8, v4, v7, vcc
	v_lshl_add_u64 v[14:15], v[8:9], 1, s[16:17]
	global_load_ushort v8, v[10:11], off
	global_load_ushort v7, v[12:13], off
	;; [unrolled: 1-line block ×3, first 2 shown]
.LBB181_35:                             ;   in Loop: Header=BB181_12 Depth=1
	v_cmp_ne_u32_e32 vcc, 0, v44
	s_and_saveexec_b64 s[28:29], vcc
	s_cbranch_execnz .LBB181_38
; %bb.36:                               ;   in Loop: Header=BB181_12 Depth=1
	s_or_b64 exec, exec, s[28:29]
	v_cmp_ne_u32_e32 vcc, 0, v45
	s_and_saveexec_b64 s[28:29], vcc
	s_cbranch_execnz .LBB181_43
.LBB181_37:                             ;   in Loop: Header=BB181_12 Depth=1
	s_or_b64 exec, exec, s[28:29]
	v_cmp_ne_u32_e32 vcc, 0, v46
	s_and_b64 exec, exec, vcc
	s_cbranch_execnz .LBB181_48
	s_branch .LBB181_53
.LBB181_38:                             ;   in Loop: Header=BB181_12 Depth=1
	v_cvt_f32_i32_e32 v6, v6
	v_add_f32_e32 v5, v5, v6
	s_waitcnt vmcnt(2)
	v_lshlrev_b32_e32 v6, 16, v8
	v_add_f32_e32 v6, v5, v6
	v_and_b32_e32 v5, 0x7f800000, v6
	v_cmp_ne_u32_e32 vcc, s46, v5
                                        ; implicit-def: $vgpr5
	s_and_saveexec_b64 s[30:31], vcc
	s_xor_b64 s[30:31], exec, s[30:31]
; %bb.39:                               ;   in Loop: Header=BB181_12 Depth=1
	v_bfe_u32 v5, v6, 16, 1
	v_add3_u32 v5, v6, v5, s47
                                        ; implicit-def: $vgpr6
; %bb.40:                               ;   in Loop: Header=BB181_12 Depth=1
	s_andn2_saveexec_b64 s[30:31], s[30:31]
; %bb.41:                               ;   in Loop: Header=BB181_12 Depth=1
	v_or_b32_e32 v5, 0x10000, v6
	v_cmp_eq_u32_sdwa vcc, v6, v51 src0_sel:WORD_0 src1_sel:DWORD
	s_nop 1
	v_cndmask_b32_e32 v5, v5, v6, vcc
; %bb.42:                               ;   in Loop: Header=BB181_12 Depth=1
	s_or_b64 exec, exec, s[30:31]
	v_mov_b32_e32 v49, v51
	v_lshl_add_u64 v[8:9], v[48:49], 1, s[18:19]
	global_store_short_d16_hi v[8:9], v5, off
	s_or_b64 exec, exec, s[28:29]
	v_cmp_ne_u32_e32 vcc, 0, v45
	s_and_saveexec_b64 s[28:29], vcc
	s_cbranch_execz .LBB181_37
.LBB181_43:                             ;   in Loop: Header=BB181_12 Depth=1
	v_cvt_f32_i32_e32 v3, v3
	v_add_f32_e32 v2, v2, v3
	s_waitcnt vmcnt(1)
	v_lshlrev_b32_e32 v3, 16, v7
	v_add_f32_e32 v3, v2, v3
	v_and_b32_e32 v2, 0x7f800000, v3
	v_cmp_ne_u32_e32 vcc, s46, v2
                                        ; implicit-def: $vgpr2
	s_and_saveexec_b64 s[30:31], vcc
	s_xor_b64 s[30:31], exec, s[30:31]
; %bb.44:                               ;   in Loop: Header=BB181_12 Depth=1
	v_bfe_u32 v2, v3, 16, 1
	v_add3_u32 v2, v3, v2, s47
                                        ; implicit-def: $vgpr3
; %bb.45:                               ;   in Loop: Header=BB181_12 Depth=1
	s_andn2_saveexec_b64 s[30:31], s[30:31]
; %bb.46:                               ;   in Loop: Header=BB181_12 Depth=1
	v_or_b32_e32 v2, 0x10000, v3
	v_cmp_eq_u32_sdwa vcc, v3, v51 src0_sel:WORD_0 src1_sel:DWORD
	s_nop 1
	v_cndmask_b32_e32 v2, v2, v3, vcc
; %bb.47:                               ;   in Loop: Header=BB181_12 Depth=1
	s_or_b64 exec, exec, s[30:31]
	v_mov_b32_e32 v49, v51
	v_lshl_add_u64 v[6:7], v[48:49], 1, s[26:27]
	global_store_short_d16_hi v[6:7], v2, off
	s_or_b64 exec, exec, s[28:29]
	v_cmp_ne_u32_e32 vcc, 0, v46
	s_and_b64 exec, exec, vcc
	s_cbranch_execz .LBB181_53
.LBB181_48:                             ;   in Loop: Header=BB181_12 Depth=1
	v_cvt_f32_i32_e32 v1, v1
	v_add_f32_e32 v0, v0, v1
	s_waitcnt vmcnt(0)
	v_lshlrev_b32_e32 v1, 16, v4
	v_add_f32_e32 v1, v0, v1
	v_and_b32_e32 v0, 0x7f800000, v1
	v_cmp_ne_u32_e32 vcc, s46, v0
                                        ; implicit-def: $vgpr0
	s_and_saveexec_b64 s[28:29], vcc
	s_xor_b64 s[28:29], exec, s[28:29]
; %bb.49:                               ;   in Loop: Header=BB181_12 Depth=1
	v_bfe_u32 v0, v1, 16, 1
	v_add3_u32 v0, v1, v0, s47
                                        ; implicit-def: $vgpr1
; %bb.50:                               ;   in Loop: Header=BB181_12 Depth=1
	s_andn2_saveexec_b64 s[28:29], s[28:29]
; %bb.51:                               ;   in Loop: Header=BB181_12 Depth=1
	v_or_b32_e32 v0, 0x10000, v1
	v_cmp_eq_u32_sdwa vcc, v1, v51 src0_sel:WORD_0 src1_sel:DWORD
	s_nop 1
	v_cndmask_b32_e32 v0, v0, v1, vcc
; %bb.52:                               ;   in Loop: Header=BB181_12 Depth=1
	s_or_b64 exec, exec, s[28:29]
	v_lshl_add_u64 v[2:3], v[50:51], 1, s[18:19]
	global_store_short_d16_hi v[2:3], v0, off
.LBB181_53:                             ;   in Loop: Header=BB181_12 Depth=1
	s_or_b64 exec, exec, s[6:7]
	v_add_u32_e32 v48, s43, v48
	v_add_u32_e32 v0, 3, v48
	v_cmp_gt_u32_e32 vcc, s23, v48
	v_cmp_le_u32_e64 s[6:7], s23, v0
	s_and_b64 s[6:7], vcc, s[6:7]
	s_and_saveexec_b64 s[28:29], s[6:7]
	s_cbranch_execz .LBB181_10
; %bb.54:                               ;   in Loop: Header=BB181_12 Depth=1
	v_cmp_ne_u32_e32 vcc, s44, v48
	s_and_saveexec_b64 s[30:31], vcc
	s_cbranch_execz .LBB181_9
; %bb.55:                               ;   in Loop: Header=BB181_12 Depth=1
	v_subrev_u32_e32 v0, s44, v48
	v_cmp_lt_u32_e32 vcc, 1, v0
	s_mov_b64 s[34:35], 0
	s_mov_b64 s[36:37], 0
	v_cndmask_b32_e32 v0, 1, v0, vcc
.LBB181_56:                             ;   Parent Loop BB181_12 Depth=1
                                        ; =>  This Inner Loop Header: Depth=2
	s_cmp_lg_u32 s36, 2
	s_cselect_b64 vcc, -1, 0
	s_cmp_lg_u32 s36, 1
	v_cndmask_b32_e32 v46, 0, v46, vcc
	s_cselect_b64 vcc, -1, 0
	s_cmp_lg_u32 s36, 0
	v_cndmask_b32_e32 v45, 0, v45, vcc
	s_cselect_b64 vcc, -1, 0
	s_add_u32 s36, s36, 1
	s_addc_u32 s37, s37, 0
	v_cmp_eq_u32_e64 s[6:7], s36, v0
	s_or_b64 s[34:35], s[6:7], s[34:35]
	v_cndmask_b32_e32 v44, 0, v44, vcc
	s_andn2_b64 exec, exec, s[34:35]
	s_cbranch_execnz .LBB181_56
; %bb.57:                               ;   in Loop: Header=BB181_12 Depth=1
	s_or_b64 exec, exec, s[34:35]
	s_branch .LBB181_9
.LBB181_58:
	s_endpgm
	.section	.rodata,"a",@progbits
	.p2align	6, 0x0
	.amdhsa_kernel _Z16wvSplitK_hf_big_I14__hip_bfloat16Li64ELi3ELi16ELi8ELi2ELi1EEviiiiiiPKT_S3_S3_PS1_ii
		.amdhsa_group_segment_fixed_size 65536
		.amdhsa_private_segment_fixed_size 0
		.amdhsa_kernarg_size 64
		.amdhsa_user_sgpr_count 2
		.amdhsa_user_sgpr_dispatch_ptr 0
		.amdhsa_user_sgpr_queue_ptr 0
		.amdhsa_user_sgpr_kernarg_segment_ptr 1
		.amdhsa_user_sgpr_dispatch_id 0
		.amdhsa_user_sgpr_kernarg_preload_length 0
		.amdhsa_user_sgpr_kernarg_preload_offset 0
		.amdhsa_user_sgpr_private_segment_size 0
		.amdhsa_uses_dynamic_stack 0
		.amdhsa_enable_private_segment 0
		.amdhsa_system_sgpr_workgroup_id_x 1
		.amdhsa_system_sgpr_workgroup_id_y 0
		.amdhsa_system_sgpr_workgroup_id_z 0
		.amdhsa_system_sgpr_workgroup_info 0
		.amdhsa_system_vgpr_workitem_id 1
		.amdhsa_next_free_vgpr 62
		.amdhsa_next_free_sgpr 50
		.amdhsa_accum_offset 64
		.amdhsa_reserve_vcc 1
		.amdhsa_float_round_mode_32 0
		.amdhsa_float_round_mode_16_64 0
		.amdhsa_float_denorm_mode_32 3
		.amdhsa_float_denorm_mode_16_64 3
		.amdhsa_dx10_clamp 1
		.amdhsa_ieee_mode 1
		.amdhsa_fp16_overflow 0
		.amdhsa_tg_split 0
		.amdhsa_exception_fp_ieee_invalid_op 0
		.amdhsa_exception_fp_denorm_src 0
		.amdhsa_exception_fp_ieee_div_zero 0
		.amdhsa_exception_fp_ieee_overflow 0
		.amdhsa_exception_fp_ieee_underflow 0
		.amdhsa_exception_fp_ieee_inexact 0
		.amdhsa_exception_int_div_zero 0
	.end_amdhsa_kernel
	.section	.text._Z16wvSplitK_hf_big_I14__hip_bfloat16Li64ELi3ELi16ELi8ELi2ELi1EEviiiiiiPKT_S3_S3_PS1_ii,"axG",@progbits,_Z16wvSplitK_hf_big_I14__hip_bfloat16Li64ELi3ELi16ELi8ELi2ELi1EEviiiiiiPKT_S3_S3_PS1_ii,comdat
.Lfunc_end181:
	.size	_Z16wvSplitK_hf_big_I14__hip_bfloat16Li64ELi3ELi16ELi8ELi2ELi1EEviiiiiiPKT_S3_S3_PS1_ii, .Lfunc_end181-_Z16wvSplitK_hf_big_I14__hip_bfloat16Li64ELi3ELi16ELi8ELi2ELi1EEviiiiiiPKT_S3_S3_PS1_ii
                                        ; -- End function
	.section	.AMDGPU.csdata,"",@progbits
; Kernel info:
; codeLenInByte = 2616
; NumSgprs: 56
; NumVgprs: 62
; NumAgprs: 0
; TotalNumVgprs: 62
; ScratchSize: 0
; MemoryBound: 0
; FloatMode: 240
; IeeeMode: 1
; LDSByteSize: 65536 bytes/workgroup (compile time only)
; SGPRBlocks: 6
; VGPRBlocks: 7
; NumSGPRsForWavesPerEU: 56
; NumVGPRsForWavesPerEU: 62
; AccumOffset: 64
; Occupancy: 4
; WaveLimiterHint : 0
; COMPUTE_PGM_RSRC2:SCRATCH_EN: 0
; COMPUTE_PGM_RSRC2:USER_SGPR: 2
; COMPUTE_PGM_RSRC2:TRAP_HANDLER: 0
; COMPUTE_PGM_RSRC2:TGID_X_EN: 1
; COMPUTE_PGM_RSRC2:TGID_Y_EN: 0
; COMPUTE_PGM_RSRC2:TGID_Z_EN: 0
; COMPUTE_PGM_RSRC2:TIDIG_COMP_CNT: 1
; COMPUTE_PGM_RSRC3_GFX90A:ACCUM_OFFSET: 15
; COMPUTE_PGM_RSRC3_GFX90A:TG_SPLIT: 0
	.section	.text._Z16wvSplitK_hf_sml_I14__hip_bfloat16Li64ELi4ELi16ELi8ELi1ELi1EEviiiiiiPKT_S3_S3_PS1_ii,"axG",@progbits,_Z16wvSplitK_hf_sml_I14__hip_bfloat16Li64ELi4ELi16ELi8ELi1ELi1EEviiiiiiPKT_S3_S3_PS1_ii,comdat
	.protected	_Z16wvSplitK_hf_sml_I14__hip_bfloat16Li64ELi4ELi16ELi8ELi1ELi1EEviiiiiiPKT_S3_S3_PS1_ii ; -- Begin function _Z16wvSplitK_hf_sml_I14__hip_bfloat16Li64ELi4ELi16ELi8ELi1ELi1EEviiiiiiPKT_S3_S3_PS1_ii
	.globl	_Z16wvSplitK_hf_sml_I14__hip_bfloat16Li64ELi4ELi16ELi8ELi1ELi1EEviiiiiiPKT_S3_S3_PS1_ii
	.p2align	8
	.type	_Z16wvSplitK_hf_sml_I14__hip_bfloat16Li64ELi4ELi16ELi8ELi1ELi1EEviiiiiiPKT_S3_S3_PS1_ii,@function
_Z16wvSplitK_hf_sml_I14__hip_bfloat16Li64ELi4ELi16ELi8ELi1ELi1EEviiiiiiPKT_S3_S3_PS1_ii: ; @_Z16wvSplitK_hf_sml_I14__hip_bfloat16Li64ELi4ELi16ELi8ELi1ELi1EEviiiiiiPKT_S3_S3_PS1_ii
; %bb.0:
	s_load_dwordx4 s[4:7], s[0:1], 0x0
	s_load_dword s22, s[0:1], 0x10
	s_load_dwordx2 s[8:9], s[0:1], 0x28
	v_and_b32_e32 v2, 0x3ff, v0
	v_bfe_u32 v3, v0, 10, 10
	v_lshlrev_b32_e32 v48, 3, v2
	v_lshl_add_u32 v4, v3, 9, v48
	s_waitcnt lgkmcnt(0)
	s_min_u32 s3, s6, 0x8000
	v_cmp_gt_u32_e32 vcc, s3, v4
	s_and_saveexec_b64 s[10:11], vcc
	s_cbranch_execz .LBB182_3
; %bb.1:
	s_load_dwordx2 s[12:13], s[0:1], 0x20
	v_mov_b32_e32 v7, 0
	v_lshlrev_b32_e32 v6, 10, v3
	v_lshlrev_b32_e32 v8, 4, v2
	v_mov_b32_e32 v9, v7
	v_lshl_add_u64 v[0:1], v[6:7], 0, v[8:9]
	s_waitcnt lgkmcnt(0)
	v_lshl_add_u64 v[0:1], s[12:13], 0, v[0:1]
	v_add_u32_e32 v5, v6, v8
	s_mov_b64 s[12:13], 0
	s_mov_b64 s[14:15], 0x4000
.LBB182_2:                              ; =>This Inner Loop Header: Depth=1
	global_load_dwordx4 v[6:9], v[0:1], off
	v_add_u32_e32 v4, 0x2000, v4
	v_cmp_le_u32_e32 vcc, s3, v4
	v_lshl_add_u64 v[0:1], v[0:1], 0, s[14:15]
	s_or_b64 s[12:13], vcc, s[12:13]
	s_waitcnt vmcnt(0)
	ds_write_b128 v5, v[6:9]
	v_add_u32_e32 v5, 0x4000, v5
	s_andn2_b64 exec, exec, s[12:13]
	s_cbranch_execnz .LBB182_2
.LBB182_3:
	s_or_b64 exec, exec, s[10:11]
	s_load_dwordx2 s[14:15], s[0:1], 0x38
	s_waitcnt lgkmcnt(0)
	s_barrier
	v_cmp_gt_u32_e32 vcc, s14, v3
	s_and_saveexec_b64 s[10:11], vcc
	s_cbranch_execz .LBB182_32
; %bb.4:
	s_mul_i32 s2, s2, s14
	v_add_lshl_u32 v36, s2, v3, 2
	v_cmp_gt_u32_e32 vcc, s7, v36
	s_and_b64 exec, exec, vcc
	s_cbranch_execz .LBB182_32
; %bb.5:
	v_cvt_f32_u32_e32 v0, s22
	s_cmp_lg_u32 s4, 0
	s_cselect_b64 s[2:3], -1, 0
	s_add_i32 s6, s4, -8
	v_rcp_iflag_f32_e32 v0, v0
	s_add_i32 s23, s7, -1
	s_mul_i32 s18, s14, s15
	s_cmp_lg_u64 s[8:9], 0
	v_mul_f32_e32 v0, 0x4f7ffffe, v0
	v_cvt_u32_f32_e32 v0, v0
	s_load_dwordx2 s[10:11], s[0:1], 0x18
	s_load_dwordx2 s[12:13], s[0:1], 0x30
	s_cselect_b64 s[16:17], -1, 0
	s_lshl_b32 s24, s18, 2
	s_sub_i32 s18, 0, s22
	v_mul_lo_u32 v1, s18, v0
	v_mul_hi_u32 v1, v0, v1
	v_add_u32_e32 v49, v0, v1
	v_cndmask_b32_e64 v0, 0, 1, s[2:3]
	v_cmp_eq_u32_e64 s[0:1], 63, v2
	s_mov_b64 s[14:15], 0
	v_mov_b32_e32 v39, 0
	v_lshlrev_b32_e32 v50, 4, v2
	v_cmp_ne_u32_e64 s[2:3], 1, v0
	s_mov_b32 s25, 0x7f800000
	s_movk_i32 s26, 0x7fff
	s_branch .LBB182_8
.LBB182_6:                              ;   in Loop: Header=BB182_8 Depth=1
	s_or_b64 exec, exec, s[20:21]
	global_store_short_d16_hi v[0:1], v3, off offset:6
.LBB182_7:                              ;   in Loop: Header=BB182_8 Depth=1
	s_or_b64 exec, exec, s[18:19]
	v_add_u32_e32 v36, s24, v36
	v_cmp_le_u32_e32 vcc, s7, v36
	s_or_b64 s[14:15], vcc, s[14:15]
	s_andn2_b64 exec, exec, s[14:15]
	s_cbranch_execz .LBB182_32
.LBB182_8:                              ; =>This Loop Header: Depth=1
                                        ;     Child Loop BB182_11 Depth 2
	s_and_b64 vcc, exec, s[2:3]
	v_mov_b32_e32 v3, v39
	v_mov_b32_e32 v2, v39
	;; [unrolled: 1-line block ×16, first 2 shown]
	s_cbranch_vccnz .LBB182_13
; %bb.9:                                ;   in Loop: Header=BB182_8 Depth=1
	v_min_u32_e32 v0, s23, v36
	v_mul_lo_u32 v40, v0, s5
	v_or_b32_e32 v0, 1, v36
	v_min_u32_e32 v0, s23, v0
	v_mul_lo_u32 v42, v0, s5
	v_or_b32_e32 v0, 2, v36
	;; [unrolled: 3-line block ×3, first 2 shown]
	v_min_u32_e32 v0, s23, v0
	v_mov_b32_e32 v12, 0
	v_mov_b32_e32 v41, v39
	;; [unrolled: 1-line block ×4, first 2 shown]
	v_mul_lo_u32 v46, v0, s5
	v_mov_b32_e32 v47, v39
	s_mov_b32 s20, 0
	v_mov_b32_e32 v37, v50
	v_mov_b32_e32 v13, v12
	;; [unrolled: 1-line block ×16, first 2 shown]
	s_branch .LBB182_11
.LBB182_10:                             ;   in Loop: Header=BB182_11 Depth=2
	s_or_b64 exec, exec, s[18:19]
	s_waitcnt vmcnt(3) lgkmcnt(0)
	v_mfma_f32_4x4x4_16b_bf16 v[12:15], v[20:21], v[32:33], v[12:15]
	s_addk_i32 s20, 0x200
	s_waitcnt vmcnt(2)
	v_mfma_f32_4x4x4_16b_bf16 v[8:11], v[20:21], v[28:29], v[8:11]
	v_add_u32_e32 v37, 0x400, v37
	s_waitcnt vmcnt(1)
	v_mfma_f32_4x4x4_16b_bf16 v[4:7], v[20:21], v[24:25], v[4:7]
	s_cmp_ge_u32 s20, s4
	s_waitcnt vmcnt(0)
	v_mfma_f32_4x4x4_16b_bf16 v[0:3], v[20:21], v[16:17], v[0:3]
	v_mfma_f32_4x4x4_16b_bf16 v[12:15], v[22:23], v[34:35], v[12:15]
	;; [unrolled: 1-line block ×5, first 2 shown]
	s_cbranch_scc1 .LBB182_13
.LBB182_11:                             ;   Parent Loop BB182_8 Depth=1
                                        ; =>  This Inner Loop Header: Depth=2
	v_add_u32_e32 v51, s20, v48
	v_min_u32_e32 v38, s6, v51
	s_waitcnt lgkmcnt(0)
	v_lshl_add_u64 v[16:17], v[38:39], 1, s[10:11]
	v_lshl_add_u64 v[18:19], v[40:41], 1, v[16:17]
	;; [unrolled: 1-line block ×3, first 2 shown]
	global_load_dwordx4 v[32:35], v[18:19], off nt
	global_load_dwordx4 v[28:31], v[20:21], off nt
	v_lshl_add_u64 v[20:21], v[44:45], 1, v[16:17]
	v_lshl_add_u64 v[22:23], v[46:47], 1, v[16:17]
	global_load_dwordx4 v[24:27], v[20:21], off nt
	global_load_dwordx4 v[16:19], v[22:23], off nt
	v_cmp_gt_u32_e32 vcc, s4, v51
	v_mov_b32_e32 v22, 0
	v_mov_b32_e32 v23, 0
	;; [unrolled: 1-line block ×4, first 2 shown]
	s_and_saveexec_b64 s[18:19], vcc
	s_cbranch_execz .LBB182_10
; %bb.12:                               ;   in Loop: Header=BB182_11 Depth=2
	ds_read_b128 v[20:23], v37
	s_branch .LBB182_10
.LBB182_13:                             ;   in Loop: Header=BB182_8 Depth=1
	; sched_barrier mask(0x00000000)
	s_nop 0
	v_cvt_i32_f32_e32 v13, v13
	v_cvt_i32_f32_e32 v14, v14
	;; [unrolled: 1-line block ×4, first 2 shown]
	v_cvt_f32_i32_dpp v13, v13 row_shl:1 row_mask:0xf bank_mask:0xf bound_ctrl:1
	v_cvt_f32_i32_dpp v14, v14 row_shl:2 row_mask:0xf bank_mask:0xf bound_ctrl:1
	v_cvt_i32_f32_e32 v10, v10
	v_cvt_f32_i32_dpp v15, v15 row_shl:3 row_mask:0xf bank_mask:0xf bound_ctrl:1
	v_cvt_i32_f32_e32 v11, v11
	v_cvt_i32_f32_e32 v5, v5
	v_add_f32_e32 v12, v12, v13
	v_cvt_f32_i32_dpp v9, v9 row_shl:1 row_mask:0xf bank_mask:0xf bound_ctrl:1
	v_cvt_i32_f32_e32 v1, v1
	v_add_f32_e32 v12, v12, v14
	v_cvt_f32_i32_dpp v10, v10 row_shl:2 row_mask:0xf bank_mask:0xf bound_ctrl:1
	v_cvt_i32_f32_e32 v6, v6
	v_cvt_i32_f32_e32 v2, v2
	v_add_f32_e32 v12, v12, v15
	v_cvt_f32_i32_dpp v11, v11 row_shl:3 row_mask:0xf bank_mask:0xf bound_ctrl:1
	v_cvt_f32_i32_dpp v5, v5 row_shl:1 row_mask:0xf bank_mask:0xf bound_ctrl:1
	v_cvt_i32_f32_e32 v7, v7
	v_cvt_i32_f32_e32 v3, v3
	;; [unrolled: 1-line block ×3, first 2 shown]
	v_add_f32_e32 v8, v8, v9
	v_cvt_f32_i32_dpp v1, v1 row_shl:1 row_mask:0xf bank_mask:0xf bound_ctrl:1
	v_add_f32_e32 v8, v8, v10
	v_cvt_f32_i32_dpp v6, v6 row_shl:2 row_mask:0xf bank_mask:0xf bound_ctrl:1
	v_cvt_f32_i32_dpp v2, v2 row_shl:2 row_mask:0xf bank_mask:0xf bound_ctrl:1
	v_add_f32_e32 v8, v8, v11
	v_add_f32_e32 v4, v4, v5
	v_cvt_f32_i32_dpp v5, v7 row_shl:3 row_mask:0xf bank_mask:0xf bound_ctrl:1
	v_cvt_f32_i32_dpp v3, v3 row_shl:3 row_mask:0xf bank_mask:0xf bound_ctrl:1
	;; [unrolled: 1-line block ×3, first 2 shown]
	v_cvt_i32_f32_e32 v10, v8
	v_add_f32_e32 v0, v0, v1
	v_add_f32_e32 v4, v4, v6
	;; [unrolled: 1-line block ×6, first 2 shown]
	v_cvt_f32_i32_dpp v10, v10 row_shl:4 row_mask:0xf bank_mask:0xf bound_ctrl:1
	v_cvt_i32_f32_e32 v5, v4
	v_cvt_i32_f32_e32 v1, v0
	;; [unrolled: 1-line block ×3, first 2 shown]
	v_add_f32_e32 v8, v8, v10
	v_cvt_f32_i32_dpp v3, v5 row_shl:4 row_mask:0xf bank_mask:0xf bound_ctrl:1
	v_cvt_f32_i32_dpp v1, v1 row_shl:4 row_mask:0xf bank_mask:0xf bound_ctrl:1
	;; [unrolled: 1-line block ×3, first 2 shown]
	v_cvt_i32_f32_e32 v10, v8
	v_add_f32_e32 v3, v4, v3
	v_add_f32_e32 v0, v0, v1
	;; [unrolled: 1-line block ×3, first 2 shown]
	v_cvt_f32_i32_dpp v2, v10 row_shl:8 row_mask:0xf bank_mask:0xf bound_ctrl:1
	v_cvt_i32_f32_e32 v4, v3
	v_cvt_i32_f32_e32 v1, v0
	;; [unrolled: 1-line block ×3, first 2 shown]
	v_add_f32_e32 v2, v8, v2
	v_cvt_f32_i32_dpp v4, v4 row_shl:8 row_mask:0xf bank_mask:0xf bound_ctrl:1
	v_cvt_f32_i32_dpp v1, v1 row_shl:8 row_mask:0xf bank_mask:0xf bound_ctrl:1
	v_cvt_f32_i32_dpp v5, v9 row_shr:15 row_mask:0xf bank_mask:0xf bound_ctrl:1
	v_cvt_i32_f32_e32 v2, v2
	v_add_f32_e32 v3, v3, v4
	v_add_f32_e32 v0, v0, v1
	v_cvt_i32_f32_e32 v6, v5
	v_cvt_f32_i32_dpp v2, v2 row_shr:15 row_mask:0xf bank_mask:0xf bound_ctrl:1
	v_cvt_i32_f32_e32 v3, v3
	v_cvt_i32_f32_e32 v0, v0
	v_cvt_f32_i32_dpp v1, v6 row_bcast:15 row_mask:0xf bank_mask:0xf bound_ctrl:1
	v_cvt_i32_f32_e32 v4, v2
	v_cvt_f32_i32_dpp v3, v3 row_shr:15 row_mask:0xf bank_mask:0xf bound_ctrl:1
	v_cvt_f32_i32_dpp v0, v0 row_shr:15 row_mask:0xf bank_mask:0xf bound_ctrl:1
	v_add_f32_e32 v1, v5, v1
	v_cvt_f32_i32_dpp v4, v4 row_bcast:15 row_mask:0xf bank_mask:0xf bound_ctrl:1
	v_cvt_i32_f32_e32 v5, v3
	v_cvt_i32_f32_e32 v7, v0
	;; [unrolled: 1-line block ×3, first 2 shown]
	v_add_f32_e32 v6, v2, v4
	v_cvt_f32_i32_dpp v5, v5 row_bcast:15 row_mask:0xf bank_mask:0xf bound_ctrl:1
	v_cvt_f32_i32_dpp v2, v7 row_bcast:15 row_mask:0xf bank_mask:0xf bound_ctrl:1
	v_cvt_i32_f32_e32 v7, v6
	v_mov_b32_dpp v9, v8 row_bcast:31 row_mask:0xf bank_mask:0xf bound_ctrl:1
	v_add_f32_e32 v4, v3, v5
	v_add_f32_e32 v2, v0, v2
	v_cvt_i32_f32_e32 v3, v4
	v_cvt_i32_f32_e32 v10, v2
	v_mov_b32_dpp v0, v7 row_bcast:31 row_mask:0xf bank_mask:0xf bound_ctrl:1
	v_mov_b32_dpp v5, v3 row_bcast:31 row_mask:0xf bank_mask:0xf bound_ctrl:1
	;; [unrolled: 1-line block ×3, first 2 shown]
	s_and_saveexec_b64 s[18:19], s[0:1]
	s_cbranch_execz .LBB182_7
; %bb.14:                               ;   in Loop: Header=BB182_8 Depth=1
	s_andn2_b64 vcc, exec, s[16:17]
	v_mov_b32_e32 v7, 0
	v_mov_b32_e32 v8, 0
	;; [unrolled: 1-line block ×4, first 2 shown]
	s_cbranch_vccnz .LBB182_16
; %bb.15:                               ;   in Loop: Header=BB182_8 Depth=1
	v_mul_hi_u32 v7, v36, v49
	v_mul_lo_u32 v7, v7, s22
	v_sub_u32_e32 v7, v36, v7
	v_subrev_u32_e32 v8, s22, v7
	v_cmp_le_u32_e32 vcc, s22, v7
	s_nop 1
	v_cndmask_b32_e32 v7, v7, v8, vcc
	v_subrev_u32_e32 v8, s22, v7
	v_cmp_le_u32_e32 vcc, s22, v7
	s_nop 1
	v_cndmask_b32_e32 v38, v7, v8, vcc
	v_or_b32_e32 v7, 1, v36
	v_mul_hi_u32 v8, v7, v49
	v_mul_lo_u32 v8, v8, s22
	v_sub_u32_e32 v7, v7, v8
	v_subrev_u32_e32 v8, s22, v7
	v_cmp_le_u32_e32 vcc, s22, v7
	v_lshl_add_u64 v[12:13], v[38:39], 1, s[8:9]
	s_nop 0
	v_cndmask_b32_e32 v7, v7, v8, vcc
	v_subrev_u32_e32 v8, s22, v7
	v_cmp_le_u32_e32 vcc, s22, v7
	s_nop 1
	v_cndmask_b32_e32 v38, v7, v8, vcc
	v_or_b32_e32 v7, 2, v36
	v_mul_hi_u32 v8, v7, v49
	v_mul_lo_u32 v8, v8, s22
	v_sub_u32_e32 v7, v7, v8
	v_subrev_u32_e32 v8, s22, v7
	v_cmp_le_u32_e32 vcc, s22, v7
	v_lshl_add_u64 v[14:15], v[38:39], 1, s[8:9]
	;; [unrolled: 13-line block ×3, first 2 shown]
	s_nop 0
	v_cndmask_b32_e32 v7, v7, v8, vcc
	v_subrev_u32_e32 v8, s22, v7
	v_cmp_le_u32_e32 vcc, s22, v7
	s_nop 1
	v_cndmask_b32_e32 v38, v7, v8, vcc
	v_lshl_add_u64 v[18:19], v[38:39], 1, s[8:9]
	global_load_ushort v11, v[12:13], off
	global_load_ushort v10, v[14:15], off
	;; [unrolled: 1-line block ×4, first 2 shown]
.LBB182_16:                             ;   in Loop: Header=BB182_8 Depth=1
	v_cvt_f32_i32_e32 v9, v9
	v_add_f32_e32 v1, v1, v9
	s_waitcnt vmcnt(3)
	v_lshlrev_b32_e32 v9, 16, v11
	v_add_f32_e32 v1, v1, v9
	v_and_b32_e32 v9, 0x7f800000, v1
	v_cmp_ne_u32_e32 vcc, s25, v9
                                        ; implicit-def: $vgpr9
	s_and_saveexec_b64 s[20:21], vcc
	s_xor_b64 s[20:21], exec, s[20:21]
; %bb.17:                               ;   in Loop: Header=BB182_8 Depth=1
	v_bfe_u32 v9, v1, 16, 1
	v_add3_u32 v9, v1, v9, s26
                                        ; implicit-def: $vgpr1
; %bb.18:                               ;   in Loop: Header=BB182_8 Depth=1
	s_andn2_saveexec_b64 s[20:21], s[20:21]
; %bb.19:                               ;   in Loop: Header=BB182_8 Depth=1
	v_or_b32_e32 v9, 0x10000, v1
	v_cmp_eq_u32_sdwa vcc, v1, v39 src0_sel:WORD_0 src1_sel:DWORD
	s_nop 1
	v_cndmask_b32_e32 v9, v9, v1, vcc
; %bb.20:                               ;   in Loop: Header=BB182_8 Depth=1
	s_or_b64 exec, exec, s[20:21]
	v_cvt_f32_i32_e32 v11, v0
	v_mov_b32_e32 v37, v39
	s_waitcnt lgkmcnt(0)
	v_lshl_add_u64 v[0:1], v[36:37], 1, s[12:13]
	global_store_short_d16_hi v[0:1], v9, off
	v_add_f32_e32 v6, v6, v11
	s_waitcnt vmcnt(3)
	v_lshlrev_b32_e32 v9, 16, v10
	v_add_f32_e32 v6, v6, v9
	v_and_b32_e32 v9, 0x7f800000, v6
	v_cmp_ne_u32_e32 vcc, s25, v9
                                        ; implicit-def: $vgpr9
	s_and_saveexec_b64 s[20:21], vcc
	s_xor_b64 s[20:21], exec, s[20:21]
; %bb.21:                               ;   in Loop: Header=BB182_8 Depth=1
	v_bfe_u32 v9, v6, 16, 1
	v_add3_u32 v9, v6, v9, s26
                                        ; implicit-def: $vgpr6
; %bb.22:                               ;   in Loop: Header=BB182_8 Depth=1
	s_andn2_saveexec_b64 s[20:21], s[20:21]
; %bb.23:                               ;   in Loop: Header=BB182_8 Depth=1
	v_or_b32_e32 v9, 0x10000, v6
	v_cmp_eq_u32_sdwa vcc, v6, v39 src0_sel:WORD_0 src1_sel:DWORD
	s_nop 1
	v_cndmask_b32_e32 v9, v9, v6, vcc
; %bb.24:                               ;   in Loop: Header=BB182_8 Depth=1
	s_or_b64 exec, exec, s[20:21]
	v_cvt_f32_i32_e32 v5, v5
	global_store_short_d16_hi v[0:1], v9, off offset:2
	v_add_f32_e32 v4, v4, v5
	s_waitcnt vmcnt(3)
	v_lshlrev_b32_e32 v5, 16, v8
	v_add_f32_e32 v4, v4, v5
	v_and_b32_e32 v5, 0x7f800000, v4
	v_cmp_ne_u32_e32 vcc, s25, v5
                                        ; implicit-def: $vgpr5
	s_and_saveexec_b64 s[20:21], vcc
	s_xor_b64 s[20:21], exec, s[20:21]
; %bb.25:                               ;   in Loop: Header=BB182_8 Depth=1
	v_bfe_u32 v5, v4, 16, 1
	v_add3_u32 v5, v4, v5, s26
                                        ; implicit-def: $vgpr4
; %bb.26:                               ;   in Loop: Header=BB182_8 Depth=1
	s_andn2_saveexec_b64 s[20:21], s[20:21]
; %bb.27:                               ;   in Loop: Header=BB182_8 Depth=1
	v_or_b32_e32 v5, 0x10000, v4
	v_cmp_eq_u32_sdwa vcc, v4, v39 src0_sel:WORD_0 src1_sel:DWORD
	s_nop 1
	v_cndmask_b32_e32 v5, v5, v4, vcc
; %bb.28:                               ;   in Loop: Header=BB182_8 Depth=1
	s_or_b64 exec, exec, s[20:21]
	v_cvt_f32_i32_e32 v3, v3
	global_store_short_d16_hi v[0:1], v5, off offset:4
	v_add_f32_e32 v2, v2, v3
	s_waitcnt vmcnt(3)
	v_lshlrev_b32_e32 v3, 16, v7
	v_add_f32_e32 v2, v2, v3
	v_and_b32_e32 v3, 0x7f800000, v2
	v_cmp_ne_u32_e32 vcc, s25, v3
                                        ; implicit-def: $vgpr3
	s_and_saveexec_b64 s[20:21], vcc
	s_xor_b64 s[20:21], exec, s[20:21]
; %bb.29:                               ;   in Loop: Header=BB182_8 Depth=1
	v_bfe_u32 v3, v2, 16, 1
	v_add3_u32 v3, v2, v3, s26
                                        ; implicit-def: $vgpr2
; %bb.30:                               ;   in Loop: Header=BB182_8 Depth=1
	s_andn2_saveexec_b64 s[20:21], s[20:21]
	s_cbranch_execz .LBB182_6
; %bb.31:                               ;   in Loop: Header=BB182_8 Depth=1
	v_or_b32_e32 v3, 0x10000, v2
	v_cmp_eq_u32_sdwa vcc, v2, v39 src0_sel:WORD_0 src1_sel:DWORD
	s_nop 1
	v_cndmask_b32_e32 v3, v3, v2, vcc
	s_branch .LBB182_6
.LBB182_32:
	s_endpgm
	.section	.rodata,"a",@progbits
	.p2align	6, 0x0
	.amdhsa_kernel _Z16wvSplitK_hf_sml_I14__hip_bfloat16Li64ELi4ELi16ELi8ELi1ELi1EEviiiiiiPKT_S3_S3_PS1_ii
		.amdhsa_group_segment_fixed_size 65536
		.amdhsa_private_segment_fixed_size 0
		.amdhsa_kernarg_size 64
		.amdhsa_user_sgpr_count 2
		.amdhsa_user_sgpr_dispatch_ptr 0
		.amdhsa_user_sgpr_queue_ptr 0
		.amdhsa_user_sgpr_kernarg_segment_ptr 1
		.amdhsa_user_sgpr_dispatch_id 0
		.amdhsa_user_sgpr_kernarg_preload_length 0
		.amdhsa_user_sgpr_kernarg_preload_offset 0
		.amdhsa_user_sgpr_private_segment_size 0
		.amdhsa_uses_dynamic_stack 0
		.amdhsa_enable_private_segment 0
		.amdhsa_system_sgpr_workgroup_id_x 1
		.amdhsa_system_sgpr_workgroup_id_y 0
		.amdhsa_system_sgpr_workgroup_id_z 0
		.amdhsa_system_sgpr_workgroup_info 0
		.amdhsa_system_vgpr_workitem_id 1
		.amdhsa_next_free_vgpr 52
		.amdhsa_next_free_sgpr 27
		.amdhsa_accum_offset 52
		.amdhsa_reserve_vcc 1
		.amdhsa_float_round_mode_32 0
		.amdhsa_float_round_mode_16_64 0
		.amdhsa_float_denorm_mode_32 3
		.amdhsa_float_denorm_mode_16_64 3
		.amdhsa_dx10_clamp 1
		.amdhsa_ieee_mode 1
		.amdhsa_fp16_overflow 0
		.amdhsa_tg_split 0
		.amdhsa_exception_fp_ieee_invalid_op 0
		.amdhsa_exception_fp_denorm_src 0
		.amdhsa_exception_fp_ieee_div_zero 0
		.amdhsa_exception_fp_ieee_overflow 0
		.amdhsa_exception_fp_ieee_underflow 0
		.amdhsa_exception_fp_ieee_inexact 0
		.amdhsa_exception_int_div_zero 0
	.end_amdhsa_kernel
	.section	.text._Z16wvSplitK_hf_sml_I14__hip_bfloat16Li64ELi4ELi16ELi8ELi1ELi1EEviiiiiiPKT_S3_S3_PS1_ii,"axG",@progbits,_Z16wvSplitK_hf_sml_I14__hip_bfloat16Li64ELi4ELi16ELi8ELi1ELi1EEviiiiiiPKT_S3_S3_PS1_ii,comdat
.Lfunc_end182:
	.size	_Z16wvSplitK_hf_sml_I14__hip_bfloat16Li64ELi4ELi16ELi8ELi1ELi1EEviiiiiiPKT_S3_S3_PS1_ii, .Lfunc_end182-_Z16wvSplitK_hf_sml_I14__hip_bfloat16Li64ELi4ELi16ELi8ELi1ELi1EEviiiiiiPKT_S3_S3_PS1_ii
                                        ; -- End function
	.section	.AMDGPU.csdata,"",@progbits
; Kernel info:
; codeLenInByte = 2084
; NumSgprs: 33
; NumVgprs: 52
; NumAgprs: 0
; TotalNumVgprs: 52
; ScratchSize: 0
; MemoryBound: 0
; FloatMode: 240
; IeeeMode: 1
; LDSByteSize: 65536 bytes/workgroup (compile time only)
; SGPRBlocks: 4
; VGPRBlocks: 6
; NumSGPRsForWavesPerEU: 33
; NumVGPRsForWavesPerEU: 52
; AccumOffset: 52
; Occupancy: 4
; WaveLimiterHint : 0
; COMPUTE_PGM_RSRC2:SCRATCH_EN: 0
; COMPUTE_PGM_RSRC2:USER_SGPR: 2
; COMPUTE_PGM_RSRC2:TRAP_HANDLER: 0
; COMPUTE_PGM_RSRC2:TGID_X_EN: 1
; COMPUTE_PGM_RSRC2:TGID_Y_EN: 0
; COMPUTE_PGM_RSRC2:TGID_Z_EN: 0
; COMPUTE_PGM_RSRC2:TIDIG_COMP_CNT: 1
; COMPUTE_PGM_RSRC3_GFX90A:ACCUM_OFFSET: 12
; COMPUTE_PGM_RSRC3_GFX90A:TG_SPLIT: 0
	.section	.text._Z12wvSplitK_hf_I14__hip_bfloat16Li64ELi4ELi16ELi8ELi1ELi1EEviiiiiiPKT_S3_S3_PS1_ii,"axG",@progbits,_Z12wvSplitK_hf_I14__hip_bfloat16Li64ELi4ELi16ELi8ELi1ELi1EEviiiiiiPKT_S3_S3_PS1_ii,comdat
	.protected	_Z12wvSplitK_hf_I14__hip_bfloat16Li64ELi4ELi16ELi8ELi1ELi1EEviiiiiiPKT_S3_S3_PS1_ii ; -- Begin function _Z12wvSplitK_hf_I14__hip_bfloat16Li64ELi4ELi16ELi8ELi1ELi1EEviiiiiiPKT_S3_S3_PS1_ii
	.globl	_Z12wvSplitK_hf_I14__hip_bfloat16Li64ELi4ELi16ELi8ELi1ELi1EEviiiiiiPKT_S3_S3_PS1_ii
	.p2align	8
	.type	_Z12wvSplitK_hf_I14__hip_bfloat16Li64ELi4ELi16ELi8ELi1ELi1EEviiiiiiPKT_S3_S3_PS1_ii,@function
_Z12wvSplitK_hf_I14__hip_bfloat16Li64ELi4ELi16ELi8ELi1ELi1EEviiiiiiPKT_S3_S3_PS1_ii: ; @_Z12wvSplitK_hf_I14__hip_bfloat16Li64ELi4ELi16ELi8ELi1ELi1EEviiiiiiPKT_S3_S3_PS1_ii
; %bb.0:
	s_load_dwordx2 s[18:19], s[0:1], 0x38
	s_load_dwordx4 s[8:11], s[0:1], 0x0
	s_load_dword s30, s[0:1], 0x10
	v_bfe_u32 v7, v0, 10, 10
	s_mov_b32 s4, 1
	s_waitcnt lgkmcnt(0)
	s_mul_i32 s2, s2, s18
	v_add_lshl_u32 v42, s2, v7, 2
	v_add_u32_e32 v1, 4, v42
	s_mov_b32 s5, s4
	v_cmp_gt_u32_e32 vcc, s11, v42
	v_cmp_le_u32_e64 s[2:3], s11, v1
	s_mov_b32 s6, s4
	s_mov_b32 s7, s4
	v_mov_b64_e32 v[2:3], s[4:5]
	s_and_b64 s[12:13], vcc, s[2:3]
	v_mov_b64_e32 v[4:5], s[6:7]
	s_and_saveexec_b64 s[2:3], s[12:13]
	s_cbranch_execz .LBB183_6
; %bb.1:
	s_add_i32 s20, s11, -4
	v_mov_b64_e32 v[2:3], s[4:5]
	v_cmp_ne_u32_e32 vcc, s20, v42
	v_mov_b64_e32 v[4:5], s[6:7]
	s_and_saveexec_b64 s[12:13], vcc
	s_cbranch_execz .LBB183_5
; %bb.2:
	v_subrev_u32_e32 v1, s20, v42
	v_cmp_lt_u32_e32 vcc, 1, v1
	s_mov_b64 s[14:15], 0
	s_mov_b64 s[16:17], 0
	v_cndmask_b32_e32 v6, 1, v1, vcc
	s_mov_b32 s5, s4
	s_mov_b32 s6, s4
	;; [unrolled: 1-line block ×3, first 2 shown]
.LBB183_3:                              ; =>This Inner Loop Header: Depth=1
	s_cmp_lg_u32 s16, 3
	s_cselect_b32 s7, s7, 0
	s_cmp_lg_u32 s16, 2
	s_cselect_b32 s6, s6, 0
	;; [unrolled: 2-line block ×4, first 2 shown]
	s_add_u32 s16, s16, 1
	s_addc_u32 s17, s17, 0
	v_cmp_eq_u32_e32 vcc, s16, v6
	v_mov_b64_e32 v[2:3], s[4:5]
	s_or_b64 s[14:15], vcc, s[14:15]
	v_mov_b64_e32 v[4:5], s[6:7]
	s_andn2_b64 exec, exec, s[14:15]
	s_cbranch_execnz .LBB183_3
; %bb.4:
	s_or_b64 exec, exec, s[14:15]
	v_mov_b32_e32 v42, s20
.LBB183_5:
	s_or_b64 exec, exec, s[12:13]
.LBB183_6:
	s_or_b64 exec, exec, s[2:3]
	s_load_dwordx4 s[12:15], s[0:1], 0x20
	v_and_b32_e32 v6, 0x3ff, v0
	v_lshlrev_b32_e32 v60, 3, v6
	v_lshl_add_u32 v8, v7, 9, v60
	s_min_u32 s10, s10, 0x8000
	v_cmp_gt_u32_e32 vcc, s10, v8
	s_and_saveexec_b64 s[2:3], vcc
	s_cbranch_execz .LBB183_9
; %bb.7:
	v_mov_b32_e32 v11, 0
	v_lshlrev_b32_e32 v10, 10, v7
	v_lshlrev_b32_e32 v12, 4, v6
	v_mov_b32_e32 v13, v11
	v_lshl_add_u64 v[0:1], v[10:11], 0, v[12:13]
	s_waitcnt lgkmcnt(0)
	v_lshl_add_u64 v[0:1], s[12:13], 0, v[0:1]
	v_add_u32_e32 v9, v10, v12
	s_mov_b64 s[4:5], 0
	s_mov_b64 s[6:7], 0x4000
.LBB183_8:                              ; =>This Inner Loop Header: Depth=1
	global_load_dwordx4 v[10:13], v[0:1], off
	v_add_u32_e32 v8, 0x2000, v8
	v_cmp_le_u32_e32 vcc, s10, v8
	v_lshl_add_u64 v[0:1], v[0:1], 0, s[6:7]
	s_or_b64 s[4:5], vcc, s[4:5]
	s_waitcnt vmcnt(0)
	ds_write_b128 v9, v[10:13]
	v_add_u32_e32 v9, 0x4000, v9
	s_andn2_b64 exec, exec, s[4:5]
	s_cbranch_execnz .LBB183_8
.LBB183_9:
	s_or_b64 exec, exec, s[2:3]
	v_cmp_gt_u32_e32 vcc, s18, v7
	v_cmp_gt_u32_e64 s[2:3], s11, v42
	s_and_b64 s[2:3], vcc, s[2:3]
	s_waitcnt lgkmcnt(0)
	s_barrier
	s_and_saveexec_b64 s[4:5], s[2:3]
	s_cbranch_execz .LBB183_54
; %bb.10:
	v_cvt_f32_u32_e32 v0, s30
	s_cmp_lg_u32 s8, 0
	s_cselect_b64 s[2:3], -1, 0
	s_add_i32 s10, s8, -8
	v_rcp_iflag_f32_e32 v0, v0
	s_add_i32 s31, s11, -1
	s_mul_i32 s4, s18, s19
	s_cmp_lg_u64 s[14:15], 0
	v_mul_f32_e32 v0, 0x4f7ffffe, v0
	v_cvt_u32_f32_e32 v0, v0
	s_load_dwordx2 s[6:7], s[0:1], 0x18
	s_load_dwordx2 s[16:17], s[0:1], 0x30
	s_cselect_b64 s[20:21], -1, 0
	s_lshl_b32 s33, s4, 2
	s_sub_i32 s4, 0, s30
	v_mul_lo_u32 v1, s4, v0
	v_mul_hi_u32 v1, v0, v1
	v_add_u32_e32 v61, v0, v1
	v_cndmask_b32_e64 v0, 0, 1, s[2:3]
	v_cmp_eq_u32_e64 s[0:1], 63, v6
	s_mov_b64 s[18:19], 0
	s_add_i32 s34, s11, -4
	v_mov_b32_e32 v1, 0
	v_lshlrev_b32_e32 v62, 4, v6
	v_cmp_ne_u32_e64 s[2:3], 1, v0
	s_movk_i32 s35, 0x7fff
	s_mov_b32 s36, 0x7f800000
	s_branch .LBB183_13
.LBB183_11:                             ;   in Loop: Header=BB183_13 Depth=1
	s_or_b64 exec, exec, s[24:25]
	v_mov_b32_e32 v42, s34
.LBB183_12:                             ;   in Loop: Header=BB183_13 Depth=1
	s_or_b64 exec, exec, s[22:23]
	v_cmp_le_u32_e32 vcc, s11, v42
	s_or_b64 s[18:19], vcc, s[18:19]
	s_andn2_b64 exec, exec, s[18:19]
	s_cbranch_execz .LBB183_54
.LBB183_13:                             ; =>This Loop Header: Depth=1
                                        ;     Child Loop BB183_17 Depth 2
                                        ;     Child Loop BB183_52 Depth 2
	s_and_b64 vcc, exec, s[2:3]
	v_add_u32_e32 v48, 1, v42
	v_add_u32_e32 v46, 2, v42
	;; [unrolled: 1-line block ×3, first 2 shown]
	v_mov_b32_e32 v9, v1
	v_mov_b32_e32 v8, v1
	;; [unrolled: 1-line block ×16, first 2 shown]
	s_cbranch_vccnz .LBB183_22
; %bb.14:                               ;   in Loop: Header=BB183_13 Depth=1
	v_min_u32_e32 v0, s31, v42
	v_mul_lo_u32 v50, v0, s9
	v_min_u32_e32 v0, s31, v48
	v_mul_lo_u32 v52, v0, s9
	v_min_u32_e32 v0, s31, v46
	v_mul_lo_u32 v54, v0, s9
	v_min_u32_e32 v0, s31, v44
	v_mov_b32_e32 v18, 0
	v_mov_b32_e32 v51, v1
	;; [unrolled: 1-line block ×4, first 2 shown]
	v_mul_lo_u32 v56, v0, s9
	v_mov_b32_e32 v57, v1
	s_mov_b32 s24, 0
	v_mov_b32_e32 v43, v62
	v_mov_b32_e32 v19, v18
	;; [unrolled: 1-line block ×16, first 2 shown]
	s_branch .LBB183_17
.LBB183_15:                             ;   in Loop: Header=BB183_17 Depth=2
	s_or_b64 exec, exec, s[22:23]
.LBB183_16:                             ;   in Loop: Header=BB183_17 Depth=2
	s_or_b64 exec, exec, s[4:5]
	s_waitcnt vmcnt(0) lgkmcnt(0)
	v_mfma_f32_4x4x4_16b_bf16 v[18:21], v[26:27], v[38:39], v[18:21]
	s_addk_i32 s24, 0x200
	v_mfma_f32_4x4x4_16b_bf16 v[14:17], v[26:27], v[34:35], v[14:17]
	v_add_u32_e32 v43, 0x400, v43
	v_mfma_f32_4x4x4_16b_bf16 v[10:13], v[26:27], v[30:31], v[10:13]
	s_cmp_ge_u32 s24, s8
	v_mfma_f32_4x4x4_16b_bf16 v[6:9], v[26:27], v[22:23], v[6:9]
	v_mfma_f32_4x4x4_16b_bf16 v[18:21], v[28:29], v[40:41], v[18:21]
	;; [unrolled: 1-line block ×5, first 2 shown]
	s_cbranch_scc1 .LBB183_22
.LBB183_17:                             ;   Parent Loop BB183_13 Depth=1
                                        ; =>  This Inner Loop Header: Depth=2
	v_add_u32_e32 v58, s24, v60
	v_min_u32_e32 v0, s10, v58
	s_waitcnt lgkmcnt(0)
	v_lshl_add_u64 v[22:23], v[0:1], 1, s[6:7]
	v_lshl_add_u64 v[24:25], v[50:51], 1, v[22:23]
	;; [unrolled: 1-line block ×3, first 2 shown]
	global_load_dwordx4 v[38:41], v[24:25], off nt
	global_load_dwordx4 v[34:37], v[26:27], off nt
	v_lshl_add_u64 v[26:27], v[54:55], 1, v[22:23]
	v_lshl_add_u64 v[28:29], v[56:57], 1, v[22:23]
	global_load_dwordx4 v[30:33], v[26:27], off nt
	global_load_dwordx4 v[22:25], v[28:29], off nt
	v_cmp_gt_u32_e32 vcc, s8, v58
	v_mov_b32_e32 v28, 0
	v_mov_b32_e32 v29, 0
	;; [unrolled: 1-line block ×4, first 2 shown]
	s_and_saveexec_b64 s[4:5], vcc
	s_cbranch_execz .LBB183_16
; %bb.18:                               ;   in Loop: Header=BB183_17 Depth=2
	v_cmp_lt_u32_e32 vcc, s35, v58
                                        ; implicit-def: $vgpr27
	s_and_saveexec_b64 s[22:23], vcc
	s_xor_b64 s[22:23], exec, s[22:23]
	s_cbranch_execz .LBB183_20
; %bb.19:                               ;   in Loop: Header=BB183_17 Depth=2
	v_mov_b32_e32 v59, v1
	v_lshl_add_u64 v[26:27], v[58:59], 1, s[12:13]
	global_load_dwordx4 v[26:29], v[26:27], off
.LBB183_20:                             ;   in Loop: Header=BB183_17 Depth=2
	s_andn2_saveexec_b64 s[22:23], s[22:23]
	s_cbranch_execz .LBB183_15
; %bb.21:                               ;   in Loop: Header=BB183_17 Depth=2
	s_waitcnt vmcnt(0)
	ds_read_b128 v[26:29], v43
	s_branch .LBB183_15
.LBB183_22:                             ;   in Loop: Header=BB183_13 Depth=1
	s_nop 0
	v_cvt_i32_f32_e32 v0, v19
	v_cvt_i32_f32_e32 v19, v20
	;; [unrolled: 1-line block ×4, first 2 shown]
	v_cvt_f32_i32_dpp v0, v0 row_shl:1 row_mask:0xf bank_mask:0xf bound_ctrl:1
	v_cvt_f32_i32_dpp v19, v19 row_shl:2 row_mask:0xf bank_mask:0xf bound_ctrl:1
	v_cvt_i32_f32_e32 v16, v16
	v_cvt_f32_i32_dpp v20, v20 row_shl:3 row_mask:0xf bank_mask:0xf bound_ctrl:1
	v_cvt_i32_f32_e32 v17, v17
	v_cvt_i32_f32_e32 v11, v11
	v_add_f32_e32 v0, v18, v0
	v_cvt_f32_i32_dpp v15, v15 row_shl:1 row_mask:0xf bank_mask:0xf bound_ctrl:1
	v_cvt_i32_f32_e32 v7, v7
	v_add_f32_e32 v0, v0, v19
	v_cvt_f32_i32_dpp v16, v16 row_shl:2 row_mask:0xf bank_mask:0xf bound_ctrl:1
	v_cvt_i32_f32_e32 v12, v12
	v_cvt_i32_f32_e32 v8, v8
	v_add_f32_e32 v0, v0, v20
	v_cvt_f32_i32_dpp v17, v17 row_shl:3 row_mask:0xf bank_mask:0xf bound_ctrl:1
	v_cvt_f32_i32_dpp v11, v11 row_shl:1 row_mask:0xf bank_mask:0xf bound_ctrl:1
	v_cvt_i32_f32_e32 v13, v13
	v_cvt_i32_f32_e32 v9, v9
	;; [unrolled: 1-line block ×3, first 2 shown]
	v_add_f32_e32 v14, v14, v15
	v_cvt_f32_i32_dpp v7, v7 row_shl:1 row_mask:0xf bank_mask:0xf bound_ctrl:1
	v_add_f32_e32 v14, v14, v16
	v_cvt_f32_i32_dpp v12, v12 row_shl:2 row_mask:0xf bank_mask:0xf bound_ctrl:1
	v_cvt_f32_i32_dpp v8, v8 row_shl:2 row_mask:0xf bank_mask:0xf bound_ctrl:1
	v_add_f32_e32 v14, v14, v17
	v_add_f32_e32 v10, v10, v11
	v_cvt_f32_i32_dpp v11, v13 row_shl:3 row_mask:0xf bank_mask:0xf bound_ctrl:1
	v_cvt_f32_i32_dpp v9, v9 row_shl:3 row_mask:0xf bank_mask:0xf bound_ctrl:1
	;; [unrolled: 1-line block ×3, first 2 shown]
	v_cvt_i32_f32_e32 v15, v14
	v_add_f32_e32 v6, v6, v7
	v_add_f32_e32 v10, v10, v12
	;; [unrolled: 1-line block ×6, first 2 shown]
	v_cvt_f32_i32_dpp v15, v15 row_shl:4 row_mask:0xf bank_mask:0xf bound_ctrl:1
	v_cvt_i32_f32_e32 v11, v10
	v_cvt_i32_f32_e32 v7, v6
	;; [unrolled: 1-line block ×3, first 2 shown]
	v_add_f32_e32 v14, v14, v15
	v_cvt_f32_i32_dpp v9, v11 row_shl:4 row_mask:0xf bank_mask:0xf bound_ctrl:1
	v_cvt_f32_i32_dpp v7, v7 row_shl:4 row_mask:0xf bank_mask:0xf bound_ctrl:1
	;; [unrolled: 1-line block ×3, first 2 shown]
	v_cvt_i32_f32_e32 v15, v14
	v_add_f32_e32 v9, v10, v9
	v_add_f32_e32 v6, v6, v7
	;; [unrolled: 1-line block ×3, first 2 shown]
	v_cvt_f32_i32_dpp v8, v15 row_shl:8 row_mask:0xf bank_mask:0xf bound_ctrl:1
	v_cvt_i32_f32_e32 v10, v9
	v_cvt_i32_f32_e32 v7, v6
	;; [unrolled: 1-line block ×3, first 2 shown]
	v_add_f32_e32 v8, v14, v8
	v_cvt_f32_i32_dpp v10, v10 row_shl:8 row_mask:0xf bank_mask:0xf bound_ctrl:1
	v_cvt_f32_i32_dpp v7, v7 row_shl:8 row_mask:0xf bank_mask:0xf bound_ctrl:1
	v_cvt_f32_i32_dpp v0, v0 row_shr:15 row_mask:0xf bank_mask:0xf bound_ctrl:1
	v_cvt_i32_f32_e32 v8, v8
	v_add_f32_e32 v9, v9, v10
	v_add_f32_e32 v6, v6, v7
	v_cvt_i32_f32_e32 v11, v0
	v_cvt_f32_i32_dpp v8, v8 row_shr:15 row_mask:0xf bank_mask:0xf bound_ctrl:1
	v_cvt_i32_f32_e32 v9, v9
	v_cvt_i32_f32_e32 v6, v6
	v_cvt_f32_i32_dpp v7, v11 row_bcast:15 row_mask:0xf bank_mask:0xf bound_ctrl:1
	v_cvt_i32_f32_e32 v10, v8
	v_cvt_f32_i32_dpp v9, v9 row_shr:15 row_mask:0xf bank_mask:0xf bound_ctrl:1
	v_cvt_f32_i32_dpp v6, v6 row_shr:15 row_mask:0xf bank_mask:0xf bound_ctrl:1
	v_add_f32_e32 v13, v0, v7
	v_cvt_f32_i32_dpp v7, v10 row_bcast:15 row_mask:0xf bank_mask:0xf bound_ctrl:1
	v_cvt_i32_f32_e32 v0, v9
	v_cvt_i32_f32_e32 v11, v6
	;; [unrolled: 1-line block ×3, first 2 shown]
	v_add_f32_e32 v10, v8, v7
	v_cvt_f32_i32_dpp v0, v0 row_bcast:15 row_mask:0xf bank_mask:0xf bound_ctrl:1
	v_cvt_f32_i32_dpp v7, v11 row_bcast:15 row_mask:0xf bank_mask:0xf bound_ctrl:1
	v_cvt_i32_f32_e32 v11, v10
	v_mov_b32_dpp v14, v12 row_bcast:31 row_mask:0xf bank_mask:0xf bound_ctrl:1
	v_add_f32_e32 v8, v9, v0
	v_add_f32_e32 v6, v6, v7
	v_cvt_i32_f32_e32 v0, v8
	v_cvt_i32_f32_e32 v7, v6
	v_mov_b32_dpp v11, v11 row_bcast:31 row_mask:0xf bank_mask:0xf bound_ctrl:1
	v_mov_b32_dpp v9, v0 row_bcast:31 row_mask:0xf bank_mask:0xf bound_ctrl:1
	;; [unrolled: 1-line block ×3, first 2 shown]
	s_and_saveexec_b64 s[4:5], s[0:1]
	s_cbranch_execz .LBB183_49
; %bb.23:                               ;   in Loop: Header=BB183_13 Depth=1
	s_andn2_b64 vcc, exec, s[20:21]
	v_mov_b32_e32 v0, 0
	v_mov_b32_e32 v12, 0
	;; [unrolled: 1-line block ×4, first 2 shown]
	s_cbranch_vccnz .LBB183_25
; %bb.24:                               ;   in Loop: Header=BB183_13 Depth=1
	v_mul_hi_u32 v0, v42, v61
	v_mul_lo_u32 v0, v0, s30
	v_sub_u32_e32 v0, v42, v0
	v_subrev_u32_e32 v12, s30, v0
	v_cmp_le_u32_e32 vcc, s30, v0
	s_nop 1
	v_cndmask_b32_e32 v0, v0, v12, vcc
	v_subrev_u32_e32 v12, s30, v0
	v_cmp_le_u32_e32 vcc, s30, v0
	s_nop 1
	v_cndmask_b32_e32 v0, v0, v12, vcc
	v_lshl_add_u64 v[18:19], v[0:1], 1, s[14:15]
	v_mul_hi_u32 v0, v48, v61
	v_mul_lo_u32 v0, v0, s30
	v_sub_u32_e32 v0, v48, v0
	v_subrev_u32_e32 v12, s30, v0
	v_cmp_le_u32_e32 vcc, s30, v0
	s_nop 1
	v_cndmask_b32_e32 v0, v0, v12, vcc
	v_subrev_u32_e32 v12, s30, v0
	v_cmp_le_u32_e32 vcc, s30, v0
	s_nop 1
	v_cndmask_b32_e32 v0, v0, v12, vcc
	v_lshl_add_u64 v[20:21], v[0:1], 1, s[14:15]
	;; [unrolled: 12-line block ×4, first 2 shown]
	global_load_ushort v16, v[18:19], off
	global_load_ushort v15, v[20:21], off
	global_load_ushort v12, v[22:23], off
	global_load_ushort v0, v[24:25], off
.LBB183_25:                             ;   in Loop: Header=BB183_13 Depth=1
	v_cmp_ne_u32_e32 vcc, 0, v2
	s_and_saveexec_b64 s[22:23], vcc
	s_cbranch_execnz .LBB183_29
; %bb.26:                               ;   in Loop: Header=BB183_13 Depth=1
	s_or_b64 exec, exec, s[22:23]
	v_cmp_ne_u32_e32 vcc, 0, v3
	s_and_saveexec_b64 s[22:23], vcc
	s_cbranch_execnz .LBB183_34
.LBB183_27:                             ;   in Loop: Header=BB183_13 Depth=1
	s_or_b64 exec, exec, s[22:23]
	v_cmp_ne_u32_e32 vcc, 0, v4
	s_and_saveexec_b64 s[22:23], vcc
	s_cbranch_execnz .LBB183_39
.LBB183_28:                             ;   in Loop: Header=BB183_13 Depth=1
	s_or_b64 exec, exec, s[22:23]
	v_cmp_ne_u32_e32 vcc, 0, v5
	s_and_b64 exec, exec, vcc
	s_cbranch_execnz .LBB183_44
	s_branch .LBB183_49
.LBB183_29:                             ;   in Loop: Header=BB183_13 Depth=1
	v_cvt_f32_i32_e32 v14, v14
	v_add_f32_e32 v13, v13, v14
	s_waitcnt vmcnt(3)
	v_lshlrev_b32_e32 v14, 16, v16
	v_add_f32_e32 v14, v13, v14
	v_and_b32_e32 v13, 0x7f800000, v14
	v_cmp_ne_u32_e32 vcc, s36, v13
                                        ; implicit-def: $vgpr13
	s_and_saveexec_b64 s[24:25], vcc
	s_xor_b64 s[24:25], exec, s[24:25]
; %bb.30:                               ;   in Loop: Header=BB183_13 Depth=1
	v_bfe_u32 v13, v14, 16, 1
	v_add3_u32 v13, v14, v13, s35
                                        ; implicit-def: $vgpr14
; %bb.31:                               ;   in Loop: Header=BB183_13 Depth=1
	s_andn2_saveexec_b64 s[24:25], s[24:25]
; %bb.32:                               ;   in Loop: Header=BB183_13 Depth=1
	v_or_b32_e32 v13, 0x10000, v14
	v_cmp_eq_u32_sdwa vcc, v14, v1 src0_sel:WORD_0 src1_sel:DWORD
	s_nop 1
	v_cndmask_b32_e32 v13, v13, v14, vcc
; %bb.33:                               ;   in Loop: Header=BB183_13 Depth=1
	s_or_b64 exec, exec, s[24:25]
	v_mov_b32_e32 v43, v1
	s_waitcnt lgkmcnt(0)
	v_lshl_add_u64 v[16:17], v[42:43], 1, s[16:17]
	global_store_short_d16_hi v[16:17], v13, off
	s_or_b64 exec, exec, s[22:23]
	v_cmp_ne_u32_e32 vcc, 0, v3
	s_and_saveexec_b64 s[22:23], vcc
	s_cbranch_execz .LBB183_27
.LBB183_34:                             ;   in Loop: Header=BB183_13 Depth=1
	v_cvt_f32_i32_e32 v11, v11
	v_add_f32_e32 v10, v10, v11
	s_waitcnt vmcnt(2)
	v_lshlrev_b32_e32 v11, 16, v15
	v_add_f32_e32 v11, v10, v11
	v_and_b32_e32 v10, 0x7f800000, v11
	v_cmp_ne_u32_e32 vcc, s36, v10
                                        ; implicit-def: $vgpr10
	s_and_saveexec_b64 s[24:25], vcc
	s_xor_b64 s[24:25], exec, s[24:25]
; %bb.35:                               ;   in Loop: Header=BB183_13 Depth=1
	v_bfe_u32 v10, v11, 16, 1
	v_add3_u32 v10, v11, v10, s35
                                        ; implicit-def: $vgpr11
; %bb.36:                               ;   in Loop: Header=BB183_13 Depth=1
	s_andn2_saveexec_b64 s[24:25], s[24:25]
; %bb.37:                               ;   in Loop: Header=BB183_13 Depth=1
	v_or_b32_e32 v10, 0x10000, v11
	v_cmp_eq_u32_sdwa vcc, v11, v1 src0_sel:WORD_0 src1_sel:DWORD
	s_nop 1
	v_cndmask_b32_e32 v10, v10, v11, vcc
; %bb.38:                               ;   in Loop: Header=BB183_13 Depth=1
	s_or_b64 exec, exec, s[24:25]
	v_mov_b32_e32 v49, v1
	s_waitcnt lgkmcnt(0)
	v_lshl_add_u64 v[14:15], v[48:49], 1, s[16:17]
	global_store_short_d16_hi v[14:15], v10, off
	s_or_b64 exec, exec, s[22:23]
	v_cmp_ne_u32_e32 vcc, 0, v4
	s_and_saveexec_b64 s[22:23], vcc
	s_cbranch_execz .LBB183_28
.LBB183_39:                             ;   in Loop: Header=BB183_13 Depth=1
	v_cvt_f32_i32_e32 v9, v9
	v_add_f32_e32 v8, v8, v9
	s_waitcnt vmcnt(1)
	v_lshlrev_b32_e32 v9, 16, v12
	v_add_f32_e32 v9, v8, v9
	v_and_b32_e32 v8, 0x7f800000, v9
	v_cmp_ne_u32_e32 vcc, s36, v8
                                        ; implicit-def: $vgpr8
	s_and_saveexec_b64 s[24:25], vcc
	s_xor_b64 s[24:25], exec, s[24:25]
; %bb.40:                               ;   in Loop: Header=BB183_13 Depth=1
	v_bfe_u32 v8, v9, 16, 1
	v_add3_u32 v8, v9, v8, s35
                                        ; implicit-def: $vgpr9
; %bb.41:                               ;   in Loop: Header=BB183_13 Depth=1
	s_andn2_saveexec_b64 s[24:25], s[24:25]
; %bb.42:                               ;   in Loop: Header=BB183_13 Depth=1
	v_or_b32_e32 v8, 0x10000, v9
	v_cmp_eq_u32_sdwa vcc, v9, v1 src0_sel:WORD_0 src1_sel:DWORD
	s_nop 1
	v_cndmask_b32_e32 v8, v8, v9, vcc
; %bb.43:                               ;   in Loop: Header=BB183_13 Depth=1
	s_or_b64 exec, exec, s[24:25]
	v_mov_b32_e32 v47, v1
	s_waitcnt lgkmcnt(0)
	v_lshl_add_u64 v[10:11], v[46:47], 1, s[16:17]
	global_store_short_d16_hi v[10:11], v8, off
	s_or_b64 exec, exec, s[22:23]
	v_cmp_ne_u32_e32 vcc, 0, v5
	s_and_b64 exec, exec, vcc
	s_cbranch_execz .LBB183_49
.LBB183_44:                             ;   in Loop: Header=BB183_13 Depth=1
	v_cvt_f32_i32_e32 v7, v7
	s_waitcnt vmcnt(0)
	v_lshlrev_b32_e32 v0, 16, v0
	v_add_f32_e32 v6, v6, v7
	v_add_f32_e32 v6, v6, v0
	v_and_b32_e32 v0, 0x7f800000, v6
	v_cmp_ne_u32_e32 vcc, s36, v0
                                        ; implicit-def: $vgpr0
	s_and_saveexec_b64 s[22:23], vcc
	s_xor_b64 s[22:23], exec, s[22:23]
; %bb.45:                               ;   in Loop: Header=BB183_13 Depth=1
	v_bfe_u32 v0, v6, 16, 1
	v_add3_u32 v0, v6, v0, s35
                                        ; implicit-def: $vgpr6
; %bb.46:                               ;   in Loop: Header=BB183_13 Depth=1
	s_andn2_saveexec_b64 s[22:23], s[22:23]
; %bb.47:                               ;   in Loop: Header=BB183_13 Depth=1
	v_or_b32_e32 v0, 0x10000, v6
	v_cmp_eq_u32_sdwa vcc, v6, v1 src0_sel:WORD_0 src1_sel:DWORD
	s_nop 1
	v_cndmask_b32_e32 v0, v0, v6, vcc
; %bb.48:                               ;   in Loop: Header=BB183_13 Depth=1
	s_or_b64 exec, exec, s[22:23]
	v_mov_b32_e32 v45, v1
	s_waitcnt lgkmcnt(0)
	v_lshl_add_u64 v[6:7], v[44:45], 1, s[16:17]
	global_store_short_d16_hi v[6:7], v0, off
.LBB183_49:                             ;   in Loop: Header=BB183_13 Depth=1
	s_or_b64 exec, exec, s[4:5]
	v_add_u32_e32 v42, s33, v42
	s_waitcnt vmcnt(0)
	v_add_u32_e32 v0, 4, v42
	v_cmp_gt_u32_e32 vcc, s11, v42
	v_cmp_le_u32_e64 s[4:5], s11, v0
	s_and_b64 s[4:5], vcc, s[4:5]
	s_and_saveexec_b64 s[22:23], s[4:5]
	s_cbranch_execz .LBB183_12
; %bb.50:                               ;   in Loop: Header=BB183_13 Depth=1
	v_cmp_ne_u32_e32 vcc, s34, v42
	s_and_saveexec_b64 s[24:25], vcc
	s_cbranch_execz .LBB183_11
; %bb.51:                               ;   in Loop: Header=BB183_13 Depth=1
	v_subrev_u32_e32 v0, s34, v42
	v_cmp_lt_u32_e32 vcc, 1, v0
	s_mov_b64 s[26:27], 0
	s_mov_b64 s[28:29], 0
	v_cndmask_b32_e32 v0, 1, v0, vcc
.LBB183_52:                             ;   Parent Loop BB183_13 Depth=1
                                        ; =>  This Inner Loop Header: Depth=2
	s_cmp_lg_u32 s28, 3
	s_cselect_b64 vcc, -1, 0
	s_cmp_lg_u32 s28, 2
	v_cndmask_b32_e32 v5, 0, v5, vcc
	s_cselect_b64 vcc, -1, 0
	s_cmp_lg_u32 s28, 1
	v_cndmask_b32_e32 v4, 0, v4, vcc
	;; [unrolled: 3-line block ×3, first 2 shown]
	s_cselect_b64 vcc, -1, 0
	s_add_u32 s28, s28, 1
	s_addc_u32 s29, s29, 0
	v_cmp_eq_u32_e64 s[4:5], s28, v0
	s_or_b64 s[26:27], s[4:5], s[26:27]
	v_cndmask_b32_e32 v2, 0, v2, vcc
	s_andn2_b64 exec, exec, s[26:27]
	s_cbranch_execnz .LBB183_52
; %bb.53:                               ;   in Loop: Header=BB183_13 Depth=1
	s_or_b64 exec, exec, s[26:27]
	s_branch .LBB183_11
.LBB183_54:
	s_endpgm
	.section	.rodata,"a",@progbits
	.p2align	6, 0x0
	.amdhsa_kernel _Z12wvSplitK_hf_I14__hip_bfloat16Li64ELi4ELi16ELi8ELi1ELi1EEviiiiiiPKT_S3_S3_PS1_ii
		.amdhsa_group_segment_fixed_size 65536
		.amdhsa_private_segment_fixed_size 0
		.amdhsa_kernarg_size 64
		.amdhsa_user_sgpr_count 2
		.amdhsa_user_sgpr_dispatch_ptr 0
		.amdhsa_user_sgpr_queue_ptr 0
		.amdhsa_user_sgpr_kernarg_segment_ptr 1
		.amdhsa_user_sgpr_dispatch_id 0
		.amdhsa_user_sgpr_kernarg_preload_length 0
		.amdhsa_user_sgpr_kernarg_preload_offset 0
		.amdhsa_user_sgpr_private_segment_size 0
		.amdhsa_uses_dynamic_stack 0
		.amdhsa_enable_private_segment 0
		.amdhsa_system_sgpr_workgroup_id_x 1
		.amdhsa_system_sgpr_workgroup_id_y 0
		.amdhsa_system_sgpr_workgroup_id_z 0
		.amdhsa_system_sgpr_workgroup_info 0
		.amdhsa_system_vgpr_workitem_id 1
		.amdhsa_next_free_vgpr 63
		.amdhsa_next_free_sgpr 37
		.amdhsa_accum_offset 64
		.amdhsa_reserve_vcc 1
		.amdhsa_float_round_mode_32 0
		.amdhsa_float_round_mode_16_64 0
		.amdhsa_float_denorm_mode_32 3
		.amdhsa_float_denorm_mode_16_64 3
		.amdhsa_dx10_clamp 1
		.amdhsa_ieee_mode 1
		.amdhsa_fp16_overflow 0
		.amdhsa_tg_split 0
		.amdhsa_exception_fp_ieee_invalid_op 0
		.amdhsa_exception_fp_denorm_src 0
		.amdhsa_exception_fp_ieee_div_zero 0
		.amdhsa_exception_fp_ieee_overflow 0
		.amdhsa_exception_fp_ieee_underflow 0
		.amdhsa_exception_fp_ieee_inexact 0
		.amdhsa_exception_int_div_zero 0
	.end_amdhsa_kernel
	.section	.text._Z12wvSplitK_hf_I14__hip_bfloat16Li64ELi4ELi16ELi8ELi1ELi1EEviiiiiiPKT_S3_S3_PS1_ii,"axG",@progbits,_Z12wvSplitK_hf_I14__hip_bfloat16Li64ELi4ELi16ELi8ELi1ELi1EEviiiiiiPKT_S3_S3_PS1_ii,comdat
.Lfunc_end183:
	.size	_Z12wvSplitK_hf_I14__hip_bfloat16Li64ELi4ELi16ELi8ELi1ELi1EEviiiiiiPKT_S3_S3_PS1_ii, .Lfunc_end183-_Z12wvSplitK_hf_I14__hip_bfloat16Li64ELi4ELi16ELi8ELi1ELi1EEviiiiiiPKT_S3_S3_PS1_ii
                                        ; -- End function
	.section	.AMDGPU.csdata,"",@progbits
; Kernel info:
; codeLenInByte = 2608
; NumSgprs: 43
; NumVgprs: 63
; NumAgprs: 0
; TotalNumVgprs: 63
; ScratchSize: 0
; MemoryBound: 0
; FloatMode: 240
; IeeeMode: 1
; LDSByteSize: 65536 bytes/workgroup (compile time only)
; SGPRBlocks: 5
; VGPRBlocks: 7
; NumSGPRsForWavesPerEU: 43
; NumVGPRsForWavesPerEU: 63
; AccumOffset: 64
; Occupancy: 4
; WaveLimiterHint : 0
; COMPUTE_PGM_RSRC2:SCRATCH_EN: 0
; COMPUTE_PGM_RSRC2:USER_SGPR: 2
; COMPUTE_PGM_RSRC2:TRAP_HANDLER: 0
; COMPUTE_PGM_RSRC2:TGID_X_EN: 1
; COMPUTE_PGM_RSRC2:TGID_Y_EN: 0
; COMPUTE_PGM_RSRC2:TGID_Z_EN: 0
; COMPUTE_PGM_RSRC2:TIDIG_COMP_CNT: 1
; COMPUTE_PGM_RSRC3_GFX90A:ACCUM_OFFSET: 15
; COMPUTE_PGM_RSRC3_GFX90A:TG_SPLIT: 0
	.section	.text._Z16wvSplitK_hf_big_I14__hip_bfloat16Li64ELi4ELi16ELi8ELi1ELi1EEviiiiiiPKT_S3_S3_PS1_ii,"axG",@progbits,_Z16wvSplitK_hf_big_I14__hip_bfloat16Li64ELi4ELi16ELi8ELi1ELi1EEviiiiiiPKT_S3_S3_PS1_ii,comdat
	.protected	_Z16wvSplitK_hf_big_I14__hip_bfloat16Li64ELi4ELi16ELi8ELi1ELi1EEviiiiiiPKT_S3_S3_PS1_ii ; -- Begin function _Z16wvSplitK_hf_big_I14__hip_bfloat16Li64ELi4ELi16ELi8ELi1ELi1EEviiiiiiPKT_S3_S3_PS1_ii
	.globl	_Z16wvSplitK_hf_big_I14__hip_bfloat16Li64ELi4ELi16ELi8ELi1ELi1EEviiiiiiPKT_S3_S3_PS1_ii
	.p2align	8
	.type	_Z16wvSplitK_hf_big_I14__hip_bfloat16Li64ELi4ELi16ELi8ELi1ELi1EEviiiiiiPKT_S3_S3_PS1_ii,@function
_Z16wvSplitK_hf_big_I14__hip_bfloat16Li64ELi4ELi16ELi8ELi1ELi1EEviiiiiiPKT_S3_S3_PS1_ii: ; @_Z16wvSplitK_hf_big_I14__hip_bfloat16Li64ELi4ELi16ELi8ELi1ELi1EEviiiiiiPKT_S3_S3_PS1_ii
; %bb.0:
	s_load_dwordx2 s[8:9], s[0:1], 0x38
	v_bfe_u32 v7, v0, 10, 10
	s_waitcnt lgkmcnt(0)
	v_cmp_gt_u32_e32 vcc, s8, v7
	s_and_saveexec_b64 s[4:5], vcc
	s_cbranch_execz .LBB184_62
; %bb.1:
	s_load_dwordx4 s[20:23], s[0:1], 0x0
	s_mul_i32 s2, s2, s8
	v_add_lshl_u32 v42, s2, v7, 2
	s_mov_b32 s4, 1
	v_add_u32_e32 v1, 4, v42
	s_mov_b32 s5, s4
	s_waitcnt lgkmcnt(0)
	v_cmp_gt_u32_e32 vcc, s23, v42
	v_cmp_le_u32_e64 s[2:3], s23, v1
	s_mov_b32 s6, s4
	s_mov_b32 s7, s4
	v_mov_b64_e32 v[2:3], s[4:5]
	s_and_b64 s[10:11], vcc, s[2:3]
	v_mov_b64_e32 v[4:5], s[6:7]
	s_and_saveexec_b64 s[2:3], s[10:11]
	s_cbranch_execz .LBB184_7
; %bb.2:
	s_add_i32 s16, s23, -4
	v_mov_b64_e32 v[2:3], s[4:5]
	v_cmp_ne_u32_e32 vcc, s16, v42
	v_mov_b64_e32 v[4:5], s[6:7]
	s_and_saveexec_b64 s[10:11], vcc
	s_cbranch_execz .LBB184_6
; %bb.3:
	v_subrev_u32_e32 v1, s16, v42
	v_cmp_lt_u32_e32 vcc, 1, v1
	s_mov_b64 s[12:13], 0
	s_mov_b64 s[14:15], 0
	v_cndmask_b32_e32 v6, 1, v1, vcc
	s_mov_b32 s5, s4
	s_mov_b32 s6, s4
	;; [unrolled: 1-line block ×3, first 2 shown]
.LBB184_4:                              ; =>This Inner Loop Header: Depth=1
	s_cmp_lg_u32 s14, 3
	s_cselect_b32 s7, s7, 0
	s_cmp_lg_u32 s14, 2
	s_cselect_b32 s6, s6, 0
	;; [unrolled: 2-line block ×4, first 2 shown]
	s_add_u32 s14, s14, 1
	s_addc_u32 s15, s15, 0
	v_cmp_eq_u32_e32 vcc, s14, v6
	v_mov_b64_e32 v[2:3], s[4:5]
	s_or_b64 s[12:13], vcc, s[12:13]
	v_mov_b64_e32 v[4:5], s[6:7]
	s_andn2_b64 exec, exec, s[12:13]
	s_cbranch_execnz .LBB184_4
; %bb.5:
	s_or_b64 exec, exec, s[12:13]
	v_mov_b32_e32 v42, s16
.LBB184_6:
	s_or_b64 exec, exec, s[10:11]
.LBB184_7:
	s_or_b64 exec, exec, s[2:3]
	s_lshl_b32 s2, s8, 2
	s_abs_i32 s3, s2
	v_cvt_f32_u32_e32 v1, s3
	s_sub_i32 s6, 0, s3
	s_abs_i32 s5, s23
	s_ashr_i32 s4, s23, 31
	v_rcp_iflag_f32_e32 v1, v1
	s_nop 0
	v_mul_f32_e32 v1, 0x4f7ffffe, v1
	v_cvt_u32_f32_e32 v1, v1
	s_nop 0
	v_readfirstlane_b32 s7, v1
	s_mul_i32 s6, s6, s7
	s_mul_hi_u32 s6, s7, s6
	s_add_i32 s7, s7, s6
	s_mul_hi_u32 s6, s5, s7
	s_mul_i32 s6, s6, s3
	s_sub_i32 s5, s5, s6
	s_sub_i32 s6, s5, s3
	s_cmp_ge_u32 s5, s3
	s_cselect_b32 s5, s6, s5
	s_sub_i32 s6, s5, s3
	s_cmp_ge_u32 s5, s3
	s_cselect_b32 s3, s6, s5
	s_xor_b32 s3, s3, s4
	s_sub_i32 s3, s3, s4
	s_add_i32 s2, s2, s23
	s_sub_i32 s2, s2, s3
	s_cmp_eq_u32 s3, 0
	s_cselect_b32 s33, s23, s2
	v_cmp_gt_u32_e32 vcc, s33, v42
	s_and_b64 exec, exec, vcc
	s_cbranch_execz .LBB184_62
; %bb.8:
	s_load_dwordx8 s[12:19], s[0:1], 0x18
	s_load_dword s38, s[0:1], 0x10
	s_min_u32 s39, s22, 0x8000
	s_cmp_lg_u32 s20, 0
	s_cselect_b64 s[2:3], -1, 0
	s_cmp_lg_u32 s22, 0
	s_waitcnt lgkmcnt(0)
	v_cvt_f32_u32_e32 v1, s38
	s_mul_i32 s0, s9, s8
	s_cselect_b64 s[4:5], -1, 0
	s_lshl_b32 s40, s8, 9
	v_rcp_iflag_f32_e32 v1, v1
	s_add_i32 s41, s20, -8
	s_add_i32 s42, s23, -1
	s_lshl_b32 s43, s0, 2
	v_mul_f32_e32 v1, 0x4f7ffffe, v1
	v_cvt_u32_f32_e32 v1, v1
	v_and_b32_e32 v0, 0x3ff, v0
	s_cmp_lg_u64 s[16:17], 0
	v_lshlrev_b32_e32 v52, 3, v0
	v_cmp_eq_u32_e64 s[0:1], 63, v0
	s_cselect_b64 s[24:25], -1, 0
	s_sub_i32 s6, 0, s38
	v_lshlrev_b32_e32 v0, 4, v0
	s_add_i32 s44, s23, -4
	v_mul_lo_u32 v6, s6, v1
	v_lshl_add_u32 v54, v7, 10, v0
	v_cndmask_b32_e64 v0, 0, 1, s[2:3]
	v_mul_hi_u32 v6, v1, v6
	s_add_u32 s26, s18, 2
	v_cmp_ne_u32_e64 s[2:3], 1, v0
	v_cndmask_b32_e64 v0, 0, 1, s[4:5]
	s_mov_b64 s[10:11], 0
	v_add_u32_e32 v53, v1, v6
	v_mov_b32_e32 v1, 0
	s_addc_u32 s27, s19, 0
	s_lshl_b32 s45, s8, 10
	v_lshl_add_u32 v55, v7, 9, v52
	v_cmp_ne_u32_e64 s[4:5], 1, v0
	s_mov_b32 s46, 0x7f800000
	s_movk_i32 s47, 0x7fff
	s_branch .LBB184_12
.LBB184_9:                              ;   in Loop: Header=BB184_12 Depth=1
	s_or_b64 exec, exec, s[30:31]
	v_mov_b32_e32 v42, s44
.LBB184_10:                             ;   in Loop: Header=BB184_12 Depth=1
	s_or_b64 exec, exec, s[28:29]
.LBB184_11:                             ;   in Loop: Header=BB184_12 Depth=1
	s_or_b64 exec, exec, s[8:9]
	v_cmp_le_u32_e32 vcc, s33, v42
	s_or_b64 s[10:11], vcc, s[10:11]
	s_andn2_b64 exec, exec, s[10:11]
	s_cbranch_execz .LBB184_62
.LBB184_12:                             ; =>This Loop Header: Depth=1
                                        ;     Child Loop BB184_16 Depth 2
                                        ;       Child Loop BB184_21 Depth 3
                                        ;     Child Loop BB184_60 Depth 2
	s_and_b64 vcc, exec, s[2:3]
	v_mov_b32_e32 v9, v1
	v_mov_b32_e32 v8, v1
	;; [unrolled: 1-line block ×6, first 2 shown]
	s_waitcnt vmcnt(0)
	v_mov_b32_e32 v11, v1
	v_mov_b32_e32 v10, v1
	;; [unrolled: 1-line block ×10, first 2 shown]
	s_cbranch_vccnz .LBB184_27
; %bb.13:                               ;   in Loop: Header=BB184_12 Depth=1
	v_min_u32_e32 v0, s42, v42
	v_mul_lo_u32 v44, v0, s21
	v_add_u32_e32 v0, 1, v42
	v_min_u32_e32 v0, s42, v0
	v_mul_lo_u32 v46, v0, s21
	v_add_u32_e32 v0, 2, v42
	;; [unrolled: 3-line block ×3, first 2 shown]
	v_min_u32_e32 v0, s42, v0
	v_mov_b32_e32 v18, 0
	v_cmp_gt_u32_e64 s[6:7], s23, v42
	v_mov_b32_e32 v45, v1
	v_mov_b32_e32 v47, v1
	;; [unrolled: 1-line block ×3, first 2 shown]
	v_mul_lo_u32 v50, v0, s21
	v_mov_b32_e32 v51, v1
	s_mov_b32 s34, 0
	s_mov_b32 s35, 0
	v_mov_b32_e32 v19, v18
	v_mov_b32_e32 v20, v18
	;; [unrolled: 1-line block ×15, first 2 shown]
	s_branch .LBB184_16
.LBB184_14:                             ;   in Loop: Header=BB184_16 Depth=2
	s_or_b64 exec, exec, s[28:29]
	s_waitcnt vmcnt(3) lgkmcnt(0)
	v_mfma_f32_4x4x4_16b_bf16 v[18:21], v[26:27], v[38:39], v[18:21]
	s_waitcnt vmcnt(2)
	v_mfma_f32_4x4x4_16b_bf16 v[14:17], v[26:27], v[34:35], v[14:17]
	s_waitcnt vmcnt(1)
	;; [unrolled: 2-line block ×3, first 2 shown]
	v_mfma_f32_4x4x4_16b_bf16 v[6:9], v[26:27], v[22:23], v[6:9]
	v_mfma_f32_4x4x4_16b_bf16 v[18:21], v[28:29], v[40:41], v[18:21]
	;; [unrolled: 1-line block ×5, first 2 shown]
.LBB184_15:                             ;   in Loop: Header=BB184_16 Depth=2
	s_or_b64 exec, exec, s[8:9]
	s_addk_i32 s35, 0x200
	s_cmp_ge_u32 s35, s20
	s_cbranch_scc1 .LBB184_27
.LBB184_16:                             ;   Parent Loop BB184_12 Depth=1
                                        ; =>  This Loop Header: Depth=2
                                        ;       Child Loop BB184_21 Depth 3
	s_cmp_eq_u32 s35, 0
	s_cselect_b64 s[8:9], -1, 0
	s_add_i32 s28, s34, s39
	s_cmp_eq_u32 s35, s28
	s_cselect_b64 s[30:31], -1, 0
	s_or_b64 s[30:31], s[8:9], s[30:31]
	s_andn2_b64 vcc, exec, s[30:31]
	s_cbranch_vccz .LBB184_18
; %bb.17:                               ;   in Loop: Header=BB184_16 Depth=2
	s_and_saveexec_b64 s[8:9], s[6:7]
	s_cbranch_execz .LBB184_15
	s_branch .LBB184_25
.LBB184_18:                             ;   in Loop: Header=BB184_16 Depth=2
	s_and_b64 s[8:9], s[8:9], exec
	s_cselect_b32 s34, s34, s28
	s_and_b64 vcc, exec, s[4:5]
	s_barrier
	s_cbranch_vccnz .LBB184_24
; %bb.19:                               ;   in Loop: Header=BB184_16 Depth=2
	v_add_u32_e32 v22, s34, v55
	s_mov_b32 s36, 0
	s_mov_b64 s[28:29], 0
	v_mov_b32_e32 v23, v54
                                        ; implicit-def: $sgpr30_sgpr31
	s_branch .LBB184_21
.LBB184_20:                             ;   in Loop: Header=BB184_21 Depth=3
	s_or_b64 exec, exec, s[8:9]
	s_and_b64 s[8:9], exec, s[30:31]
	s_or_b64 s[28:29], s[8:9], s[28:29]
	s_andn2_b64 exec, exec, s[28:29]
	s_cbranch_execz .LBB184_23
.LBB184_21:                             ;   Parent Loop BB184_12 Depth=1
                                        ;     Parent Loop BB184_16 Depth=2
                                        ; =>    This Inner Loop Header: Depth=3
	v_add_u32_e32 v24, s36, v55
	v_add_u32_e32 v0, s36, v22
	v_cmp_gt_u32_e32 vcc, s22, v0
	v_cmp_gt_u32_e64 s[8:9], s39, v24
	s_and_b64 s[48:49], s[8:9], vcc
	s_or_b64 s[30:31], s[30:31], exec
	s_and_saveexec_b64 s[8:9], s[48:49]
	s_cbranch_execz .LBB184_20
; %bb.22:                               ;   in Loop: Header=BB184_21 Depth=3
	v_lshl_add_u64 v[24:25], v[0:1], 1, s[14:15]
	global_load_dwordx4 v[24:27], v[24:25], off
	s_add_i32 s36, s36, s40
	s_cmp_ge_u32 s36, s39
	s_cselect_b64 s[48:49], -1, 0
	s_andn2_b64 s[30:31], s[30:31], exec
	s_and_b64 s[48:49], s[48:49], exec
	s_or_b64 s[30:31], s[30:31], s[48:49]
	s_waitcnt vmcnt(0)
	ds_write_b128 v23, v[24:27]
	v_add_u32_e32 v23, s45, v23
	s_branch .LBB184_20
.LBB184_23:                             ;   in Loop: Header=BB184_16 Depth=2
	s_or_b64 exec, exec, s[28:29]
.LBB184_24:                             ;   in Loop: Header=BB184_16 Depth=2
	s_waitcnt lgkmcnt(0)
	s_barrier
	s_and_saveexec_b64 s[8:9], s[6:7]
	s_cbranch_execz .LBB184_15
.LBB184_25:                             ;   in Loop: Header=BB184_16 Depth=2
	v_add_u32_e32 v43, s35, v52
	v_min_u32_e32 v0, s41, v43
	v_lshl_add_u64 v[22:23], v[0:1], 1, s[12:13]
	v_lshl_add_u64 v[24:25], v[44:45], 1, v[22:23]
	;; [unrolled: 1-line block ×3, first 2 shown]
	global_load_dwordx4 v[38:41], v[24:25], off nt
	global_load_dwordx4 v[34:37], v[26:27], off nt
	v_lshl_add_u64 v[26:27], v[48:49], 1, v[22:23]
	v_lshl_add_u64 v[28:29], v[50:51], 1, v[22:23]
	global_load_dwordx4 v[30:33], v[26:27], off nt
	global_load_dwordx4 v[22:25], v[28:29], off nt
	v_cmp_gt_u32_e32 vcc, s20, v43
	v_mov_b32_e32 v28, 0
	v_mov_b32_e32 v29, 0
	v_mov_b32_e32 v26, 0
	v_mov_b32_e32 v27, 0
	s_and_saveexec_b64 s[28:29], vcc
	s_cbranch_execz .LBB184_14
; %bb.26:                               ;   in Loop: Header=BB184_16 Depth=2
	v_subrev_u32_e32 v0, s34, v43
	v_lshlrev_b32_e32 v0, 1, v0
	ds_read_b128 v[26:29], v0
	s_branch .LBB184_14
.LBB184_27:                             ;   in Loop: Header=BB184_12 Depth=1
	v_cmp_le_u32_e32 vcc, s23, v42
	s_and_saveexec_b64 s[6:7], vcc
	s_xor_b64 s[6:7], exec, s[6:7]
; %bb.28:                               ;   in Loop: Header=BB184_12 Depth=1
	v_add_u32_e32 v42, s43, v42
                                        ; implicit-def: $vgpr9
                                        ; implicit-def: $vgpr13
                                        ; implicit-def: $vgpr17
                                        ; implicit-def: $vgpr21
; %bb.29:                               ;   in Loop: Header=BB184_12 Depth=1
	s_andn2_saveexec_b64 s[8:9], s[6:7]
	s_cbranch_execz .LBB184_11
; %bb.30:                               ;   in Loop: Header=BB184_12 Depth=1
	v_cvt_i32_f32_e32 v0, v19
	v_cvt_i32_f32_e32 v19, v20
	;; [unrolled: 1-line block ×4, first 2 shown]
	v_cvt_f32_i32_dpp v0, v0 row_shl:1 row_mask:0xf bank_mask:0xf bound_ctrl:1
	v_cvt_f32_i32_dpp v19, v19 row_shl:2 row_mask:0xf bank_mask:0xf bound_ctrl:1
	v_cvt_i32_f32_e32 v16, v16
	v_cvt_f32_i32_dpp v20, v20 row_shl:3 row_mask:0xf bank_mask:0xf bound_ctrl:1
	v_cvt_i32_f32_e32 v17, v17
	v_cvt_i32_f32_e32 v11, v11
	v_add_f32_e32 v0, v18, v0
	v_cvt_f32_i32_dpp v15, v15 row_shl:1 row_mask:0xf bank_mask:0xf bound_ctrl:1
	v_cvt_i32_f32_e32 v7, v7
	v_add_f32_e32 v0, v0, v19
	v_cvt_f32_i32_dpp v16, v16 row_shl:2 row_mask:0xf bank_mask:0xf bound_ctrl:1
	v_cvt_i32_f32_e32 v12, v12
	v_cvt_i32_f32_e32 v8, v8
	v_add_f32_e32 v0, v0, v20
	v_cvt_f32_i32_dpp v17, v17 row_shl:3 row_mask:0xf bank_mask:0xf bound_ctrl:1
	v_cvt_f32_i32_dpp v11, v11 row_shl:1 row_mask:0xf bank_mask:0xf bound_ctrl:1
	v_cvt_i32_f32_e32 v13, v13
	v_cvt_i32_f32_e32 v9, v9
	;; [unrolled: 1-line block ×3, first 2 shown]
	v_add_f32_e32 v14, v14, v15
	v_cvt_f32_i32_dpp v7, v7 row_shl:1 row_mask:0xf bank_mask:0xf bound_ctrl:1
	v_add_f32_e32 v14, v14, v16
	v_cvt_f32_i32_dpp v12, v12 row_shl:2 row_mask:0xf bank_mask:0xf bound_ctrl:1
	v_cvt_f32_i32_dpp v8, v8 row_shl:2 row_mask:0xf bank_mask:0xf bound_ctrl:1
	v_add_f32_e32 v14, v14, v17
	v_add_f32_e32 v10, v10, v11
	v_cvt_f32_i32_dpp v11, v13 row_shl:3 row_mask:0xf bank_mask:0xf bound_ctrl:1
	v_cvt_f32_i32_dpp v9, v9 row_shl:3 row_mask:0xf bank_mask:0xf bound_ctrl:1
	;; [unrolled: 1-line block ×3, first 2 shown]
	v_cvt_i32_f32_e32 v15, v14
	v_add_f32_e32 v6, v6, v7
	v_add_f32_e32 v10, v10, v12
	;; [unrolled: 1-line block ×6, first 2 shown]
	v_cvt_f32_i32_dpp v15, v15 row_shl:4 row_mask:0xf bank_mask:0xf bound_ctrl:1
	v_cvt_i32_f32_e32 v11, v10
	v_cvt_i32_f32_e32 v7, v6
	;; [unrolled: 1-line block ×3, first 2 shown]
	v_add_f32_e32 v14, v14, v15
	v_cvt_f32_i32_dpp v9, v11 row_shl:4 row_mask:0xf bank_mask:0xf bound_ctrl:1
	v_cvt_f32_i32_dpp v7, v7 row_shl:4 row_mask:0xf bank_mask:0xf bound_ctrl:1
	;; [unrolled: 1-line block ×3, first 2 shown]
	v_cvt_i32_f32_e32 v15, v14
	v_add_f32_e32 v9, v10, v9
	v_add_f32_e32 v6, v6, v7
	v_add_f32_e32 v0, v0, v16
	v_cvt_f32_i32_dpp v8, v15 row_shl:8 row_mask:0xf bank_mask:0xf bound_ctrl:1
	v_cvt_i32_f32_e32 v10, v9
	v_cvt_i32_f32_e32 v7, v6
	;; [unrolled: 1-line block ×3, first 2 shown]
	v_add_f32_e32 v8, v14, v8
	v_cvt_f32_i32_dpp v10, v10 row_shl:8 row_mask:0xf bank_mask:0xf bound_ctrl:1
	v_cvt_f32_i32_dpp v7, v7 row_shl:8 row_mask:0xf bank_mask:0xf bound_ctrl:1
	v_cvt_f32_i32_dpp v0, v0 row_shr:15 row_mask:0xf bank_mask:0xf bound_ctrl:1
	v_cvt_i32_f32_e32 v8, v8
	v_add_f32_e32 v9, v9, v10
	v_add_f32_e32 v6, v6, v7
	v_cvt_i32_f32_e32 v11, v0
	v_cvt_f32_i32_dpp v8, v8 row_shr:15 row_mask:0xf bank_mask:0xf bound_ctrl:1
	v_cvt_i32_f32_e32 v9, v9
	v_cvt_i32_f32_e32 v6, v6
	v_cvt_f32_i32_dpp v7, v11 row_bcast:15 row_mask:0xf bank_mask:0xf bound_ctrl:1
	v_cvt_i32_f32_e32 v10, v8
	v_cvt_f32_i32_dpp v9, v9 row_shr:15 row_mask:0xf bank_mask:0xf bound_ctrl:1
	v_cvt_f32_i32_dpp v6, v6 row_shr:15 row_mask:0xf bank_mask:0xf bound_ctrl:1
	v_add_f32_e32 v15, v0, v7
	v_cvt_f32_i32_dpp v7, v10 row_bcast:15 row_mask:0xf bank_mask:0xf bound_ctrl:1
	v_cvt_i32_f32_e32 v0, v9
	v_cvt_i32_f32_e32 v10, v6
	;; [unrolled: 1-line block ×3, first 2 shown]
	v_add_f32_e32 v12, v8, v7
	v_cvt_f32_i32_dpp v0, v0 row_bcast:15 row_mask:0xf bank_mask:0xf bound_ctrl:1
	v_cvt_f32_i32_dpp v7, v10 row_bcast:15 row_mask:0xf bank_mask:0xf bound_ctrl:1
	v_cvt_i32_f32_e32 v8, v12
	v_mov_b32_dpp v16, v11 row_bcast:31 row_mask:0xf bank_mask:0xf bound_ctrl:1
	v_add_f32_e32 v9, v9, v0
	v_add_f32_e32 v7, v6, v7
	v_cvt_i32_f32_e32 v0, v9
	v_cvt_i32_f32_e32 v6, v7
	v_mov_b32_dpp v13, v8 row_bcast:31 row_mask:0xf bank_mask:0xf bound_ctrl:1
	v_mov_b32_dpp v10, v0 row_bcast:31 row_mask:0xf bank_mask:0xf bound_ctrl:1
	;; [unrolled: 1-line block ×3, first 2 shown]
	s_and_saveexec_b64 s[6:7], s[0:1]
	s_cbranch_execz .LBB184_57
; %bb.31:                               ;   in Loop: Header=BB184_12 Depth=1
	s_andn2_b64 vcc, exec, s[24:25]
	v_mov_b32_e32 v11, 0
	v_add_u32_e32 v0, 2, v42
	v_add_u32_e32 v6, 3, v42
	v_mov_b32_e32 v14, 0
	v_mov_b32_e32 v17, 0
	;; [unrolled: 1-line block ×3, first 2 shown]
	s_cbranch_vccnz .LBB184_33
; %bb.32:                               ;   in Loop: Header=BB184_12 Depth=1
	v_mul_hi_u32 v11, v42, v53
	v_mul_lo_u32 v11, v11, s38
	v_sub_u32_e32 v11, v42, v11
	v_subrev_u32_e32 v14, s38, v11
	v_cmp_le_u32_e32 vcc, s38, v11
	v_mov_b32_e32 v19, v1
	s_nop 0
	v_cndmask_b32_e32 v11, v11, v14, vcc
	v_subrev_u32_e32 v14, s38, v11
	v_cmp_le_u32_e32 vcc, s38, v11
	s_nop 1
	v_cndmask_b32_e32 v18, v11, v14, vcc
	v_add_u32_e32 v11, 1, v42
	v_mul_hi_u32 v14, v11, v53
	v_mul_lo_u32 v14, v14, s38
	v_sub_u32_e32 v11, v11, v14
	v_subrev_u32_e32 v14, s38, v11
	v_cmp_le_u32_e32 vcc, s38, v11
	v_lshl_add_u64 v[20:21], v[18:19], 1, s[16:17]
	s_nop 0
	v_cndmask_b32_e32 v11, v11, v14, vcc
	v_subrev_u32_e32 v14, s38, v11
	v_cmp_le_u32_e32 vcc, s38, v11
	s_nop 1
	v_cndmask_b32_e32 v18, v11, v14, vcc
	v_mul_hi_u32 v11, v0, v53
	v_mul_lo_u32 v11, v11, s38
	v_sub_u32_e32 v11, v0, v11
	v_subrev_u32_e32 v14, s38, v11
	v_cmp_le_u32_e32 vcc, s38, v11
	v_lshl_add_u64 v[22:23], v[18:19], 1, s[16:17]
	s_nop 0
	v_cndmask_b32_e32 v11, v11, v14, vcc
	v_subrev_u32_e32 v14, s38, v11
	v_cmp_le_u32_e32 vcc, s38, v11
	s_nop 1
	v_cndmask_b32_e32 v18, v11, v14, vcc
	;; [unrolled: 12-line block ×3, first 2 shown]
	v_lshl_add_u64 v[26:27], v[18:19], 1, s[16:17]
	global_load_ushort v18, v[20:21], off
	global_load_ushort v17, v[22:23], off
	;; [unrolled: 1-line block ×4, first 2 shown]
.LBB184_33:                             ;   in Loop: Header=BB184_12 Depth=1
	v_cmp_ne_u32_e32 vcc, 0, v2
	s_and_saveexec_b64 s[28:29], vcc
	s_cbranch_execnz .LBB184_37
; %bb.34:                               ;   in Loop: Header=BB184_12 Depth=1
	s_or_b64 exec, exec, s[28:29]
	v_cmp_ne_u32_e32 vcc, 0, v3
	s_and_saveexec_b64 s[28:29], vcc
	s_cbranch_execnz .LBB184_42
.LBB184_35:                             ;   in Loop: Header=BB184_12 Depth=1
	s_or_b64 exec, exec, s[28:29]
	v_cmp_ne_u32_e32 vcc, 0, v4
	s_and_saveexec_b64 s[28:29], vcc
	s_cbranch_execnz .LBB184_47
.LBB184_36:                             ;   in Loop: Header=BB184_12 Depth=1
	s_or_b64 exec, exec, s[28:29]
	v_cmp_ne_u32_e32 vcc, 0, v5
	s_and_b64 exec, exec, vcc
	s_cbranch_execnz .LBB184_52
	s_branch .LBB184_57
.LBB184_37:                             ;   in Loop: Header=BB184_12 Depth=1
	v_cvt_f32_i32_e32 v16, v16
	v_add_f32_e32 v15, v15, v16
	s_waitcnt vmcnt(3)
	v_lshlrev_b32_e32 v16, 16, v18
	v_add_f32_e32 v16, v15, v16
	v_and_b32_e32 v15, 0x7f800000, v16
	v_cmp_ne_u32_e32 vcc, s46, v15
                                        ; implicit-def: $vgpr15
	s_and_saveexec_b64 s[30:31], vcc
	s_xor_b64 s[30:31], exec, s[30:31]
; %bb.38:                               ;   in Loop: Header=BB184_12 Depth=1
	v_bfe_u32 v15, v16, 16, 1
	v_add3_u32 v15, v16, v15, s47
                                        ; implicit-def: $vgpr16
; %bb.39:                               ;   in Loop: Header=BB184_12 Depth=1
	s_andn2_saveexec_b64 s[30:31], s[30:31]
; %bb.40:                               ;   in Loop: Header=BB184_12 Depth=1
	v_or_b32_e32 v15, 0x10000, v16
	v_cmp_eq_u32_sdwa vcc, v16, v1 src0_sel:WORD_0 src1_sel:DWORD
	s_nop 1
	v_cndmask_b32_e32 v15, v15, v16, vcc
; %bb.41:                               ;   in Loop: Header=BB184_12 Depth=1
	s_or_b64 exec, exec, s[30:31]
	v_mov_b32_e32 v43, v1
	v_lshl_add_u64 v[18:19], v[42:43], 1, s[18:19]
	global_store_short_d16_hi v[18:19], v15, off
	s_or_b64 exec, exec, s[28:29]
	v_cmp_ne_u32_e32 vcc, 0, v3
	s_and_saveexec_b64 s[28:29], vcc
	s_cbranch_execz .LBB184_35
.LBB184_42:                             ;   in Loop: Header=BB184_12 Depth=1
	v_cvt_f32_i32_e32 v13, v13
	v_add_f32_e32 v12, v12, v13
	s_waitcnt vmcnt(2)
	v_lshlrev_b32_e32 v13, 16, v17
	v_add_f32_e32 v13, v12, v13
	v_and_b32_e32 v12, 0x7f800000, v13
	v_cmp_ne_u32_e32 vcc, s46, v12
                                        ; implicit-def: $vgpr12
	s_and_saveexec_b64 s[30:31], vcc
	s_xor_b64 s[30:31], exec, s[30:31]
; %bb.43:                               ;   in Loop: Header=BB184_12 Depth=1
	v_bfe_u32 v12, v13, 16, 1
	v_add3_u32 v12, v13, v12, s47
                                        ; implicit-def: $vgpr13
; %bb.44:                               ;   in Loop: Header=BB184_12 Depth=1
	s_andn2_saveexec_b64 s[30:31], s[30:31]
; %bb.45:                               ;   in Loop: Header=BB184_12 Depth=1
	v_or_b32_e32 v12, 0x10000, v13
	v_cmp_eq_u32_sdwa vcc, v13, v1 src0_sel:WORD_0 src1_sel:DWORD
	s_nop 1
	v_cndmask_b32_e32 v12, v12, v13, vcc
; %bb.46:                               ;   in Loop: Header=BB184_12 Depth=1
	s_or_b64 exec, exec, s[30:31]
	v_mov_b32_e32 v43, v1
	v_lshl_add_u64 v[16:17], v[42:43], 1, s[26:27]
	global_store_short_d16_hi v[16:17], v12, off
	s_or_b64 exec, exec, s[28:29]
	v_cmp_ne_u32_e32 vcc, 0, v4
	s_and_saveexec_b64 s[28:29], vcc
	s_cbranch_execz .LBB184_36
.LBB184_47:                             ;   in Loop: Header=BB184_12 Depth=1
	v_cvt_f32_i32_e32 v10, v10
	v_add_f32_e32 v9, v9, v10
	s_waitcnt vmcnt(1)
	v_lshlrev_b32_e32 v10, 16, v14
	v_add_f32_e32 v10, v9, v10
	v_and_b32_e32 v9, 0x7f800000, v10
	v_cmp_ne_u32_e32 vcc, s46, v9
                                        ; implicit-def: $vgpr9
	s_and_saveexec_b64 s[30:31], vcc
	s_xor_b64 s[30:31], exec, s[30:31]
; %bb.48:                               ;   in Loop: Header=BB184_12 Depth=1
	v_bfe_u32 v9, v10, 16, 1
	v_add3_u32 v9, v10, v9, s47
                                        ; implicit-def: $vgpr10
; %bb.49:                               ;   in Loop: Header=BB184_12 Depth=1
	s_andn2_saveexec_b64 s[30:31], s[30:31]
; %bb.50:                               ;   in Loop: Header=BB184_12 Depth=1
	v_or_b32_e32 v9, 0x10000, v10
	v_cmp_eq_u32_sdwa vcc, v10, v1 src0_sel:WORD_0 src1_sel:DWORD
	s_nop 1
	v_cndmask_b32_e32 v9, v9, v10, vcc
; %bb.51:                               ;   in Loop: Header=BB184_12 Depth=1
	s_or_b64 exec, exec, s[30:31]
	v_lshl_add_u64 v[12:13], v[0:1], 1, s[18:19]
	global_store_short_d16_hi v[12:13], v9, off
	s_or_b64 exec, exec, s[28:29]
	v_cmp_ne_u32_e32 vcc, 0, v5
	s_and_b64 exec, exec, vcc
	s_cbranch_execz .LBB184_57
.LBB184_52:                             ;   in Loop: Header=BB184_12 Depth=1
	v_cvt_f32_i32_e32 v0, v8
	v_add_f32_e32 v0, v7, v0
	s_waitcnt vmcnt(0)
	v_lshlrev_b32_e32 v7, 16, v11
	v_add_f32_e32 v7, v0, v7
	v_and_b32_e32 v0, 0x7f800000, v7
	v_cmp_ne_u32_e32 vcc, s46, v0
                                        ; implicit-def: $vgpr0
	s_and_saveexec_b64 s[28:29], vcc
	s_xor_b64 s[28:29], exec, s[28:29]
; %bb.53:                               ;   in Loop: Header=BB184_12 Depth=1
	v_bfe_u32 v0, v7, 16, 1
	v_add3_u32 v0, v7, v0, s47
                                        ; implicit-def: $vgpr7
; %bb.54:                               ;   in Loop: Header=BB184_12 Depth=1
	s_andn2_saveexec_b64 s[28:29], s[28:29]
; %bb.55:                               ;   in Loop: Header=BB184_12 Depth=1
	v_or_b32_e32 v0, 0x10000, v7
	v_cmp_eq_u32_sdwa vcc, v7, v1 src0_sel:WORD_0 src1_sel:DWORD
	s_nop 1
	v_cndmask_b32_e32 v0, v0, v7, vcc
; %bb.56:                               ;   in Loop: Header=BB184_12 Depth=1
	s_or_b64 exec, exec, s[28:29]
	v_mov_b32_e32 v7, v1
	v_lshl_add_u64 v[6:7], v[6:7], 1, s[18:19]
	global_store_short_d16_hi v[6:7], v0, off
.LBB184_57:                             ;   in Loop: Header=BB184_12 Depth=1
	s_or_b64 exec, exec, s[6:7]
	v_add_u32_e32 v42, s43, v42
	v_add_u32_e32 v0, 4, v42
	v_cmp_gt_u32_e32 vcc, s23, v42
	v_cmp_le_u32_e64 s[6:7], s23, v0
	s_and_b64 s[6:7], vcc, s[6:7]
	s_and_saveexec_b64 s[28:29], s[6:7]
	s_cbranch_execz .LBB184_10
; %bb.58:                               ;   in Loop: Header=BB184_12 Depth=1
	v_cmp_ne_u32_e32 vcc, s44, v42
	s_and_saveexec_b64 s[30:31], vcc
	s_cbranch_execz .LBB184_9
; %bb.59:                               ;   in Loop: Header=BB184_12 Depth=1
	v_subrev_u32_e32 v0, s44, v42
	v_cmp_lt_u32_e32 vcc, 1, v0
	s_mov_b64 s[34:35], 0
	s_mov_b64 s[36:37], 0
	v_cndmask_b32_e32 v0, 1, v0, vcc
.LBB184_60:                             ;   Parent Loop BB184_12 Depth=1
                                        ; =>  This Inner Loop Header: Depth=2
	s_cmp_lg_u32 s36, 3
	s_cselect_b64 vcc, -1, 0
	s_cmp_lg_u32 s36, 2
	v_cndmask_b32_e32 v5, 0, v5, vcc
	s_cselect_b64 vcc, -1, 0
	s_cmp_lg_u32 s36, 1
	v_cndmask_b32_e32 v4, 0, v4, vcc
	;; [unrolled: 3-line block ×3, first 2 shown]
	s_cselect_b64 vcc, -1, 0
	s_add_u32 s36, s36, 1
	s_addc_u32 s37, s37, 0
	v_cmp_eq_u32_e64 s[6:7], s36, v0
	s_or_b64 s[34:35], s[6:7], s[34:35]
	v_cndmask_b32_e32 v2, 0, v2, vcc
	s_andn2_b64 exec, exec, s[34:35]
	s_cbranch_execnz .LBB184_60
; %bb.61:                               ;   in Loop: Header=BB184_12 Depth=1
	s_or_b64 exec, exec, s[34:35]
	s_branch .LBB184_9
.LBB184_62:
	s_endpgm
	.section	.rodata,"a",@progbits
	.p2align	6, 0x0
	.amdhsa_kernel _Z16wvSplitK_hf_big_I14__hip_bfloat16Li64ELi4ELi16ELi8ELi1ELi1EEviiiiiiPKT_S3_S3_PS1_ii
		.amdhsa_group_segment_fixed_size 65536
		.amdhsa_private_segment_fixed_size 0
		.amdhsa_kernarg_size 64
		.amdhsa_user_sgpr_count 2
		.amdhsa_user_sgpr_dispatch_ptr 0
		.amdhsa_user_sgpr_queue_ptr 0
		.amdhsa_user_sgpr_kernarg_segment_ptr 1
		.amdhsa_user_sgpr_dispatch_id 0
		.amdhsa_user_sgpr_kernarg_preload_length 0
		.amdhsa_user_sgpr_kernarg_preload_offset 0
		.amdhsa_user_sgpr_private_segment_size 0
		.amdhsa_uses_dynamic_stack 0
		.amdhsa_enable_private_segment 0
		.amdhsa_system_sgpr_workgroup_id_x 1
		.amdhsa_system_sgpr_workgroup_id_y 0
		.amdhsa_system_sgpr_workgroup_id_z 0
		.amdhsa_system_sgpr_workgroup_info 0
		.amdhsa_system_vgpr_workitem_id 1
		.amdhsa_next_free_vgpr 56
		.amdhsa_next_free_sgpr 50
		.amdhsa_accum_offset 56
		.amdhsa_reserve_vcc 1
		.amdhsa_float_round_mode_32 0
		.amdhsa_float_round_mode_16_64 0
		.amdhsa_float_denorm_mode_32 3
		.amdhsa_float_denorm_mode_16_64 3
		.amdhsa_dx10_clamp 1
		.amdhsa_ieee_mode 1
		.amdhsa_fp16_overflow 0
		.amdhsa_tg_split 0
		.amdhsa_exception_fp_ieee_invalid_op 0
		.amdhsa_exception_fp_denorm_src 0
		.amdhsa_exception_fp_ieee_div_zero 0
		.amdhsa_exception_fp_ieee_overflow 0
		.amdhsa_exception_fp_ieee_underflow 0
		.amdhsa_exception_fp_ieee_inexact 0
		.amdhsa_exception_int_div_zero 0
	.end_amdhsa_kernel
	.section	.text._Z16wvSplitK_hf_big_I14__hip_bfloat16Li64ELi4ELi16ELi8ELi1ELi1EEviiiiiiPKT_S3_S3_PS1_ii,"axG",@progbits,_Z16wvSplitK_hf_big_I14__hip_bfloat16Li64ELi4ELi16ELi8ELi1ELi1EEviiiiiiPKT_S3_S3_PS1_ii,comdat
.Lfunc_end184:
	.size	_Z16wvSplitK_hf_big_I14__hip_bfloat16Li64ELi4ELi16ELi8ELi1ELi1EEviiiiiiPKT_S3_S3_PS1_ii, .Lfunc_end184-_Z16wvSplitK_hf_big_I14__hip_bfloat16Li64ELi4ELi16ELi8ELi1ELi1EEviiiiiiPKT_S3_S3_PS1_ii
                                        ; -- End function
	.section	.AMDGPU.csdata,"",@progbits
; Kernel info:
; codeLenInByte = 2844
; NumSgprs: 56
; NumVgprs: 56
; NumAgprs: 0
; TotalNumVgprs: 56
; ScratchSize: 0
; MemoryBound: 0
; FloatMode: 240
; IeeeMode: 1
; LDSByteSize: 65536 bytes/workgroup (compile time only)
; SGPRBlocks: 6
; VGPRBlocks: 6
; NumSGPRsForWavesPerEU: 56
; NumVGPRsForWavesPerEU: 56
; AccumOffset: 56
; Occupancy: 4
; WaveLimiterHint : 0
; COMPUTE_PGM_RSRC2:SCRATCH_EN: 0
; COMPUTE_PGM_RSRC2:USER_SGPR: 2
; COMPUTE_PGM_RSRC2:TRAP_HANDLER: 0
; COMPUTE_PGM_RSRC2:TGID_X_EN: 1
; COMPUTE_PGM_RSRC2:TGID_Y_EN: 0
; COMPUTE_PGM_RSRC2:TGID_Z_EN: 0
; COMPUTE_PGM_RSRC2:TIDIG_COMP_CNT: 1
; COMPUTE_PGM_RSRC3_GFX90A:ACCUM_OFFSET: 13
; COMPUTE_PGM_RSRC3_GFX90A:TG_SPLIT: 0
	.section	.text._Z16wvSplitK_hf_sml_I14__hip_bfloat16Li64ELi4ELi16ELi8ELi2ELi1EEviiiiiiPKT_S3_S3_PS1_ii,"axG",@progbits,_Z16wvSplitK_hf_sml_I14__hip_bfloat16Li64ELi4ELi16ELi8ELi2ELi1EEviiiiiiPKT_S3_S3_PS1_ii,comdat
	.protected	_Z16wvSplitK_hf_sml_I14__hip_bfloat16Li64ELi4ELi16ELi8ELi2ELi1EEviiiiiiPKT_S3_S3_PS1_ii ; -- Begin function _Z16wvSplitK_hf_sml_I14__hip_bfloat16Li64ELi4ELi16ELi8ELi2ELi1EEviiiiiiPKT_S3_S3_PS1_ii
	.globl	_Z16wvSplitK_hf_sml_I14__hip_bfloat16Li64ELi4ELi16ELi8ELi2ELi1EEviiiiiiPKT_S3_S3_PS1_ii
	.p2align	8
	.type	_Z16wvSplitK_hf_sml_I14__hip_bfloat16Li64ELi4ELi16ELi8ELi2ELi1EEviiiiiiPKT_S3_S3_PS1_ii,@function
_Z16wvSplitK_hf_sml_I14__hip_bfloat16Li64ELi4ELi16ELi8ELi2ELi1EEviiiiiiPKT_S3_S3_PS1_ii: ; @_Z16wvSplitK_hf_sml_I14__hip_bfloat16Li64ELi4ELi16ELi8ELi2ELi1EEviiiiiiPKT_S3_S3_PS1_ii
; %bb.0:
	s_load_dwordx4 s[4:7], s[0:1], 0x0
	s_load_dword s22, s[0:1], 0x10
	s_load_dwordx2 s[8:9], s[0:1], 0x28
	v_and_b32_e32 v2, 0x3ff, v0
	v_bfe_u32 v3, v0, 10, 10
	v_lshlrev_b32_e32 v68, 3, v2
	v_lshl_add_u32 v4, v3, 9, v68
	s_waitcnt lgkmcnt(0)
	s_min_u32 s3, s6, 0x8000
	v_cmp_gt_u32_e32 vcc, s3, v4
	s_and_saveexec_b64 s[10:11], vcc
	s_cbranch_execz .LBB185_3
; %bb.1:
	s_load_dwordx2 s[12:13], s[0:1], 0x20
	v_mov_b32_e32 v7, 0
	v_lshlrev_b32_e32 v6, 10, v3
	v_lshlrev_b32_e32 v8, 4, v2
	v_mov_b32_e32 v9, v7
	v_lshl_add_u64 v[0:1], v[6:7], 0, v[8:9]
	s_waitcnt lgkmcnt(0)
	v_lshl_add_u64 v[0:1], s[12:13], 0, v[0:1]
	v_add_u32_e32 v5, v6, v8
	s_mov_b64 s[12:13], 0
	s_mov_b64 s[14:15], 0x4000
.LBB185_2:                              ; =>This Inner Loop Header: Depth=1
	global_load_dwordx4 v[6:9], v[0:1], off
	v_add_u32_e32 v4, 0x2000, v4
	v_cmp_le_u32_e32 vcc, s3, v4
	v_lshl_add_u64 v[0:1], v[0:1], 0, s[14:15]
	s_or_b64 s[12:13], vcc, s[12:13]
	s_waitcnt vmcnt(0)
	ds_write_b128 v5, v[6:9]
	v_add_u32_e32 v5, 0x4000, v5
	s_andn2_b64 exec, exec, s[12:13]
	s_cbranch_execnz .LBB185_2
.LBB185_3:
	s_or_b64 exec, exec, s[10:11]
	s_load_dwordx2 s[14:15], s[0:1], 0x38
	s_waitcnt lgkmcnt(0)
	s_barrier
	v_cmp_gt_u32_e32 vcc, s14, v3
	s_and_saveexec_b64 s[10:11], vcc
	s_cbranch_execz .LBB185_34
; %bb.4:
	s_mul_i32 s2, s2, s14
	v_add_lshl_u32 v56, s2, v3, 2
	v_cmp_gt_u32_e32 vcc, s7, v56
	s_and_b64 exec, exec, vcc
	s_cbranch_execz .LBB185_34
; %bb.5:
	v_cvt_f32_u32_e32 v0, s22
	s_cmp_lg_u32 s4, 0
	s_cselect_b64 s[2:3], -1, 0
	s_add_i32 s6, s4, -8
	v_rcp_iflag_f32_e32 v0, v0
	s_add_i32 s23, s7, -1
	s_mul_i32 s18, s14, s15
	s_cmp_lg_u64 s[8:9], 0
	v_mul_f32_e32 v0, 0x4f7ffffe, v0
	v_cvt_u32_f32_e32 v0, v0
	s_load_dwordx2 s[10:11], s[0:1], 0x18
	s_load_dwordx2 s[12:13], s[0:1], 0x30
	s_cselect_b64 s[16:17], -1, 0
	s_lshl_b32 s24, s18, 2
	s_sub_i32 s18, 0, s22
	v_mul_lo_u32 v1, s18, v0
	v_mul_hi_u32 v1, v0, v1
	v_add_u32_e32 v69, v0, v1
	v_cndmask_b32_e64 v0, 0, 1, s[2:3]
	v_cmp_eq_u32_e64 s[0:1], 63, v2
	s_mov_b64 s[14:15], 0
	v_mov_b32_e32 v59, 0
	v_lshlrev_b32_e32 v70, 4, v2
	v_cmp_ne_u32_e64 s[2:3], 1, v0
	s_mov_b32 s25, 0x7f800000
	s_movk_i32 s26, 0x7fff
	s_branch .LBB185_8
.LBB185_6:                              ;   in Loop: Header=BB185_8 Depth=1
	s_or_b64 exec, exec, s[20:21]
	global_store_short_d16_hi v[0:1], v3, off offset:6
.LBB185_7:                              ;   in Loop: Header=BB185_8 Depth=1
	s_or_b64 exec, exec, s[18:19]
	v_add_u32_e32 v56, s24, v56
	v_cmp_le_u32_e32 vcc, s7, v56
	s_or_b64 s[14:15], vcc, s[14:15]
	s_andn2_b64 exec, exec, s[14:15]
	s_cbranch_execz .LBB185_34
.LBB185_8:                              ; =>This Loop Header: Depth=1
                                        ;     Child Loop BB185_12 Depth 2
	s_and_b64 vcc, exec, s[2:3]
	v_mov_b32_e32 v3, v59
	v_mov_b32_e32 v2, v59
	;; [unrolled: 1-line block ×16, first 2 shown]
	s_cbranch_vccnz .LBB185_15
; %bb.9:                                ;   in Loop: Header=BB185_8 Depth=1
	v_min_u32_e32 v0, s23, v56
	v_mul_lo_u32 v58, v0, s5
	v_or_b32_e32 v0, 1, v56
	v_or_b32_e32 v2, 2, v56
	;; [unrolled: 1-line block ×3, first 2 shown]
	v_min_u32_e32 v0, s23, v0
	v_min_u32_e32 v2, s23, v2
	;; [unrolled: 1-line block ×3, first 2 shown]
	v_mul_lo_u32 v0, v0, s5
	v_mov_b32_e32 v1, v59
	v_mul_lo_u32 v2, v2, s5
	v_mov_b32_e32 v3, v59
	;; [unrolled: 2-line block ×3, first 2 shown]
	v_mov_b32_e32 v12, 0
	s_mov_b32 s27, 0
	v_lshlrev_b64 v[60:61], 1, v[58:59]
	v_lshlrev_b64 v[62:63], 1, v[0:1]
	;; [unrolled: 1-line block ×4, first 2 shown]
	v_mov_b32_e32 v57, v70
	v_mov_b32_e32 v13, v12
	;; [unrolled: 1-line block ×16, first 2 shown]
	s_branch .LBB185_12
.LBB185_10:                             ;   in Loop: Header=BB185_12 Depth=2
	s_or_b64 exec, exec, s[20:21]
.LBB185_11:                             ;   in Loop: Header=BB185_12 Depth=2
	s_or_b64 exec, exec, s[18:19]
	s_waitcnt vmcnt(7) lgkmcnt(0)
	v_mfma_f32_4x4x4_16b_bf16 v[12:15], v[52:53], v[48:49], v[12:15]
	s_addk_i32 s27, 0x400
	s_waitcnt vmcnt(6)
	v_mfma_f32_4x4x4_16b_bf16 v[8:11], v[52:53], v[44:45], v[8:11]
	v_add_u32_e32 v57, 0x800, v57
	s_waitcnt vmcnt(5)
	v_mfma_f32_4x4x4_16b_bf16 v[4:7], v[52:53], v[40:41], v[4:7]
	s_cmp_ge_u32 s27, s4
	s_waitcnt vmcnt(4)
	v_mfma_f32_4x4x4_16b_bf16 v[0:3], v[52:53], v[32:33], v[0:3]
	v_mfma_f32_4x4x4_16b_bf16 v[12:15], v[54:55], v[50:51], v[12:15]
	;; [unrolled: 1-line block ×5, first 2 shown]
	s_waitcnt vmcnt(3)
	v_mfma_f32_4x4x4_16b_bf16 v[12:15], v[20:21], v[36:37], v[12:15]
	s_waitcnt vmcnt(2)
	v_mfma_f32_4x4x4_16b_bf16 v[8:11], v[20:21], v[28:29], v[8:11]
	;; [unrolled: 2-line block ×4, first 2 shown]
	v_mfma_f32_4x4x4_16b_bf16 v[12:15], v[22:23], v[38:39], v[12:15]
	v_mfma_f32_4x4x4_16b_bf16 v[8:11], v[22:23], v[30:31], v[8:11]
	;; [unrolled: 1-line block ×4, first 2 shown]
	s_cbranch_scc1 .LBB185_15
.LBB185_12:                             ;   Parent Loop BB185_8 Depth=1
                                        ; =>  This Inner Loop Header: Depth=2
	v_add_u32_e32 v22, s27, v68
	v_min_u32_e32 v58, s6, v22
	s_waitcnt lgkmcnt(0)
	v_lshl_add_u64 v[16:17], v[58:59], 1, s[10:11]
	v_lshl_add_u64 v[18:19], v[16:17], 0, v[60:61]
	v_add_u32_e32 v71, 0x200, v22
	v_lshl_add_u64 v[20:21], v[16:17], 0, v[62:63]
	global_load_dwordx4 v[48:51], v[18:19], off nt
	global_load_dwordx4 v[44:47], v[20:21], off nt
	v_lshl_add_u64 v[18:19], v[16:17], 0, v[64:65]
	v_lshl_add_u64 v[16:17], v[16:17], 0, v[66:67]
	v_min_u32_e32 v58, s6, v71
	global_load_dwordx4 v[40:43], v[18:19], off nt
	global_load_dwordx4 v[32:35], v[16:17], off nt
	v_lshl_add_u64 v[16:17], v[58:59], 1, s[10:11]
	v_lshl_add_u64 v[18:19], v[16:17], 0, v[60:61]
	;; [unrolled: 1-line block ×3, first 2 shown]
	global_load_dwordx4 v[36:39], v[18:19], off nt
	global_load_dwordx4 v[28:31], v[20:21], off nt
	v_lshl_add_u64 v[18:19], v[16:17], 0, v[64:65]
	v_lshl_add_u64 v[16:17], v[16:17], 0, v[66:67]
	global_load_dwordx4 v[24:27], v[18:19], off nt
	s_nop 0
	global_load_dwordx4 v[16:19], v[16:17], off nt
	v_cmp_gt_u32_e32 vcc, s4, v22
	v_mov_b32_e32 v52, 0
	v_mov_b32_e32 v53, 0
	v_mov_b32_e32 v54, 0
	v_mov_b32_e32 v55, 0
	v_mov_b32_e32 v20, 0
	v_mov_b32_e32 v21, 0
	v_mov_b32_e32 v22, 0
	v_mov_b32_e32 v23, 0
	s_and_saveexec_b64 s[18:19], vcc
	s_cbranch_execz .LBB185_11
; %bb.13:                               ;   in Loop: Header=BB185_12 Depth=2
	ds_read_b128 v[52:55], v57
	v_cmp_gt_u32_e32 vcc, s4, v71
	v_mov_b32_e32 v23, 0
	v_mov_b32_e32 v22, 0
	;; [unrolled: 1-line block ×4, first 2 shown]
	s_and_saveexec_b64 s[20:21], vcc
	s_cbranch_execz .LBB185_10
; %bb.14:                               ;   in Loop: Header=BB185_12 Depth=2
	ds_read_b128 v[20:23], v57 offset:1024
	s_branch .LBB185_10
.LBB185_15:                             ;   in Loop: Header=BB185_8 Depth=1
	; sched_barrier mask(0x00000000)
	s_nop 0
	v_cvt_i32_f32_e32 v13, v13
	v_cvt_i32_f32_e32 v14, v14
	;; [unrolled: 1-line block ×4, first 2 shown]
	v_cvt_f32_i32_dpp v13, v13 row_shl:1 row_mask:0xf bank_mask:0xf bound_ctrl:1
	v_cvt_f32_i32_dpp v14, v14 row_shl:2 row_mask:0xf bank_mask:0xf bound_ctrl:1
	v_cvt_i32_f32_e32 v10, v10
	v_cvt_f32_i32_dpp v15, v15 row_shl:3 row_mask:0xf bank_mask:0xf bound_ctrl:1
	v_cvt_i32_f32_e32 v11, v11
	v_cvt_i32_f32_e32 v5, v5
	v_add_f32_e32 v12, v12, v13
	v_cvt_f32_i32_dpp v9, v9 row_shl:1 row_mask:0xf bank_mask:0xf bound_ctrl:1
	v_cvt_i32_f32_e32 v1, v1
	v_add_f32_e32 v12, v12, v14
	v_cvt_f32_i32_dpp v10, v10 row_shl:2 row_mask:0xf bank_mask:0xf bound_ctrl:1
	v_cvt_i32_f32_e32 v6, v6
	v_cvt_i32_f32_e32 v2, v2
	v_add_f32_e32 v12, v12, v15
	v_cvt_f32_i32_dpp v11, v11 row_shl:3 row_mask:0xf bank_mask:0xf bound_ctrl:1
	v_cvt_f32_i32_dpp v5, v5 row_shl:1 row_mask:0xf bank_mask:0xf bound_ctrl:1
	v_cvt_i32_f32_e32 v7, v7
	v_cvt_i32_f32_e32 v3, v3
	;; [unrolled: 1-line block ×3, first 2 shown]
	v_add_f32_e32 v8, v8, v9
	v_cvt_f32_i32_dpp v1, v1 row_shl:1 row_mask:0xf bank_mask:0xf bound_ctrl:1
	v_add_f32_e32 v8, v8, v10
	v_cvt_f32_i32_dpp v6, v6 row_shl:2 row_mask:0xf bank_mask:0xf bound_ctrl:1
	v_cvt_f32_i32_dpp v2, v2 row_shl:2 row_mask:0xf bank_mask:0xf bound_ctrl:1
	v_add_f32_e32 v8, v8, v11
	v_add_f32_e32 v4, v4, v5
	v_cvt_f32_i32_dpp v5, v7 row_shl:3 row_mask:0xf bank_mask:0xf bound_ctrl:1
	v_cvt_f32_i32_dpp v3, v3 row_shl:3 row_mask:0xf bank_mask:0xf bound_ctrl:1
	;; [unrolled: 1-line block ×3, first 2 shown]
	v_cvt_i32_f32_e32 v10, v8
	v_add_f32_e32 v0, v0, v1
	v_add_f32_e32 v4, v4, v6
	;; [unrolled: 1-line block ×6, first 2 shown]
	v_cvt_f32_i32_dpp v10, v10 row_shl:4 row_mask:0xf bank_mask:0xf bound_ctrl:1
	v_cvt_i32_f32_e32 v5, v4
	v_cvt_i32_f32_e32 v1, v0
	;; [unrolled: 1-line block ×3, first 2 shown]
	v_add_f32_e32 v8, v8, v10
	v_cvt_f32_i32_dpp v3, v5 row_shl:4 row_mask:0xf bank_mask:0xf bound_ctrl:1
	v_cvt_f32_i32_dpp v1, v1 row_shl:4 row_mask:0xf bank_mask:0xf bound_ctrl:1
	;; [unrolled: 1-line block ×3, first 2 shown]
	v_cvt_i32_f32_e32 v10, v8
	v_add_f32_e32 v3, v4, v3
	v_add_f32_e32 v0, v0, v1
	;; [unrolled: 1-line block ×3, first 2 shown]
	v_cvt_f32_i32_dpp v2, v10 row_shl:8 row_mask:0xf bank_mask:0xf bound_ctrl:1
	v_cvt_i32_f32_e32 v4, v3
	v_cvt_i32_f32_e32 v1, v0
	;; [unrolled: 1-line block ×3, first 2 shown]
	v_add_f32_e32 v2, v8, v2
	v_cvt_f32_i32_dpp v4, v4 row_shl:8 row_mask:0xf bank_mask:0xf bound_ctrl:1
	v_cvt_f32_i32_dpp v1, v1 row_shl:8 row_mask:0xf bank_mask:0xf bound_ctrl:1
	v_cvt_f32_i32_dpp v5, v9 row_shr:15 row_mask:0xf bank_mask:0xf bound_ctrl:1
	v_cvt_i32_f32_e32 v2, v2
	v_add_f32_e32 v3, v3, v4
	v_add_f32_e32 v0, v0, v1
	v_cvt_i32_f32_e32 v6, v5
	v_cvt_f32_i32_dpp v2, v2 row_shr:15 row_mask:0xf bank_mask:0xf bound_ctrl:1
	v_cvt_i32_f32_e32 v3, v3
	v_cvt_i32_f32_e32 v0, v0
	v_cvt_f32_i32_dpp v1, v6 row_bcast:15 row_mask:0xf bank_mask:0xf bound_ctrl:1
	v_cvt_i32_f32_e32 v4, v2
	v_cvt_f32_i32_dpp v3, v3 row_shr:15 row_mask:0xf bank_mask:0xf bound_ctrl:1
	v_cvt_f32_i32_dpp v0, v0 row_shr:15 row_mask:0xf bank_mask:0xf bound_ctrl:1
	v_add_f32_e32 v1, v5, v1
	v_cvt_f32_i32_dpp v4, v4 row_bcast:15 row_mask:0xf bank_mask:0xf bound_ctrl:1
	v_cvt_i32_f32_e32 v5, v3
	v_cvt_i32_f32_e32 v7, v0
	;; [unrolled: 1-line block ×3, first 2 shown]
	v_add_f32_e32 v6, v2, v4
	v_cvt_f32_i32_dpp v5, v5 row_bcast:15 row_mask:0xf bank_mask:0xf bound_ctrl:1
	v_cvt_f32_i32_dpp v2, v7 row_bcast:15 row_mask:0xf bank_mask:0xf bound_ctrl:1
	v_cvt_i32_f32_e32 v7, v6
	v_mov_b32_dpp v9, v8 row_bcast:31 row_mask:0xf bank_mask:0xf bound_ctrl:1
	v_add_f32_e32 v4, v3, v5
	v_add_f32_e32 v2, v0, v2
	v_cvt_i32_f32_e32 v3, v4
	v_cvt_i32_f32_e32 v10, v2
	v_mov_b32_dpp v0, v7 row_bcast:31 row_mask:0xf bank_mask:0xf bound_ctrl:1
	v_mov_b32_dpp v5, v3 row_bcast:31 row_mask:0xf bank_mask:0xf bound_ctrl:1
	;; [unrolled: 1-line block ×3, first 2 shown]
	s_and_saveexec_b64 s[18:19], s[0:1]
	s_cbranch_execz .LBB185_7
; %bb.16:                               ;   in Loop: Header=BB185_8 Depth=1
	s_andn2_b64 vcc, exec, s[16:17]
	v_mov_b32_e32 v7, 0
	v_mov_b32_e32 v8, 0
	;; [unrolled: 1-line block ×4, first 2 shown]
	s_cbranch_vccnz .LBB185_18
; %bb.17:                               ;   in Loop: Header=BB185_8 Depth=1
	v_mul_hi_u32 v7, v56, v69
	v_mul_lo_u32 v7, v7, s22
	v_sub_u32_e32 v7, v56, v7
	v_subrev_u32_e32 v8, s22, v7
	v_cmp_le_u32_e32 vcc, s22, v7
	s_nop 1
	v_cndmask_b32_e32 v7, v7, v8, vcc
	v_subrev_u32_e32 v8, s22, v7
	v_cmp_le_u32_e32 vcc, s22, v7
	s_nop 1
	v_cndmask_b32_e32 v58, v7, v8, vcc
	v_or_b32_e32 v7, 1, v56
	v_mul_hi_u32 v8, v7, v69
	v_mul_lo_u32 v8, v8, s22
	v_sub_u32_e32 v7, v7, v8
	v_subrev_u32_e32 v8, s22, v7
	v_cmp_le_u32_e32 vcc, s22, v7
	v_lshl_add_u64 v[12:13], v[58:59], 1, s[8:9]
	s_nop 0
	v_cndmask_b32_e32 v7, v7, v8, vcc
	v_subrev_u32_e32 v8, s22, v7
	v_cmp_le_u32_e32 vcc, s22, v7
	s_nop 1
	v_cndmask_b32_e32 v58, v7, v8, vcc
	v_or_b32_e32 v7, 2, v56
	v_mul_hi_u32 v8, v7, v69
	v_mul_lo_u32 v8, v8, s22
	v_sub_u32_e32 v7, v7, v8
	v_subrev_u32_e32 v8, s22, v7
	v_cmp_le_u32_e32 vcc, s22, v7
	v_lshl_add_u64 v[14:15], v[58:59], 1, s[8:9]
	;; [unrolled: 13-line block ×3, first 2 shown]
	s_nop 0
	v_cndmask_b32_e32 v7, v7, v8, vcc
	v_subrev_u32_e32 v8, s22, v7
	v_cmp_le_u32_e32 vcc, s22, v7
	s_nop 1
	v_cndmask_b32_e32 v58, v7, v8, vcc
	v_lshl_add_u64 v[18:19], v[58:59], 1, s[8:9]
	global_load_ushort v11, v[12:13], off
	global_load_ushort v10, v[14:15], off
	global_load_ushort v8, v[16:17], off
	global_load_ushort v7, v[18:19], off
.LBB185_18:                             ;   in Loop: Header=BB185_8 Depth=1
	v_cvt_f32_i32_e32 v9, v9
	v_add_f32_e32 v1, v1, v9
	s_waitcnt vmcnt(3)
	v_lshlrev_b32_e32 v9, 16, v11
	v_add_f32_e32 v1, v1, v9
	v_and_b32_e32 v9, 0x7f800000, v1
	v_cmp_ne_u32_e32 vcc, s25, v9
                                        ; implicit-def: $vgpr9
	s_and_saveexec_b64 s[20:21], vcc
	s_xor_b64 s[20:21], exec, s[20:21]
; %bb.19:                               ;   in Loop: Header=BB185_8 Depth=1
	v_bfe_u32 v9, v1, 16, 1
	v_add3_u32 v9, v1, v9, s26
                                        ; implicit-def: $vgpr1
; %bb.20:                               ;   in Loop: Header=BB185_8 Depth=1
	s_andn2_saveexec_b64 s[20:21], s[20:21]
; %bb.21:                               ;   in Loop: Header=BB185_8 Depth=1
	v_or_b32_e32 v9, 0x10000, v1
	v_cmp_eq_u32_sdwa vcc, v1, v59 src0_sel:WORD_0 src1_sel:DWORD
	s_nop 1
	v_cndmask_b32_e32 v9, v9, v1, vcc
; %bb.22:                               ;   in Loop: Header=BB185_8 Depth=1
	s_or_b64 exec, exec, s[20:21]
	v_cvt_f32_i32_e32 v11, v0
	v_mov_b32_e32 v57, v59
	s_waitcnt lgkmcnt(0)
	v_lshl_add_u64 v[0:1], v[56:57], 1, s[12:13]
	global_store_short_d16_hi v[0:1], v9, off
	v_add_f32_e32 v6, v6, v11
	s_waitcnt vmcnt(3)
	v_lshlrev_b32_e32 v9, 16, v10
	v_add_f32_e32 v6, v6, v9
	v_and_b32_e32 v9, 0x7f800000, v6
	v_cmp_ne_u32_e32 vcc, s25, v9
                                        ; implicit-def: $vgpr9
	s_and_saveexec_b64 s[20:21], vcc
	s_xor_b64 s[20:21], exec, s[20:21]
; %bb.23:                               ;   in Loop: Header=BB185_8 Depth=1
	v_bfe_u32 v9, v6, 16, 1
	v_add3_u32 v9, v6, v9, s26
                                        ; implicit-def: $vgpr6
; %bb.24:                               ;   in Loop: Header=BB185_8 Depth=1
	s_andn2_saveexec_b64 s[20:21], s[20:21]
; %bb.25:                               ;   in Loop: Header=BB185_8 Depth=1
	v_or_b32_e32 v9, 0x10000, v6
	v_cmp_eq_u32_sdwa vcc, v6, v59 src0_sel:WORD_0 src1_sel:DWORD
	s_nop 1
	v_cndmask_b32_e32 v9, v9, v6, vcc
; %bb.26:                               ;   in Loop: Header=BB185_8 Depth=1
	s_or_b64 exec, exec, s[20:21]
	v_cvt_f32_i32_e32 v5, v5
	global_store_short_d16_hi v[0:1], v9, off offset:2
	v_add_f32_e32 v4, v4, v5
	s_waitcnt vmcnt(3)
	v_lshlrev_b32_e32 v5, 16, v8
	v_add_f32_e32 v4, v4, v5
	v_and_b32_e32 v5, 0x7f800000, v4
	v_cmp_ne_u32_e32 vcc, s25, v5
                                        ; implicit-def: $vgpr5
	s_and_saveexec_b64 s[20:21], vcc
	s_xor_b64 s[20:21], exec, s[20:21]
; %bb.27:                               ;   in Loop: Header=BB185_8 Depth=1
	v_bfe_u32 v5, v4, 16, 1
	v_add3_u32 v5, v4, v5, s26
                                        ; implicit-def: $vgpr4
; %bb.28:                               ;   in Loop: Header=BB185_8 Depth=1
	s_andn2_saveexec_b64 s[20:21], s[20:21]
; %bb.29:                               ;   in Loop: Header=BB185_8 Depth=1
	v_or_b32_e32 v5, 0x10000, v4
	v_cmp_eq_u32_sdwa vcc, v4, v59 src0_sel:WORD_0 src1_sel:DWORD
	s_nop 1
	v_cndmask_b32_e32 v5, v5, v4, vcc
; %bb.30:                               ;   in Loop: Header=BB185_8 Depth=1
	s_or_b64 exec, exec, s[20:21]
	v_cvt_f32_i32_e32 v3, v3
	global_store_short_d16_hi v[0:1], v5, off offset:4
	v_add_f32_e32 v2, v2, v3
	s_waitcnt vmcnt(3)
	v_lshlrev_b32_e32 v3, 16, v7
	v_add_f32_e32 v2, v2, v3
	v_and_b32_e32 v3, 0x7f800000, v2
	v_cmp_ne_u32_e32 vcc, s25, v3
                                        ; implicit-def: $vgpr3
	s_and_saveexec_b64 s[20:21], vcc
	s_xor_b64 s[20:21], exec, s[20:21]
; %bb.31:                               ;   in Loop: Header=BB185_8 Depth=1
	v_bfe_u32 v3, v2, 16, 1
	v_add3_u32 v3, v2, v3, s26
                                        ; implicit-def: $vgpr2
; %bb.32:                               ;   in Loop: Header=BB185_8 Depth=1
	s_andn2_saveexec_b64 s[20:21], s[20:21]
	s_cbranch_execz .LBB185_6
; %bb.33:                               ;   in Loop: Header=BB185_8 Depth=1
	v_or_b32_e32 v3, 0x10000, v2
	v_cmp_eq_u32_sdwa vcc, v2, v59 src0_sel:WORD_0 src1_sel:DWORD
	s_nop 1
	v_cndmask_b32_e32 v3, v3, v2, vcc
	s_branch .LBB185_6
.LBB185_34:
	s_endpgm
	.section	.rodata,"a",@progbits
	.p2align	6, 0x0
	.amdhsa_kernel _Z16wvSplitK_hf_sml_I14__hip_bfloat16Li64ELi4ELi16ELi8ELi2ELi1EEviiiiiiPKT_S3_S3_PS1_ii
		.amdhsa_group_segment_fixed_size 65536
		.amdhsa_private_segment_fixed_size 0
		.amdhsa_kernarg_size 64
		.amdhsa_user_sgpr_count 2
		.amdhsa_user_sgpr_dispatch_ptr 0
		.amdhsa_user_sgpr_queue_ptr 0
		.amdhsa_user_sgpr_kernarg_segment_ptr 1
		.amdhsa_user_sgpr_dispatch_id 0
		.amdhsa_user_sgpr_kernarg_preload_length 0
		.amdhsa_user_sgpr_kernarg_preload_offset 0
		.amdhsa_user_sgpr_private_segment_size 0
		.amdhsa_uses_dynamic_stack 0
		.amdhsa_enable_private_segment 0
		.amdhsa_system_sgpr_workgroup_id_x 1
		.amdhsa_system_sgpr_workgroup_id_y 0
		.amdhsa_system_sgpr_workgroup_id_z 0
		.amdhsa_system_sgpr_workgroup_info 0
		.amdhsa_system_vgpr_workitem_id 1
		.amdhsa_next_free_vgpr 72
		.amdhsa_next_free_sgpr 28
		.amdhsa_accum_offset 72
		.amdhsa_reserve_vcc 1
		.amdhsa_float_round_mode_32 0
		.amdhsa_float_round_mode_16_64 0
		.amdhsa_float_denorm_mode_32 3
		.amdhsa_float_denorm_mode_16_64 3
		.amdhsa_dx10_clamp 1
		.amdhsa_ieee_mode 1
		.amdhsa_fp16_overflow 0
		.amdhsa_tg_split 0
		.amdhsa_exception_fp_ieee_invalid_op 0
		.amdhsa_exception_fp_denorm_src 0
		.amdhsa_exception_fp_ieee_div_zero 0
		.amdhsa_exception_fp_ieee_overflow 0
		.amdhsa_exception_fp_ieee_underflow 0
		.amdhsa_exception_fp_ieee_inexact 0
		.amdhsa_exception_int_div_zero 0
	.end_amdhsa_kernel
	.section	.text._Z16wvSplitK_hf_sml_I14__hip_bfloat16Li64ELi4ELi16ELi8ELi2ELi1EEviiiiiiPKT_S3_S3_PS1_ii,"axG",@progbits,_Z16wvSplitK_hf_sml_I14__hip_bfloat16Li64ELi4ELi16ELi8ELi2ELi1EEviiiiiiPKT_S3_S3_PS1_ii,comdat
.Lfunc_end185:
	.size	_Z16wvSplitK_hf_sml_I14__hip_bfloat16Li64ELi4ELi16ELi8ELi2ELi1EEviiiiiiPKT_S3_S3_PS1_ii, .Lfunc_end185-_Z16wvSplitK_hf_sml_I14__hip_bfloat16Li64ELi4ELi16ELi8ELi2ELi1EEviiiiiiPKT_S3_S3_PS1_ii
                                        ; -- End function
	.section	.AMDGPU.csdata,"",@progbits
; Kernel info:
; codeLenInByte = 2336
; NumSgprs: 34
; NumVgprs: 72
; NumAgprs: 0
; TotalNumVgprs: 72
; ScratchSize: 0
; MemoryBound: 0
; FloatMode: 240
; IeeeMode: 1
; LDSByteSize: 65536 bytes/workgroup (compile time only)
; SGPRBlocks: 4
; VGPRBlocks: 8
; NumSGPRsForWavesPerEU: 34
; NumVGPRsForWavesPerEU: 72
; AccumOffset: 72
; Occupancy: 4
; WaveLimiterHint : 0
; COMPUTE_PGM_RSRC2:SCRATCH_EN: 0
; COMPUTE_PGM_RSRC2:USER_SGPR: 2
; COMPUTE_PGM_RSRC2:TRAP_HANDLER: 0
; COMPUTE_PGM_RSRC2:TGID_X_EN: 1
; COMPUTE_PGM_RSRC2:TGID_Y_EN: 0
; COMPUTE_PGM_RSRC2:TGID_Z_EN: 0
; COMPUTE_PGM_RSRC2:TIDIG_COMP_CNT: 1
; COMPUTE_PGM_RSRC3_GFX90A:ACCUM_OFFSET: 17
; COMPUTE_PGM_RSRC3_GFX90A:TG_SPLIT: 0
	.section	.text._Z12wvSplitK_hf_I14__hip_bfloat16Li64ELi4ELi16ELi8ELi2ELi1EEviiiiiiPKT_S3_S3_PS1_ii,"axG",@progbits,_Z12wvSplitK_hf_I14__hip_bfloat16Li64ELi4ELi16ELi8ELi2ELi1EEviiiiiiPKT_S3_S3_PS1_ii,comdat
	.protected	_Z12wvSplitK_hf_I14__hip_bfloat16Li64ELi4ELi16ELi8ELi2ELi1EEviiiiiiPKT_S3_S3_PS1_ii ; -- Begin function _Z12wvSplitK_hf_I14__hip_bfloat16Li64ELi4ELi16ELi8ELi2ELi1EEviiiiiiPKT_S3_S3_PS1_ii
	.globl	_Z12wvSplitK_hf_I14__hip_bfloat16Li64ELi4ELi16ELi8ELi2ELi1EEviiiiiiPKT_S3_S3_PS1_ii
	.p2align	8
	.type	_Z12wvSplitK_hf_I14__hip_bfloat16Li64ELi4ELi16ELi8ELi2ELi1EEviiiiiiPKT_S3_S3_PS1_ii,@function
_Z12wvSplitK_hf_I14__hip_bfloat16Li64ELi4ELi16ELi8ELi2ELi1EEviiiiiiPKT_S3_S3_PS1_ii: ; @_Z12wvSplitK_hf_I14__hip_bfloat16Li64ELi4ELi16ELi8ELi2ELi1EEviiiiiiPKT_S3_S3_PS1_ii
; %bb.0:
	s_load_dwordx2 s[18:19], s[0:1], 0x38
	s_load_dwordx4 s[8:11], s[0:1], 0x0
	s_load_dword s30, s[0:1], 0x10
	v_bfe_u32 v7, v0, 10, 10
	s_mov_b32 s4, 1
	s_waitcnt lgkmcnt(0)
	s_mul_i32 s2, s2, s18
	v_add_lshl_u32 v62, s2, v7, 2
	v_add_u32_e32 v1, 4, v62
	s_mov_b32 s5, s4
	v_cmp_gt_u32_e32 vcc, s11, v62
	v_cmp_le_u32_e64 s[2:3], s11, v1
	s_mov_b32 s6, s4
	s_mov_b32 s7, s4
	v_mov_b64_e32 v[2:3], s[4:5]
	s_and_b64 s[12:13], vcc, s[2:3]
	v_mov_b64_e32 v[4:5], s[6:7]
	s_and_saveexec_b64 s[2:3], s[12:13]
	s_cbranch_execz .LBB186_6
; %bb.1:
	s_add_i32 s20, s11, -4
	v_mov_b64_e32 v[2:3], s[4:5]
	v_cmp_ne_u32_e32 vcc, s20, v62
	v_mov_b64_e32 v[4:5], s[6:7]
	s_and_saveexec_b64 s[12:13], vcc
	s_cbranch_execz .LBB186_5
; %bb.2:
	v_subrev_u32_e32 v1, s20, v62
	v_cmp_lt_u32_e32 vcc, 1, v1
	s_mov_b64 s[14:15], 0
	s_mov_b64 s[16:17], 0
	v_cndmask_b32_e32 v6, 1, v1, vcc
	s_mov_b32 s5, s4
	s_mov_b32 s6, s4
	;; [unrolled: 1-line block ×3, first 2 shown]
.LBB186_3:                              ; =>This Inner Loop Header: Depth=1
	s_cmp_lg_u32 s16, 3
	s_cselect_b32 s7, s7, 0
	s_cmp_lg_u32 s16, 2
	s_cselect_b32 s6, s6, 0
	;; [unrolled: 2-line block ×4, first 2 shown]
	s_add_u32 s16, s16, 1
	s_addc_u32 s17, s17, 0
	v_cmp_eq_u32_e32 vcc, s16, v6
	v_mov_b64_e32 v[2:3], s[4:5]
	s_or_b64 s[14:15], vcc, s[14:15]
	v_mov_b64_e32 v[4:5], s[6:7]
	s_andn2_b64 exec, exec, s[14:15]
	s_cbranch_execnz .LBB186_3
; %bb.4:
	s_or_b64 exec, exec, s[14:15]
	v_mov_b32_e32 v62, s20
.LBB186_5:
	s_or_b64 exec, exec, s[12:13]
.LBB186_6:
	s_or_b64 exec, exec, s[2:3]
	s_load_dwordx4 s[12:15], s[0:1], 0x20
	v_and_b32_e32 v6, 0x3ff, v0
	v_lshlrev_b32_e32 v82, 3, v6
	v_lshl_add_u32 v8, v7, 9, v82
	s_min_u32 s10, s10, 0x8000
	v_cmp_gt_u32_e32 vcc, s10, v8
	s_and_saveexec_b64 s[2:3], vcc
	s_cbranch_execz .LBB186_9
; %bb.7:
	v_mov_b32_e32 v11, 0
	v_lshlrev_b32_e32 v10, 10, v7
	v_lshlrev_b32_e32 v12, 4, v6
	v_mov_b32_e32 v13, v11
	v_lshl_add_u64 v[0:1], v[10:11], 0, v[12:13]
	s_waitcnt lgkmcnt(0)
	v_lshl_add_u64 v[0:1], s[12:13], 0, v[0:1]
	v_add_u32_e32 v9, v10, v12
	s_mov_b64 s[4:5], 0
	s_mov_b64 s[6:7], 0x4000
.LBB186_8:                              ; =>This Inner Loop Header: Depth=1
	global_load_dwordx4 v[10:13], v[0:1], off
	v_add_u32_e32 v8, 0x2000, v8
	v_cmp_le_u32_e32 vcc, s10, v8
	v_lshl_add_u64 v[0:1], v[0:1], 0, s[6:7]
	s_or_b64 s[4:5], vcc, s[4:5]
	s_waitcnt vmcnt(0)
	ds_write_b128 v9, v[10:13]
	v_add_u32_e32 v9, 0x4000, v9
	s_andn2_b64 exec, exec, s[4:5]
	s_cbranch_execnz .LBB186_8
.LBB186_9:
	s_or_b64 exec, exec, s[2:3]
	v_cmp_gt_u32_e32 vcc, s18, v7
	v_cmp_gt_u32_e64 s[2:3], s11, v62
	s_and_b64 s[2:3], vcc, s[2:3]
	s_waitcnt lgkmcnt(0)
	s_barrier
	s_and_saveexec_b64 s[4:5], s[2:3]
	s_cbranch_execz .LBB186_60
; %bb.10:
	v_cvt_f32_u32_e32 v0, s30
	s_cmp_lg_u32 s8, 0
	s_cselect_b64 s[2:3], -1, 0
	s_add_i32 s10, s8, -8
	v_rcp_iflag_f32_e32 v0, v0
	s_add_i32 s31, s11, -1
	s_mul_i32 s4, s18, s19
	s_cmp_lg_u64 s[14:15], 0
	v_mul_f32_e32 v0, 0x4f7ffffe, v0
	v_cvt_u32_f32_e32 v0, v0
	s_load_dwordx2 s[6:7], s[0:1], 0x18
	s_load_dwordx2 s[16:17], s[0:1], 0x30
	s_cselect_b64 s[20:21], -1, 0
	s_lshl_b32 s33, s4, 2
	s_sub_i32 s4, 0, s30
	v_mul_lo_u32 v1, s4, v0
	v_mul_hi_u32 v1, v0, v1
	v_add_u32_e32 v83, v0, v1
	v_cndmask_b32_e64 v0, 0, 1, s[2:3]
	v_cmp_eq_u32_e64 s[0:1], 63, v6
	s_mov_b64 s[18:19], 0
	s_add_i32 s34, s11, -4
	v_mov_b32_e32 v1, 0
	v_lshlrev_b32_e32 v84, 4, v6
	v_cmp_ne_u32_e64 s[2:3], 1, v0
	s_movk_i32 s35, 0x7fff
	s_mov_b32 s36, 0x7f800000
	s_branch .LBB186_13
.LBB186_11:                             ;   in Loop: Header=BB186_13 Depth=1
	s_or_b64 exec, exec, s[24:25]
	v_mov_b32_e32 v62, s34
.LBB186_12:                             ;   in Loop: Header=BB186_13 Depth=1
	s_or_b64 exec, exec, s[22:23]
	v_cmp_le_u32_e32 vcc, s11, v62
	s_or_b64 s[18:19], vcc, s[18:19]
	s_andn2_b64 exec, exec, s[18:19]
	s_cbranch_execz .LBB186_60
.LBB186_13:                             ; =>This Loop Header: Depth=1
                                        ;     Child Loop BB186_18 Depth 2
                                        ;     Child Loop BB186_58 Depth 2
	s_and_b64 vcc, exec, s[2:3]
	v_add_u32_e32 v68, 1, v62
	v_add_u32_e32 v66, 2, v62
	;; [unrolled: 1-line block ×3, first 2 shown]
	v_mov_b32_e32 v9, v1
	v_mov_b32_e32 v8, v1
	;; [unrolled: 1-line block ×16, first 2 shown]
	s_cbranch_vccnz .LBB186_28
; %bb.14:                               ;   in Loop: Header=BB186_13 Depth=1
	v_min_u32_e32 v0, s31, v62
	v_min_u32_e32 v6, s31, v68
	;; [unrolled: 1-line block ×4, first 2 shown]
	v_mul_lo_u32 v0, v0, s9
	v_mul_lo_u32 v6, v6, s9
	v_mov_b32_e32 v7, v1
	v_mul_lo_u32 v8, v8, s9
	v_mov_b32_e32 v9, v1
	;; [unrolled: 2-line block ×3, first 2 shown]
	v_mov_b32_e32 v18, 0
	s_mov_b32 s4, 0
	v_lshlrev_b64 v[70:71], 1, v[0:1]
	v_lshlrev_b64 v[72:73], 1, v[6:7]
	;; [unrolled: 1-line block ×4, first 2 shown]
	v_mov_b32_e32 v63, v84
	s_mov_b32 s28, 0
	v_mov_b32_e32 v19, v18
	v_mov_b32_e32 v20, v18
	;; [unrolled: 1-line block ×15, first 2 shown]
	s_branch .LBB186_18
.LBB186_15:                             ;   in Loop: Header=BB186_18 Depth=2
	s_or_b64 exec, exec, s[26:27]
.LBB186_16:                             ;   in Loop: Header=BB186_18 Depth=2
	s_or_b64 exec, exec, s[24:25]
.LBB186_17:                             ;   in Loop: Header=BB186_18 Depth=2
	s_or_b64 exec, exec, s[22:23]
	s_waitcnt vmcnt(0) lgkmcnt(0)
	v_mfma_f32_4x4x4_16b_bf16 v[18:21], v[58:59], v[50:51], v[18:21]
	s_addk_i32 s28, 0x400
	v_mfma_f32_4x4x4_16b_bf16 v[14:17], v[58:59], v[46:47], v[14:17]
	v_add_u32_e32 v63, 0x800, v63
	v_mfma_f32_4x4x4_16b_bf16 v[10:13], v[58:59], v[42:43], v[10:13]
	s_cmp_ge_u32 s28, s8
	v_mfma_f32_4x4x4_16b_bf16 v[6:9], v[58:59], v[34:35], v[6:9]
	v_mfma_f32_4x4x4_16b_bf16 v[18:21], v[60:61], v[52:53], v[18:21]
	;; [unrolled: 1-line block ×13, first 2 shown]
	s_cbranch_scc1 .LBB186_28
.LBB186_18:                             ;   Parent Loop BB186_13 Depth=1
                                        ; =>  This Inner Loop Header: Depth=2
	v_add_u32_e32 v80, s28, v82
	v_min_u32_e32 v0, s10, v80
	s_waitcnt lgkmcnt(0)
	v_lshl_add_u64 v[22:23], v[0:1], 1, s[6:7]
	v_lshl_add_u64 v[24:25], v[22:23], 0, v[70:71]
	v_add_u32_e32 v78, 0x200, v80
	v_lshl_add_u64 v[26:27], v[22:23], 0, v[72:73]
	global_load_dwordx4 v[50:53], v[24:25], off nt
	global_load_dwordx4 v[46:49], v[26:27], off nt
	v_lshl_add_u64 v[24:25], v[22:23], 0, v[74:75]
	v_lshl_add_u64 v[22:23], v[22:23], 0, v[76:77]
	v_min_u32_e32 v0, s10, v78
	global_load_dwordx4 v[42:45], v[24:25], off nt
	global_load_dwordx4 v[34:37], v[22:23], off nt
	v_lshl_add_u64 v[22:23], v[0:1], 1, s[6:7]
	v_lshl_add_u64 v[24:25], v[22:23], 0, v[70:71]
	;; [unrolled: 1-line block ×3, first 2 shown]
	global_load_dwordx4 v[38:41], v[24:25], off nt
	global_load_dwordx4 v[30:33], v[26:27], off nt
	v_lshl_add_u64 v[24:25], v[22:23], 0, v[74:75]
	v_lshl_add_u64 v[22:23], v[22:23], 0, v[76:77]
	global_load_dwordx4 v[26:29], v[24:25], off nt
	s_nop 0
	global_load_dwordx4 v[22:25], v[22:23], off nt
	s_mov_b32 s5, s4
	v_cmp_gt_u32_e32 vcc, s8, v80
	v_mov_b64_e32 v[60:61], s[4:5]
	v_mov_b32_e32 v57, 0
	v_mov_b32_e32 v56, 0
	;; [unrolled: 1-line block ×4, first 2 shown]
	v_mov_b64_e32 v[58:59], s[4:5]
	s_and_saveexec_b64 s[22:23], vcc
	s_cbranch_execz .LBB186_17
; %bb.19:                               ;   in Loop: Header=BB186_18 Depth=2
	v_cmp_lt_u32_e32 vcc, s35, v80
                                        ; implicit-def: $vgpr60_vgpr61
	s_and_saveexec_b64 s[24:25], vcc
	s_xor_b64 s[24:25], exec, s[24:25]
	s_cbranch_execz .LBB186_21
; %bb.20:                               ;   in Loop: Header=BB186_18 Depth=2
	v_mov_b32_e32 v81, v1
	v_lshl_add_u64 v[54:55], v[80:81], 1, s[12:13]
	global_load_dwordx4 v[58:61], v[54:55], off
.LBB186_21:                             ;   in Loop: Header=BB186_18 Depth=2
	s_andn2_saveexec_b64 s[24:25], s[24:25]
	s_cbranch_execz .LBB186_23
; %bb.22:                               ;   in Loop: Header=BB186_18 Depth=2
	s_waitcnt vmcnt(0)
	ds_read_b128 v[58:61], v63
.LBB186_23:                             ;   in Loop: Header=BB186_18 Depth=2
	s_or_b64 exec, exec, s[24:25]
	v_cmp_gt_u32_e32 vcc, s8, v78
	v_mov_b32_e32 v57, 0
	v_mov_b32_e32 v56, 0
	;; [unrolled: 1-line block ×4, first 2 shown]
	s_and_saveexec_b64 s[24:25], vcc
	s_cbranch_execz .LBB186_16
; %bb.24:                               ;   in Loop: Header=BB186_18 Depth=2
	v_cmp_lt_u32_e32 vcc, s35, v78
                                        ; implicit-def: $vgpr57
	s_and_saveexec_b64 s[26:27], vcc
	s_xor_b64 s[26:27], exec, s[26:27]
	s_cbranch_execz .LBB186_26
; %bb.25:                               ;   in Loop: Header=BB186_18 Depth=2
	v_mov_b32_e32 v79, v1
	v_lshl_add_u64 v[54:55], v[78:79], 1, s[12:13]
	global_load_dwordx4 v[54:57], v[54:55], off
.LBB186_26:                             ;   in Loop: Header=BB186_18 Depth=2
	s_andn2_saveexec_b64 s[26:27], s[26:27]
	s_cbranch_execz .LBB186_15
; %bb.27:                               ;   in Loop: Header=BB186_18 Depth=2
	s_waitcnt vmcnt(0)
	ds_read_b128 v[54:57], v63 offset:1024
	s_branch .LBB186_15
.LBB186_28:                             ;   in Loop: Header=BB186_13 Depth=1
	s_nop 0
	v_cvt_i32_f32_e32 v0, v19
	v_cvt_i32_f32_e32 v19, v20
	;; [unrolled: 1-line block ×4, first 2 shown]
	v_cvt_f32_i32_dpp v0, v0 row_shl:1 row_mask:0xf bank_mask:0xf bound_ctrl:1
	v_cvt_f32_i32_dpp v19, v19 row_shl:2 row_mask:0xf bank_mask:0xf bound_ctrl:1
	v_cvt_i32_f32_e32 v16, v16
	v_cvt_f32_i32_dpp v20, v20 row_shl:3 row_mask:0xf bank_mask:0xf bound_ctrl:1
	v_cvt_i32_f32_e32 v17, v17
	v_cvt_i32_f32_e32 v11, v11
	v_add_f32_e32 v0, v18, v0
	v_cvt_f32_i32_dpp v15, v15 row_shl:1 row_mask:0xf bank_mask:0xf bound_ctrl:1
	v_cvt_i32_f32_e32 v7, v7
	v_add_f32_e32 v0, v0, v19
	v_cvt_f32_i32_dpp v16, v16 row_shl:2 row_mask:0xf bank_mask:0xf bound_ctrl:1
	v_cvt_i32_f32_e32 v12, v12
	v_cvt_i32_f32_e32 v8, v8
	v_add_f32_e32 v0, v0, v20
	v_cvt_f32_i32_dpp v17, v17 row_shl:3 row_mask:0xf bank_mask:0xf bound_ctrl:1
	v_cvt_f32_i32_dpp v11, v11 row_shl:1 row_mask:0xf bank_mask:0xf bound_ctrl:1
	v_cvt_i32_f32_e32 v13, v13
	v_cvt_i32_f32_e32 v9, v9
	;; [unrolled: 1-line block ×3, first 2 shown]
	v_add_f32_e32 v14, v14, v15
	v_cvt_f32_i32_dpp v7, v7 row_shl:1 row_mask:0xf bank_mask:0xf bound_ctrl:1
	v_add_f32_e32 v14, v14, v16
	v_cvt_f32_i32_dpp v12, v12 row_shl:2 row_mask:0xf bank_mask:0xf bound_ctrl:1
	v_cvt_f32_i32_dpp v8, v8 row_shl:2 row_mask:0xf bank_mask:0xf bound_ctrl:1
	v_add_f32_e32 v14, v14, v17
	v_add_f32_e32 v10, v10, v11
	v_cvt_f32_i32_dpp v11, v13 row_shl:3 row_mask:0xf bank_mask:0xf bound_ctrl:1
	v_cvt_f32_i32_dpp v9, v9 row_shl:3 row_mask:0xf bank_mask:0xf bound_ctrl:1
	;; [unrolled: 1-line block ×3, first 2 shown]
	v_cvt_i32_f32_e32 v15, v14
	v_add_f32_e32 v6, v6, v7
	v_add_f32_e32 v10, v10, v12
	v_add_f32_e32 v6, v6, v8
	v_add_f32_e32 v10, v10, v11
	v_add_f32_e32 v6, v6, v9
	v_add_f32_e32 v0, v0, v18
	v_cvt_f32_i32_dpp v15, v15 row_shl:4 row_mask:0xf bank_mask:0xf bound_ctrl:1
	v_cvt_i32_f32_e32 v11, v10
	v_cvt_i32_f32_e32 v7, v6
	;; [unrolled: 1-line block ×3, first 2 shown]
	v_add_f32_e32 v14, v14, v15
	v_cvt_f32_i32_dpp v9, v11 row_shl:4 row_mask:0xf bank_mask:0xf bound_ctrl:1
	v_cvt_f32_i32_dpp v7, v7 row_shl:4 row_mask:0xf bank_mask:0xf bound_ctrl:1
	;; [unrolled: 1-line block ×3, first 2 shown]
	v_cvt_i32_f32_e32 v15, v14
	v_add_f32_e32 v9, v10, v9
	v_add_f32_e32 v6, v6, v7
	;; [unrolled: 1-line block ×3, first 2 shown]
	v_cvt_f32_i32_dpp v8, v15 row_shl:8 row_mask:0xf bank_mask:0xf bound_ctrl:1
	v_cvt_i32_f32_e32 v10, v9
	v_cvt_i32_f32_e32 v7, v6
	;; [unrolled: 1-line block ×3, first 2 shown]
	v_add_f32_e32 v8, v14, v8
	v_cvt_f32_i32_dpp v10, v10 row_shl:8 row_mask:0xf bank_mask:0xf bound_ctrl:1
	v_cvt_f32_i32_dpp v7, v7 row_shl:8 row_mask:0xf bank_mask:0xf bound_ctrl:1
	v_cvt_f32_i32_dpp v0, v0 row_shr:15 row_mask:0xf bank_mask:0xf bound_ctrl:1
	v_cvt_i32_f32_e32 v8, v8
	v_add_f32_e32 v9, v9, v10
	v_add_f32_e32 v6, v6, v7
	v_cvt_i32_f32_e32 v11, v0
	v_cvt_f32_i32_dpp v8, v8 row_shr:15 row_mask:0xf bank_mask:0xf bound_ctrl:1
	v_cvt_i32_f32_e32 v9, v9
	v_cvt_i32_f32_e32 v6, v6
	v_cvt_f32_i32_dpp v7, v11 row_bcast:15 row_mask:0xf bank_mask:0xf bound_ctrl:1
	v_cvt_i32_f32_e32 v10, v8
	v_cvt_f32_i32_dpp v9, v9 row_shr:15 row_mask:0xf bank_mask:0xf bound_ctrl:1
	v_cvt_f32_i32_dpp v6, v6 row_shr:15 row_mask:0xf bank_mask:0xf bound_ctrl:1
	v_add_f32_e32 v13, v0, v7
	v_cvt_f32_i32_dpp v7, v10 row_bcast:15 row_mask:0xf bank_mask:0xf bound_ctrl:1
	v_cvt_i32_f32_e32 v0, v9
	v_cvt_i32_f32_e32 v11, v6
	;; [unrolled: 1-line block ×3, first 2 shown]
	v_add_f32_e32 v10, v8, v7
	v_cvt_f32_i32_dpp v0, v0 row_bcast:15 row_mask:0xf bank_mask:0xf bound_ctrl:1
	v_cvt_f32_i32_dpp v7, v11 row_bcast:15 row_mask:0xf bank_mask:0xf bound_ctrl:1
	v_cvt_i32_f32_e32 v11, v10
	v_mov_b32_dpp v14, v12 row_bcast:31 row_mask:0xf bank_mask:0xf bound_ctrl:1
	v_add_f32_e32 v8, v9, v0
	v_add_f32_e32 v6, v6, v7
	v_cvt_i32_f32_e32 v0, v8
	v_cvt_i32_f32_e32 v7, v6
	v_mov_b32_dpp v11, v11 row_bcast:31 row_mask:0xf bank_mask:0xf bound_ctrl:1
	v_mov_b32_dpp v9, v0 row_bcast:31 row_mask:0xf bank_mask:0xf bound_ctrl:1
	;; [unrolled: 1-line block ×3, first 2 shown]
	s_and_saveexec_b64 s[4:5], s[0:1]
	s_cbranch_execz .LBB186_55
; %bb.29:                               ;   in Loop: Header=BB186_13 Depth=1
	s_andn2_b64 vcc, exec, s[20:21]
	v_mov_b32_e32 v0, 0
	v_mov_b32_e32 v12, 0
	;; [unrolled: 1-line block ×4, first 2 shown]
	s_cbranch_vccnz .LBB186_31
; %bb.30:                               ;   in Loop: Header=BB186_13 Depth=1
	v_mul_hi_u32 v0, v62, v83
	v_mul_lo_u32 v0, v0, s30
	v_sub_u32_e32 v0, v62, v0
	v_subrev_u32_e32 v12, s30, v0
	v_cmp_le_u32_e32 vcc, s30, v0
	s_nop 1
	v_cndmask_b32_e32 v0, v0, v12, vcc
	v_subrev_u32_e32 v12, s30, v0
	v_cmp_le_u32_e32 vcc, s30, v0
	s_nop 1
	v_cndmask_b32_e32 v0, v0, v12, vcc
	v_lshl_add_u64 v[18:19], v[0:1], 1, s[14:15]
	v_mul_hi_u32 v0, v68, v83
	v_mul_lo_u32 v0, v0, s30
	v_sub_u32_e32 v0, v68, v0
	v_subrev_u32_e32 v12, s30, v0
	v_cmp_le_u32_e32 vcc, s30, v0
	s_nop 1
	v_cndmask_b32_e32 v0, v0, v12, vcc
	v_subrev_u32_e32 v12, s30, v0
	v_cmp_le_u32_e32 vcc, s30, v0
	s_nop 1
	v_cndmask_b32_e32 v0, v0, v12, vcc
	v_lshl_add_u64 v[20:21], v[0:1], 1, s[14:15]
	;; [unrolled: 12-line block ×4, first 2 shown]
	global_load_ushort v16, v[18:19], off
	global_load_ushort v15, v[20:21], off
	global_load_ushort v12, v[22:23], off
	global_load_ushort v0, v[24:25], off
.LBB186_31:                             ;   in Loop: Header=BB186_13 Depth=1
	v_cmp_ne_u32_e32 vcc, 0, v2
	s_and_saveexec_b64 s[22:23], vcc
	s_cbranch_execnz .LBB186_35
; %bb.32:                               ;   in Loop: Header=BB186_13 Depth=1
	s_or_b64 exec, exec, s[22:23]
	v_cmp_ne_u32_e32 vcc, 0, v3
	s_and_saveexec_b64 s[22:23], vcc
	s_cbranch_execnz .LBB186_40
.LBB186_33:                             ;   in Loop: Header=BB186_13 Depth=1
	s_or_b64 exec, exec, s[22:23]
	v_cmp_ne_u32_e32 vcc, 0, v4
	s_and_saveexec_b64 s[22:23], vcc
	s_cbranch_execnz .LBB186_45
.LBB186_34:                             ;   in Loop: Header=BB186_13 Depth=1
	s_or_b64 exec, exec, s[22:23]
	v_cmp_ne_u32_e32 vcc, 0, v5
	s_and_b64 exec, exec, vcc
	s_cbranch_execnz .LBB186_50
	s_branch .LBB186_55
.LBB186_35:                             ;   in Loop: Header=BB186_13 Depth=1
	v_cvt_f32_i32_e32 v14, v14
	v_add_f32_e32 v13, v13, v14
	s_waitcnt vmcnt(3)
	v_lshlrev_b32_e32 v14, 16, v16
	v_add_f32_e32 v14, v13, v14
	v_and_b32_e32 v13, 0x7f800000, v14
	v_cmp_ne_u32_e32 vcc, s36, v13
                                        ; implicit-def: $vgpr13
	s_and_saveexec_b64 s[24:25], vcc
	s_xor_b64 s[24:25], exec, s[24:25]
; %bb.36:                               ;   in Loop: Header=BB186_13 Depth=1
	v_bfe_u32 v13, v14, 16, 1
	v_add3_u32 v13, v14, v13, s35
                                        ; implicit-def: $vgpr14
; %bb.37:                               ;   in Loop: Header=BB186_13 Depth=1
	s_andn2_saveexec_b64 s[24:25], s[24:25]
; %bb.38:                               ;   in Loop: Header=BB186_13 Depth=1
	v_or_b32_e32 v13, 0x10000, v14
	v_cmp_eq_u32_sdwa vcc, v14, v1 src0_sel:WORD_0 src1_sel:DWORD
	s_nop 1
	v_cndmask_b32_e32 v13, v13, v14, vcc
; %bb.39:                               ;   in Loop: Header=BB186_13 Depth=1
	s_or_b64 exec, exec, s[24:25]
	v_mov_b32_e32 v63, v1
	s_waitcnt lgkmcnt(0)
	v_lshl_add_u64 v[16:17], v[62:63], 1, s[16:17]
	global_store_short_d16_hi v[16:17], v13, off
	s_or_b64 exec, exec, s[22:23]
	v_cmp_ne_u32_e32 vcc, 0, v3
	s_and_saveexec_b64 s[22:23], vcc
	s_cbranch_execz .LBB186_33
.LBB186_40:                             ;   in Loop: Header=BB186_13 Depth=1
	v_cvt_f32_i32_e32 v11, v11
	v_add_f32_e32 v10, v10, v11
	s_waitcnt vmcnt(2)
	v_lshlrev_b32_e32 v11, 16, v15
	v_add_f32_e32 v11, v10, v11
	v_and_b32_e32 v10, 0x7f800000, v11
	v_cmp_ne_u32_e32 vcc, s36, v10
                                        ; implicit-def: $vgpr10
	s_and_saveexec_b64 s[24:25], vcc
	s_xor_b64 s[24:25], exec, s[24:25]
; %bb.41:                               ;   in Loop: Header=BB186_13 Depth=1
	v_bfe_u32 v10, v11, 16, 1
	v_add3_u32 v10, v11, v10, s35
                                        ; implicit-def: $vgpr11
; %bb.42:                               ;   in Loop: Header=BB186_13 Depth=1
	s_andn2_saveexec_b64 s[24:25], s[24:25]
; %bb.43:                               ;   in Loop: Header=BB186_13 Depth=1
	v_or_b32_e32 v10, 0x10000, v11
	v_cmp_eq_u32_sdwa vcc, v11, v1 src0_sel:WORD_0 src1_sel:DWORD
	s_nop 1
	v_cndmask_b32_e32 v10, v10, v11, vcc
; %bb.44:                               ;   in Loop: Header=BB186_13 Depth=1
	s_or_b64 exec, exec, s[24:25]
	v_mov_b32_e32 v69, v1
	s_waitcnt lgkmcnt(0)
	v_lshl_add_u64 v[14:15], v[68:69], 1, s[16:17]
	global_store_short_d16_hi v[14:15], v10, off
	s_or_b64 exec, exec, s[22:23]
	v_cmp_ne_u32_e32 vcc, 0, v4
	s_and_saveexec_b64 s[22:23], vcc
	s_cbranch_execz .LBB186_34
.LBB186_45:                             ;   in Loop: Header=BB186_13 Depth=1
	v_cvt_f32_i32_e32 v9, v9
	v_add_f32_e32 v8, v8, v9
	s_waitcnt vmcnt(1)
	v_lshlrev_b32_e32 v9, 16, v12
	v_add_f32_e32 v9, v8, v9
	v_and_b32_e32 v8, 0x7f800000, v9
	v_cmp_ne_u32_e32 vcc, s36, v8
                                        ; implicit-def: $vgpr8
	s_and_saveexec_b64 s[24:25], vcc
	s_xor_b64 s[24:25], exec, s[24:25]
; %bb.46:                               ;   in Loop: Header=BB186_13 Depth=1
	v_bfe_u32 v8, v9, 16, 1
	v_add3_u32 v8, v9, v8, s35
                                        ; implicit-def: $vgpr9
; %bb.47:                               ;   in Loop: Header=BB186_13 Depth=1
	s_andn2_saveexec_b64 s[24:25], s[24:25]
; %bb.48:                               ;   in Loop: Header=BB186_13 Depth=1
	v_or_b32_e32 v8, 0x10000, v9
	v_cmp_eq_u32_sdwa vcc, v9, v1 src0_sel:WORD_0 src1_sel:DWORD
	s_nop 1
	v_cndmask_b32_e32 v8, v8, v9, vcc
; %bb.49:                               ;   in Loop: Header=BB186_13 Depth=1
	s_or_b64 exec, exec, s[24:25]
	v_mov_b32_e32 v67, v1
	s_waitcnt lgkmcnt(0)
	v_lshl_add_u64 v[10:11], v[66:67], 1, s[16:17]
	global_store_short_d16_hi v[10:11], v8, off
	s_or_b64 exec, exec, s[22:23]
	v_cmp_ne_u32_e32 vcc, 0, v5
	s_and_b64 exec, exec, vcc
	s_cbranch_execz .LBB186_55
.LBB186_50:                             ;   in Loop: Header=BB186_13 Depth=1
	v_cvt_f32_i32_e32 v7, v7
	s_waitcnt vmcnt(0)
	v_lshlrev_b32_e32 v0, 16, v0
	v_add_f32_e32 v6, v6, v7
	v_add_f32_e32 v6, v6, v0
	v_and_b32_e32 v0, 0x7f800000, v6
	v_cmp_ne_u32_e32 vcc, s36, v0
                                        ; implicit-def: $vgpr0
	s_and_saveexec_b64 s[22:23], vcc
	s_xor_b64 s[22:23], exec, s[22:23]
; %bb.51:                               ;   in Loop: Header=BB186_13 Depth=1
	v_bfe_u32 v0, v6, 16, 1
	v_add3_u32 v0, v6, v0, s35
                                        ; implicit-def: $vgpr6
; %bb.52:                               ;   in Loop: Header=BB186_13 Depth=1
	s_andn2_saveexec_b64 s[22:23], s[22:23]
; %bb.53:                               ;   in Loop: Header=BB186_13 Depth=1
	v_or_b32_e32 v0, 0x10000, v6
	v_cmp_eq_u32_sdwa vcc, v6, v1 src0_sel:WORD_0 src1_sel:DWORD
	s_nop 1
	v_cndmask_b32_e32 v0, v0, v6, vcc
; %bb.54:                               ;   in Loop: Header=BB186_13 Depth=1
	s_or_b64 exec, exec, s[22:23]
	v_mov_b32_e32 v65, v1
	s_waitcnt lgkmcnt(0)
	v_lshl_add_u64 v[6:7], v[64:65], 1, s[16:17]
	global_store_short_d16_hi v[6:7], v0, off
.LBB186_55:                             ;   in Loop: Header=BB186_13 Depth=1
	s_or_b64 exec, exec, s[4:5]
	v_add_u32_e32 v62, s33, v62
	s_waitcnt vmcnt(0)
	v_add_u32_e32 v0, 4, v62
	v_cmp_gt_u32_e32 vcc, s11, v62
	v_cmp_le_u32_e64 s[4:5], s11, v0
	s_and_b64 s[4:5], vcc, s[4:5]
	s_and_saveexec_b64 s[22:23], s[4:5]
	s_cbranch_execz .LBB186_12
; %bb.56:                               ;   in Loop: Header=BB186_13 Depth=1
	v_cmp_ne_u32_e32 vcc, s34, v62
	s_and_saveexec_b64 s[24:25], vcc
	s_cbranch_execz .LBB186_11
; %bb.57:                               ;   in Loop: Header=BB186_13 Depth=1
	v_subrev_u32_e32 v0, s34, v62
	v_cmp_lt_u32_e32 vcc, 1, v0
	s_mov_b64 s[26:27], 0
	s_mov_b64 s[28:29], 0
	v_cndmask_b32_e32 v0, 1, v0, vcc
.LBB186_58:                             ;   Parent Loop BB186_13 Depth=1
                                        ; =>  This Inner Loop Header: Depth=2
	s_cmp_lg_u32 s28, 3
	s_cselect_b64 vcc, -1, 0
	s_cmp_lg_u32 s28, 2
	v_cndmask_b32_e32 v5, 0, v5, vcc
	s_cselect_b64 vcc, -1, 0
	s_cmp_lg_u32 s28, 1
	v_cndmask_b32_e32 v4, 0, v4, vcc
	;; [unrolled: 3-line block ×3, first 2 shown]
	s_cselect_b64 vcc, -1, 0
	s_add_u32 s28, s28, 1
	s_addc_u32 s29, s29, 0
	v_cmp_eq_u32_e64 s[4:5], s28, v0
	s_or_b64 s[26:27], s[4:5], s[26:27]
	v_cndmask_b32_e32 v2, 0, v2, vcc
	s_andn2_b64 exec, exec, s[26:27]
	s_cbranch_execnz .LBB186_58
; %bb.59:                               ;   in Loop: Header=BB186_13 Depth=1
	s_or_b64 exec, exec, s[26:27]
	s_branch .LBB186_11
.LBB186_60:
	s_endpgm
	.section	.rodata,"a",@progbits
	.p2align	6, 0x0
	.amdhsa_kernel _Z12wvSplitK_hf_I14__hip_bfloat16Li64ELi4ELi16ELi8ELi2ELi1EEviiiiiiPKT_S3_S3_PS1_ii
		.amdhsa_group_segment_fixed_size 65536
		.amdhsa_private_segment_fixed_size 0
		.amdhsa_kernarg_size 64
		.amdhsa_user_sgpr_count 2
		.amdhsa_user_sgpr_dispatch_ptr 0
		.amdhsa_user_sgpr_queue_ptr 0
		.amdhsa_user_sgpr_kernarg_segment_ptr 1
		.amdhsa_user_sgpr_dispatch_id 0
		.amdhsa_user_sgpr_kernarg_preload_length 0
		.amdhsa_user_sgpr_kernarg_preload_offset 0
		.amdhsa_user_sgpr_private_segment_size 0
		.amdhsa_uses_dynamic_stack 0
		.amdhsa_enable_private_segment 0
		.amdhsa_system_sgpr_workgroup_id_x 1
		.amdhsa_system_sgpr_workgroup_id_y 0
		.amdhsa_system_sgpr_workgroup_id_z 0
		.amdhsa_system_sgpr_workgroup_info 0
		.amdhsa_system_vgpr_workitem_id 1
		.amdhsa_next_free_vgpr 85
		.amdhsa_next_free_sgpr 37
		.amdhsa_accum_offset 88
		.amdhsa_reserve_vcc 1
		.amdhsa_float_round_mode_32 0
		.amdhsa_float_round_mode_16_64 0
		.amdhsa_float_denorm_mode_32 3
		.amdhsa_float_denorm_mode_16_64 3
		.amdhsa_dx10_clamp 1
		.amdhsa_ieee_mode 1
		.amdhsa_fp16_overflow 0
		.amdhsa_tg_split 0
		.amdhsa_exception_fp_ieee_invalid_op 0
		.amdhsa_exception_fp_denorm_src 0
		.amdhsa_exception_fp_ieee_div_zero 0
		.amdhsa_exception_fp_ieee_overflow 0
		.amdhsa_exception_fp_ieee_underflow 0
		.amdhsa_exception_fp_ieee_inexact 0
		.amdhsa_exception_int_div_zero 0
	.end_amdhsa_kernel
	.section	.text._Z12wvSplitK_hf_I14__hip_bfloat16Li64ELi4ELi16ELi8ELi2ELi1EEviiiiiiPKT_S3_S3_PS1_ii,"axG",@progbits,_Z12wvSplitK_hf_I14__hip_bfloat16Li64ELi4ELi16ELi8ELi2ELi1EEviiiiiiPKT_S3_S3_PS1_ii,comdat
.Lfunc_end186:
	.size	_Z12wvSplitK_hf_I14__hip_bfloat16Li64ELi4ELi16ELi8ELi2ELi1EEviiiiiiPKT_S3_S3_PS1_ii, .Lfunc_end186-_Z12wvSplitK_hf_I14__hip_bfloat16Li64ELi4ELi16ELi8ELi2ELi1EEviiiiiiPKT_S3_S3_PS1_ii
                                        ; -- End function
	.section	.AMDGPU.csdata,"",@progbits
; Kernel info:
; codeLenInByte = 2896
; NumSgprs: 43
; NumVgprs: 85
; NumAgprs: 0
; TotalNumVgprs: 85
; ScratchSize: 0
; MemoryBound: 1
; FloatMode: 240
; IeeeMode: 1
; LDSByteSize: 65536 bytes/workgroup (compile time only)
; SGPRBlocks: 5
; VGPRBlocks: 10
; NumSGPRsForWavesPerEU: 43
; NumVGPRsForWavesPerEU: 85
; AccumOffset: 88
; Occupancy: 4
; WaveLimiterHint : 0
; COMPUTE_PGM_RSRC2:SCRATCH_EN: 0
; COMPUTE_PGM_RSRC2:USER_SGPR: 2
; COMPUTE_PGM_RSRC2:TRAP_HANDLER: 0
; COMPUTE_PGM_RSRC2:TGID_X_EN: 1
; COMPUTE_PGM_RSRC2:TGID_Y_EN: 0
; COMPUTE_PGM_RSRC2:TGID_Z_EN: 0
; COMPUTE_PGM_RSRC2:TIDIG_COMP_CNT: 1
; COMPUTE_PGM_RSRC3_GFX90A:ACCUM_OFFSET: 21
; COMPUTE_PGM_RSRC3_GFX90A:TG_SPLIT: 0
	.section	.text._Z16wvSplitK_hf_big_I14__hip_bfloat16Li64ELi4ELi16ELi8ELi2ELi1EEviiiiiiPKT_S3_S3_PS1_ii,"axG",@progbits,_Z16wvSplitK_hf_big_I14__hip_bfloat16Li64ELi4ELi16ELi8ELi2ELi1EEviiiiiiPKT_S3_S3_PS1_ii,comdat
	.protected	_Z16wvSplitK_hf_big_I14__hip_bfloat16Li64ELi4ELi16ELi8ELi2ELi1EEviiiiiiPKT_S3_S3_PS1_ii ; -- Begin function _Z16wvSplitK_hf_big_I14__hip_bfloat16Li64ELi4ELi16ELi8ELi2ELi1EEviiiiiiPKT_S3_S3_PS1_ii
	.globl	_Z16wvSplitK_hf_big_I14__hip_bfloat16Li64ELi4ELi16ELi8ELi2ELi1EEviiiiiiPKT_S3_S3_PS1_ii
	.p2align	8
	.type	_Z16wvSplitK_hf_big_I14__hip_bfloat16Li64ELi4ELi16ELi8ELi2ELi1EEviiiiiiPKT_S3_S3_PS1_ii,@function
_Z16wvSplitK_hf_big_I14__hip_bfloat16Li64ELi4ELi16ELi8ELi2ELi1EEviiiiiiPKT_S3_S3_PS1_ii: ; @_Z16wvSplitK_hf_big_I14__hip_bfloat16Li64ELi4ELi16ELi8ELi2ELi1EEviiiiiiPKT_S3_S3_PS1_ii
; %bb.0:
	s_load_dwordx2 s[8:9], s[0:1], 0x38
	v_bfe_u32 v7, v0, 10, 10
	s_waitcnt lgkmcnt(0)
	v_cmp_gt_u32_e32 vcc, s8, v7
	s_and_saveexec_b64 s[4:5], vcc
	s_cbranch_execz .LBB187_64
; %bb.1:
	s_load_dwordx4 s[20:23], s[0:1], 0x0
	s_mul_i32 s2, s2, s8
	v_add_lshl_u32 v62, s2, v7, 2
	s_mov_b32 s4, 1
	v_add_u32_e32 v1, 4, v62
	s_mov_b32 s5, s4
	s_waitcnt lgkmcnt(0)
	v_cmp_gt_u32_e32 vcc, s23, v62
	v_cmp_le_u32_e64 s[2:3], s23, v1
	s_mov_b32 s6, s4
	s_mov_b32 s7, s4
	v_mov_b64_e32 v[2:3], s[4:5]
	s_and_b64 s[10:11], vcc, s[2:3]
	v_mov_b64_e32 v[4:5], s[6:7]
	s_and_saveexec_b64 s[2:3], s[10:11]
	s_cbranch_execz .LBB187_7
; %bb.2:
	s_add_i32 s16, s23, -4
	v_mov_b64_e32 v[2:3], s[4:5]
	v_cmp_ne_u32_e32 vcc, s16, v62
	v_mov_b64_e32 v[4:5], s[6:7]
	s_and_saveexec_b64 s[10:11], vcc
	s_cbranch_execz .LBB187_6
; %bb.3:
	v_subrev_u32_e32 v1, s16, v62
	v_cmp_lt_u32_e32 vcc, 1, v1
	s_mov_b64 s[12:13], 0
	s_mov_b64 s[14:15], 0
	v_cndmask_b32_e32 v6, 1, v1, vcc
	s_mov_b32 s5, s4
	s_mov_b32 s6, s4
	;; [unrolled: 1-line block ×3, first 2 shown]
.LBB187_4:                              ; =>This Inner Loop Header: Depth=1
	s_cmp_lg_u32 s14, 3
	s_cselect_b32 s7, s7, 0
	s_cmp_lg_u32 s14, 2
	s_cselect_b32 s6, s6, 0
	;; [unrolled: 2-line block ×4, first 2 shown]
	s_add_u32 s14, s14, 1
	s_addc_u32 s15, s15, 0
	v_cmp_eq_u32_e32 vcc, s14, v6
	v_mov_b64_e32 v[2:3], s[4:5]
	s_or_b64 s[12:13], vcc, s[12:13]
	v_mov_b64_e32 v[4:5], s[6:7]
	s_andn2_b64 exec, exec, s[12:13]
	s_cbranch_execnz .LBB187_4
; %bb.5:
	s_or_b64 exec, exec, s[12:13]
	v_mov_b32_e32 v62, s16
.LBB187_6:
	s_or_b64 exec, exec, s[10:11]
.LBB187_7:
	s_or_b64 exec, exec, s[2:3]
	s_lshl_b32 s2, s8, 2
	s_abs_i32 s3, s2
	v_cvt_f32_u32_e32 v1, s3
	s_sub_i32 s6, 0, s3
	s_abs_i32 s5, s23
	s_ashr_i32 s4, s23, 31
	v_rcp_iflag_f32_e32 v1, v1
	s_nop 0
	v_mul_f32_e32 v1, 0x4f7ffffe, v1
	v_cvt_u32_f32_e32 v1, v1
	s_nop 0
	v_readfirstlane_b32 s7, v1
	s_mul_i32 s6, s6, s7
	s_mul_hi_u32 s6, s7, s6
	s_add_i32 s7, s7, s6
	s_mul_hi_u32 s6, s5, s7
	s_mul_i32 s6, s6, s3
	s_sub_i32 s5, s5, s6
	s_sub_i32 s6, s5, s3
	s_cmp_ge_u32 s5, s3
	s_cselect_b32 s5, s6, s5
	s_sub_i32 s6, s5, s3
	s_cmp_ge_u32 s5, s3
	s_cselect_b32 s3, s6, s5
	s_xor_b32 s3, s3, s4
	s_sub_i32 s3, s3, s4
	s_add_i32 s2, s2, s23
	s_sub_i32 s2, s2, s3
	s_cmp_eq_u32 s3, 0
	s_cselect_b32 s33, s23, s2
	v_cmp_gt_u32_e32 vcc, s33, v62
	s_and_b64 exec, exec, vcc
	s_cbranch_execz .LBB187_64
; %bb.8:
	s_load_dwordx8 s[12:19], s[0:1], 0x18
	s_load_dword s38, s[0:1], 0x10
	s_min_u32 s39, s22, 0x8000
	s_cmp_lg_u32 s20, 0
	s_cselect_b64 s[2:3], -1, 0
	s_cmp_lg_u32 s22, 0
	s_waitcnt lgkmcnt(0)
	v_cvt_f32_u32_e32 v1, s38
	s_mul_i32 s0, s9, s8
	s_cselect_b64 s[4:5], -1, 0
	s_lshl_b32 s40, s8, 9
	v_rcp_iflag_f32_e32 v1, v1
	s_add_i32 s41, s20, -8
	s_add_i32 s42, s23, -1
	s_lshl_b32 s43, s0, 2
	v_mul_f32_e32 v1, 0x4f7ffffe, v1
	v_cvt_u32_f32_e32 v1, v1
	v_and_b32_e32 v0, 0x3ff, v0
	s_cmp_lg_u64 s[16:17], 0
	v_lshlrev_b32_e32 v72, 3, v0
	v_cmp_eq_u32_e64 s[0:1], 63, v0
	s_cselect_b64 s[24:25], -1, 0
	s_sub_i32 s6, 0, s38
	v_lshlrev_b32_e32 v0, 4, v0
	s_add_i32 s44, s23, -4
	v_mul_lo_u32 v6, s6, v1
	v_lshl_add_u32 v74, v7, 10, v0
	v_cndmask_b32_e64 v0, 0, 1, s[2:3]
	v_mul_hi_u32 v6, v1, v6
	s_add_u32 s26, s18, 2
	v_cmp_ne_u32_e64 s[2:3], 1, v0
	v_cndmask_b32_e64 v0, 0, 1, s[4:5]
	s_mov_b64 s[10:11], 0
	v_add_u32_e32 v73, v1, v6
	v_mov_b32_e32 v1, 0
	s_addc_u32 s27, s19, 0
	s_lshl_b32 s45, s8, 10
	v_lshl_add_u32 v75, v7, 9, v72
	v_cmp_ne_u32_e64 s[4:5], 1, v0
	s_mov_b32 s46, 0x7f800000
	s_movk_i32 s47, 0x7fff
	s_branch .LBB187_12
.LBB187_9:                              ;   in Loop: Header=BB187_12 Depth=1
	s_or_b64 exec, exec, s[30:31]
	v_mov_b32_e32 v62, s44
.LBB187_10:                             ;   in Loop: Header=BB187_12 Depth=1
	s_or_b64 exec, exec, s[28:29]
.LBB187_11:                             ;   in Loop: Header=BB187_12 Depth=1
	s_or_b64 exec, exec, s[8:9]
	v_cmp_le_u32_e32 vcc, s33, v62
	s_or_b64 s[10:11], vcc, s[10:11]
	s_andn2_b64 exec, exec, s[10:11]
	s_cbranch_execz .LBB187_64
.LBB187_12:                             ; =>This Loop Header: Depth=1
                                        ;     Child Loop BB187_17 Depth 2
                                        ;       Child Loop BB187_22 Depth 3
                                        ;     Child Loop BB187_62 Depth 2
	s_and_b64 vcc, exec, s[2:3]
	v_mov_b32_e32 v9, v1
	v_mov_b32_e32 v8, v1
	v_mov_b32_e32 v7, v1
	v_mov_b32_e32 v6, v1
	v_mov_b32_e32 v13, v1
	v_mov_b32_e32 v12, v1
	s_waitcnt vmcnt(0)
	v_mov_b32_e32 v11, v1
	v_mov_b32_e32 v10, v1
	;; [unrolled: 1-line block ×10, first 2 shown]
	s_cbranch_vccnz .LBB187_29
; %bb.13:                               ;   in Loop: Header=BB187_12 Depth=1
	v_add_u32_e32 v6, 1, v62
	v_add_u32_e32 v8, 2, v62
	;; [unrolled: 1-line block ×3, first 2 shown]
	v_min_u32_e32 v0, s42, v62
	v_min_u32_e32 v6, s42, v6
	;; [unrolled: 1-line block ×4, first 2 shown]
	v_mul_lo_u32 v0, v0, s21
	v_mul_lo_u32 v6, v6, s21
	v_mov_b32_e32 v7, v1
	v_mul_lo_u32 v8, v8, s21
	v_mov_b32_e32 v9, v1
	;; [unrolled: 2-line block ×3, first 2 shown]
	v_mov_b32_e32 v18, 0
	v_cmp_gt_u32_e64 s[6:7], s23, v62
	s_mov_b32 s34, 0
	v_lshlrev_b64 v[64:65], 1, v[0:1]
	v_lshlrev_b64 v[66:67], 1, v[6:7]
	;; [unrolled: 1-line block ×4, first 2 shown]
	s_mov_b32 s35, 0
	v_mov_b32_e32 v19, v18
	v_mov_b32_e32 v20, v18
	;; [unrolled: 1-line block ×15, first 2 shown]
	s_branch .LBB187_17
.LBB187_14:                             ;   in Loop: Header=BB187_17 Depth=2
	s_or_b64 exec, exec, s[30:31]
.LBB187_15:                             ;   in Loop: Header=BB187_17 Depth=2
	s_or_b64 exec, exec, s[28:29]
	s_waitcnt vmcnt(7) lgkmcnt(0)
	v_mfma_f32_4x4x4_16b_bf16 v[18:21], v[58:59], v[54:55], v[18:21]
	s_waitcnt vmcnt(6)
	v_mfma_f32_4x4x4_16b_bf16 v[14:17], v[58:59], v[50:51], v[14:17]
	s_waitcnt vmcnt(5)
	;; [unrolled: 2-line block ×3, first 2 shown]
	v_mfma_f32_4x4x4_16b_bf16 v[6:9], v[58:59], v[38:39], v[6:9]
	v_mfma_f32_4x4x4_16b_bf16 v[18:21], v[60:61], v[56:57], v[18:21]
	;; [unrolled: 1-line block ×5, first 2 shown]
	s_waitcnt vmcnt(3)
	v_mfma_f32_4x4x4_16b_bf16 v[18:21], v[30:31], v[42:43], v[18:21]
	s_waitcnt vmcnt(2)
	v_mfma_f32_4x4x4_16b_bf16 v[14:17], v[30:31], v[34:35], v[14:17]
	;; [unrolled: 2-line block ×4, first 2 shown]
	v_mfma_f32_4x4x4_16b_bf16 v[18:21], v[32:33], v[44:45], v[18:21]
	v_mfma_f32_4x4x4_16b_bf16 v[14:17], v[32:33], v[36:37], v[14:17]
	;; [unrolled: 1-line block ×4, first 2 shown]
.LBB187_16:                             ;   in Loop: Header=BB187_17 Depth=2
	s_or_b64 exec, exec, s[8:9]
	s_addk_i32 s35, 0x400
	s_cmp_ge_u32 s35, s20
	s_cbranch_scc1 .LBB187_29
.LBB187_17:                             ;   Parent Loop BB187_12 Depth=1
                                        ; =>  This Loop Header: Depth=2
                                        ;       Child Loop BB187_22 Depth 3
	s_cmp_eq_u32 s35, 0
	s_cselect_b64 s[8:9], -1, 0
	s_add_i32 s28, s34, s39
	s_cmp_eq_u32 s35, s28
	s_cselect_b64 s[30:31], -1, 0
	s_or_b64 s[30:31], s[8:9], s[30:31]
	s_andn2_b64 vcc, exec, s[30:31]
	s_cbranch_vccz .LBB187_19
; %bb.18:                               ;   in Loop: Header=BB187_17 Depth=2
	s_and_saveexec_b64 s[8:9], s[6:7]
	s_cbranch_execz .LBB187_16
	s_branch .LBB187_26
.LBB187_19:                             ;   in Loop: Header=BB187_17 Depth=2
	s_and_b64 s[8:9], s[8:9], exec
	s_cselect_b32 s34, s34, s28
	s_and_b64 vcc, exec, s[4:5]
	s_barrier
	s_cbranch_vccnz .LBB187_25
; %bb.20:                               ;   in Loop: Header=BB187_17 Depth=2
	v_add_u32_e32 v22, s34, v75
	s_mov_b32 s36, 0
	s_mov_b64 s[28:29], 0
	v_mov_b32_e32 v23, v74
                                        ; implicit-def: $sgpr30_sgpr31
	s_branch .LBB187_22
.LBB187_21:                             ;   in Loop: Header=BB187_22 Depth=3
	s_or_b64 exec, exec, s[8:9]
	s_and_b64 s[8:9], exec, s[30:31]
	s_or_b64 s[28:29], s[8:9], s[28:29]
	s_andn2_b64 exec, exec, s[28:29]
	s_cbranch_execz .LBB187_24
.LBB187_22:                             ;   Parent Loop BB187_12 Depth=1
                                        ;     Parent Loop BB187_17 Depth=2
                                        ; =>    This Inner Loop Header: Depth=3
	v_add_u32_e32 v24, s36, v75
	v_add_u32_e32 v0, s36, v22
	v_cmp_gt_u32_e32 vcc, s22, v0
	v_cmp_gt_u32_e64 s[8:9], s39, v24
	s_and_b64 s[48:49], s[8:9], vcc
	s_or_b64 s[30:31], s[30:31], exec
	s_and_saveexec_b64 s[8:9], s[48:49]
	s_cbranch_execz .LBB187_21
; %bb.23:                               ;   in Loop: Header=BB187_22 Depth=3
	v_lshl_add_u64 v[24:25], v[0:1], 1, s[14:15]
	global_load_dwordx4 v[24:27], v[24:25], off
	s_add_i32 s36, s36, s40
	s_cmp_ge_u32 s36, s39
	s_cselect_b64 s[48:49], -1, 0
	s_andn2_b64 s[30:31], s[30:31], exec
	s_and_b64 s[48:49], s[48:49], exec
	s_or_b64 s[30:31], s[30:31], s[48:49]
	s_waitcnt vmcnt(0)
	ds_write_b128 v23, v[24:27]
	v_add_u32_e32 v23, s45, v23
	s_branch .LBB187_21
.LBB187_24:                             ;   in Loop: Header=BB187_17 Depth=2
	s_or_b64 exec, exec, s[28:29]
.LBB187_25:                             ;   in Loop: Header=BB187_17 Depth=2
	s_waitcnt lgkmcnt(0)
	s_barrier
	s_and_saveexec_b64 s[8:9], s[6:7]
	s_cbranch_execz .LBB187_16
.LBB187_26:                             ;   in Loop: Header=BB187_17 Depth=2
	v_add_u32_e32 v63, s35, v72
	v_min_u32_e32 v0, s41, v63
	v_lshl_add_u64 v[22:23], v[0:1], 1, s[12:13]
	v_lshl_add_u64 v[24:25], v[22:23], 0, v[64:65]
	v_add_u32_e32 v76, 0x200, v63
	v_lshl_add_u64 v[26:27], v[22:23], 0, v[66:67]
	global_load_dwordx4 v[54:57], v[24:25], off nt
	global_load_dwordx4 v[50:53], v[26:27], off nt
	v_lshl_add_u64 v[24:25], v[22:23], 0, v[68:69]
	v_lshl_add_u64 v[22:23], v[22:23], 0, v[70:71]
	v_min_u32_e32 v0, s41, v76
	global_load_dwordx4 v[46:49], v[24:25], off nt
	global_load_dwordx4 v[38:41], v[22:23], off nt
	v_lshl_add_u64 v[22:23], v[0:1], 1, s[12:13]
	v_lshl_add_u64 v[24:25], v[22:23], 0, v[64:65]
	;; [unrolled: 1-line block ×3, first 2 shown]
	global_load_dwordx4 v[42:45], v[24:25], off nt
	global_load_dwordx4 v[34:37], v[26:27], off nt
	v_lshl_add_u64 v[24:25], v[22:23], 0, v[68:69]
	v_lshl_add_u64 v[22:23], v[22:23], 0, v[70:71]
	global_load_dwordx4 v[26:29], v[24:25], off nt
	s_nop 0
	global_load_dwordx4 v[22:25], v[22:23], off nt
	v_cmp_gt_u32_e32 vcc, s20, v63
	v_mov_b32_e32 v58, 0
	v_mov_b32_e32 v59, 0
	v_mov_b32_e32 v60, 0
	v_mov_b32_e32 v61, 0
	v_mov_b32_e32 v30, 0
	v_mov_b32_e32 v31, 0
	v_mov_b32_e32 v32, 0
	v_mov_b32_e32 v33, 0
	s_and_saveexec_b64 s[28:29], vcc
	s_cbranch_execz .LBB187_15
; %bb.27:                               ;   in Loop: Header=BB187_17 Depth=2
	v_subrev_u32_e32 v0, s34, v63
	v_lshlrev_b32_e32 v0, 1, v0
	ds_read_b128 v[58:61], v0
	v_cmp_gt_u32_e32 vcc, s20, v76
	v_mov_b32_e32 v33, 0
	v_mov_b32_e32 v32, 0
	;; [unrolled: 1-line block ×4, first 2 shown]
	s_and_saveexec_b64 s[30:31], vcc
	s_cbranch_execz .LBB187_14
; %bb.28:                               ;   in Loop: Header=BB187_17 Depth=2
	ds_read_b128 v[30:33], v0 offset:1024
	s_branch .LBB187_14
.LBB187_29:                             ;   in Loop: Header=BB187_12 Depth=1
	v_cmp_le_u32_e32 vcc, s23, v62
	s_and_saveexec_b64 s[6:7], vcc
	s_xor_b64 s[6:7], exec, s[6:7]
; %bb.30:                               ;   in Loop: Header=BB187_12 Depth=1
	v_add_u32_e32 v62, s43, v62
                                        ; implicit-def: $vgpr9
                                        ; implicit-def: $vgpr13
                                        ; implicit-def: $vgpr17
                                        ; implicit-def: $vgpr21
; %bb.31:                               ;   in Loop: Header=BB187_12 Depth=1
	s_andn2_saveexec_b64 s[8:9], s[6:7]
	s_cbranch_execz .LBB187_11
; %bb.32:                               ;   in Loop: Header=BB187_12 Depth=1
	v_cvt_i32_f32_e32 v0, v19
	v_cvt_i32_f32_e32 v19, v20
	;; [unrolled: 1-line block ×4, first 2 shown]
	v_cvt_f32_i32_dpp v0, v0 row_shl:1 row_mask:0xf bank_mask:0xf bound_ctrl:1
	v_cvt_f32_i32_dpp v19, v19 row_shl:2 row_mask:0xf bank_mask:0xf bound_ctrl:1
	v_cvt_i32_f32_e32 v16, v16
	v_cvt_f32_i32_dpp v20, v20 row_shl:3 row_mask:0xf bank_mask:0xf bound_ctrl:1
	v_cvt_i32_f32_e32 v17, v17
	v_cvt_i32_f32_e32 v11, v11
	v_add_f32_e32 v0, v18, v0
	v_cvt_f32_i32_dpp v15, v15 row_shl:1 row_mask:0xf bank_mask:0xf bound_ctrl:1
	v_cvt_i32_f32_e32 v7, v7
	v_add_f32_e32 v0, v0, v19
	v_cvt_f32_i32_dpp v16, v16 row_shl:2 row_mask:0xf bank_mask:0xf bound_ctrl:1
	v_cvt_i32_f32_e32 v12, v12
	v_cvt_i32_f32_e32 v8, v8
	v_add_f32_e32 v0, v0, v20
	v_cvt_f32_i32_dpp v17, v17 row_shl:3 row_mask:0xf bank_mask:0xf bound_ctrl:1
	v_cvt_f32_i32_dpp v11, v11 row_shl:1 row_mask:0xf bank_mask:0xf bound_ctrl:1
	v_cvt_i32_f32_e32 v13, v13
	v_cvt_i32_f32_e32 v9, v9
	;; [unrolled: 1-line block ×3, first 2 shown]
	v_add_f32_e32 v14, v14, v15
	v_cvt_f32_i32_dpp v7, v7 row_shl:1 row_mask:0xf bank_mask:0xf bound_ctrl:1
	v_add_f32_e32 v14, v14, v16
	v_cvt_f32_i32_dpp v12, v12 row_shl:2 row_mask:0xf bank_mask:0xf bound_ctrl:1
	v_cvt_f32_i32_dpp v8, v8 row_shl:2 row_mask:0xf bank_mask:0xf bound_ctrl:1
	v_add_f32_e32 v14, v14, v17
	v_add_f32_e32 v10, v10, v11
	v_cvt_f32_i32_dpp v11, v13 row_shl:3 row_mask:0xf bank_mask:0xf bound_ctrl:1
	v_cvt_f32_i32_dpp v9, v9 row_shl:3 row_mask:0xf bank_mask:0xf bound_ctrl:1
	;; [unrolled: 1-line block ×3, first 2 shown]
	v_cvt_i32_f32_e32 v15, v14
	v_add_f32_e32 v6, v6, v7
	v_add_f32_e32 v10, v10, v12
	;; [unrolled: 1-line block ×6, first 2 shown]
	v_cvt_f32_i32_dpp v15, v15 row_shl:4 row_mask:0xf bank_mask:0xf bound_ctrl:1
	v_cvt_i32_f32_e32 v11, v10
	v_cvt_i32_f32_e32 v7, v6
	;; [unrolled: 1-line block ×3, first 2 shown]
	v_add_f32_e32 v14, v14, v15
	v_cvt_f32_i32_dpp v9, v11 row_shl:4 row_mask:0xf bank_mask:0xf bound_ctrl:1
	v_cvt_f32_i32_dpp v7, v7 row_shl:4 row_mask:0xf bank_mask:0xf bound_ctrl:1
	;; [unrolled: 1-line block ×3, first 2 shown]
	v_cvt_i32_f32_e32 v15, v14
	v_add_f32_e32 v9, v10, v9
	v_add_f32_e32 v6, v6, v7
	;; [unrolled: 1-line block ×3, first 2 shown]
	v_cvt_f32_i32_dpp v8, v15 row_shl:8 row_mask:0xf bank_mask:0xf bound_ctrl:1
	v_cvt_i32_f32_e32 v10, v9
	v_cvt_i32_f32_e32 v7, v6
	;; [unrolled: 1-line block ×3, first 2 shown]
	v_add_f32_e32 v8, v14, v8
	v_cvt_f32_i32_dpp v10, v10 row_shl:8 row_mask:0xf bank_mask:0xf bound_ctrl:1
	v_cvt_f32_i32_dpp v7, v7 row_shl:8 row_mask:0xf bank_mask:0xf bound_ctrl:1
	v_cvt_f32_i32_dpp v0, v0 row_shr:15 row_mask:0xf bank_mask:0xf bound_ctrl:1
	v_cvt_i32_f32_e32 v8, v8
	v_add_f32_e32 v9, v9, v10
	v_add_f32_e32 v6, v6, v7
	v_cvt_i32_f32_e32 v11, v0
	v_cvt_f32_i32_dpp v8, v8 row_shr:15 row_mask:0xf bank_mask:0xf bound_ctrl:1
	v_cvt_i32_f32_e32 v9, v9
	v_cvt_i32_f32_e32 v6, v6
	v_cvt_f32_i32_dpp v7, v11 row_bcast:15 row_mask:0xf bank_mask:0xf bound_ctrl:1
	v_cvt_i32_f32_e32 v10, v8
	v_cvt_f32_i32_dpp v9, v9 row_shr:15 row_mask:0xf bank_mask:0xf bound_ctrl:1
	v_cvt_f32_i32_dpp v6, v6 row_shr:15 row_mask:0xf bank_mask:0xf bound_ctrl:1
	v_add_f32_e32 v15, v0, v7
	v_cvt_f32_i32_dpp v7, v10 row_bcast:15 row_mask:0xf bank_mask:0xf bound_ctrl:1
	v_cvt_i32_f32_e32 v0, v9
	v_cvt_i32_f32_e32 v10, v6
	;; [unrolled: 1-line block ×3, first 2 shown]
	v_add_f32_e32 v12, v8, v7
	v_cvt_f32_i32_dpp v0, v0 row_bcast:15 row_mask:0xf bank_mask:0xf bound_ctrl:1
	v_cvt_f32_i32_dpp v7, v10 row_bcast:15 row_mask:0xf bank_mask:0xf bound_ctrl:1
	v_cvt_i32_f32_e32 v8, v12
	v_mov_b32_dpp v16, v11 row_bcast:31 row_mask:0xf bank_mask:0xf bound_ctrl:1
	v_add_f32_e32 v9, v9, v0
	v_add_f32_e32 v7, v6, v7
	v_cvt_i32_f32_e32 v0, v9
	v_cvt_i32_f32_e32 v6, v7
	v_mov_b32_dpp v13, v8 row_bcast:31 row_mask:0xf bank_mask:0xf bound_ctrl:1
	v_mov_b32_dpp v10, v0 row_bcast:31 row_mask:0xf bank_mask:0xf bound_ctrl:1
	;; [unrolled: 1-line block ×3, first 2 shown]
	s_and_saveexec_b64 s[6:7], s[0:1]
	s_cbranch_execz .LBB187_59
; %bb.33:                               ;   in Loop: Header=BB187_12 Depth=1
	s_andn2_b64 vcc, exec, s[24:25]
	v_mov_b32_e32 v11, 0
	v_add_u32_e32 v0, 2, v62
	v_add_u32_e32 v6, 3, v62
	v_mov_b32_e32 v14, 0
	v_mov_b32_e32 v17, 0
	;; [unrolled: 1-line block ×3, first 2 shown]
	s_cbranch_vccnz .LBB187_35
; %bb.34:                               ;   in Loop: Header=BB187_12 Depth=1
	v_mul_hi_u32 v11, v62, v73
	v_mul_lo_u32 v11, v11, s38
	v_sub_u32_e32 v11, v62, v11
	v_subrev_u32_e32 v14, s38, v11
	v_cmp_le_u32_e32 vcc, s38, v11
	v_mov_b32_e32 v19, v1
	s_nop 0
	v_cndmask_b32_e32 v11, v11, v14, vcc
	v_subrev_u32_e32 v14, s38, v11
	v_cmp_le_u32_e32 vcc, s38, v11
	s_nop 1
	v_cndmask_b32_e32 v18, v11, v14, vcc
	v_add_u32_e32 v11, 1, v62
	v_mul_hi_u32 v14, v11, v73
	v_mul_lo_u32 v14, v14, s38
	v_sub_u32_e32 v11, v11, v14
	v_subrev_u32_e32 v14, s38, v11
	v_cmp_le_u32_e32 vcc, s38, v11
	v_lshl_add_u64 v[20:21], v[18:19], 1, s[16:17]
	s_nop 0
	v_cndmask_b32_e32 v11, v11, v14, vcc
	v_subrev_u32_e32 v14, s38, v11
	v_cmp_le_u32_e32 vcc, s38, v11
	s_nop 1
	v_cndmask_b32_e32 v18, v11, v14, vcc
	v_mul_hi_u32 v11, v0, v73
	v_mul_lo_u32 v11, v11, s38
	v_sub_u32_e32 v11, v0, v11
	v_subrev_u32_e32 v14, s38, v11
	v_cmp_le_u32_e32 vcc, s38, v11
	v_lshl_add_u64 v[22:23], v[18:19], 1, s[16:17]
	s_nop 0
	v_cndmask_b32_e32 v11, v11, v14, vcc
	v_subrev_u32_e32 v14, s38, v11
	v_cmp_le_u32_e32 vcc, s38, v11
	s_nop 1
	v_cndmask_b32_e32 v18, v11, v14, vcc
	;; [unrolled: 12-line block ×3, first 2 shown]
	v_lshl_add_u64 v[26:27], v[18:19], 1, s[16:17]
	global_load_ushort v18, v[20:21], off
	global_load_ushort v17, v[22:23], off
	global_load_ushort v14, v[24:25], off
	global_load_ushort v11, v[26:27], off
.LBB187_35:                             ;   in Loop: Header=BB187_12 Depth=1
	v_cmp_ne_u32_e32 vcc, 0, v2
	s_and_saveexec_b64 s[28:29], vcc
	s_cbranch_execnz .LBB187_39
; %bb.36:                               ;   in Loop: Header=BB187_12 Depth=1
	s_or_b64 exec, exec, s[28:29]
	v_cmp_ne_u32_e32 vcc, 0, v3
	s_and_saveexec_b64 s[28:29], vcc
	s_cbranch_execnz .LBB187_44
.LBB187_37:                             ;   in Loop: Header=BB187_12 Depth=1
	s_or_b64 exec, exec, s[28:29]
	v_cmp_ne_u32_e32 vcc, 0, v4
	s_and_saveexec_b64 s[28:29], vcc
	s_cbranch_execnz .LBB187_49
.LBB187_38:                             ;   in Loop: Header=BB187_12 Depth=1
	s_or_b64 exec, exec, s[28:29]
	v_cmp_ne_u32_e32 vcc, 0, v5
	s_and_b64 exec, exec, vcc
	s_cbranch_execnz .LBB187_54
	s_branch .LBB187_59
.LBB187_39:                             ;   in Loop: Header=BB187_12 Depth=1
	v_cvt_f32_i32_e32 v16, v16
	v_add_f32_e32 v15, v15, v16
	s_waitcnt vmcnt(3)
	v_lshlrev_b32_e32 v16, 16, v18
	v_add_f32_e32 v16, v15, v16
	v_and_b32_e32 v15, 0x7f800000, v16
	v_cmp_ne_u32_e32 vcc, s46, v15
                                        ; implicit-def: $vgpr15
	s_and_saveexec_b64 s[30:31], vcc
	s_xor_b64 s[30:31], exec, s[30:31]
; %bb.40:                               ;   in Loop: Header=BB187_12 Depth=1
	v_bfe_u32 v15, v16, 16, 1
	v_add3_u32 v15, v16, v15, s47
                                        ; implicit-def: $vgpr16
; %bb.41:                               ;   in Loop: Header=BB187_12 Depth=1
	s_andn2_saveexec_b64 s[30:31], s[30:31]
; %bb.42:                               ;   in Loop: Header=BB187_12 Depth=1
	v_or_b32_e32 v15, 0x10000, v16
	v_cmp_eq_u32_sdwa vcc, v16, v1 src0_sel:WORD_0 src1_sel:DWORD
	s_nop 1
	v_cndmask_b32_e32 v15, v15, v16, vcc
; %bb.43:                               ;   in Loop: Header=BB187_12 Depth=1
	s_or_b64 exec, exec, s[30:31]
	v_mov_b32_e32 v63, v1
	v_lshl_add_u64 v[18:19], v[62:63], 1, s[18:19]
	global_store_short_d16_hi v[18:19], v15, off
	s_or_b64 exec, exec, s[28:29]
	v_cmp_ne_u32_e32 vcc, 0, v3
	s_and_saveexec_b64 s[28:29], vcc
	s_cbranch_execz .LBB187_37
.LBB187_44:                             ;   in Loop: Header=BB187_12 Depth=1
	v_cvt_f32_i32_e32 v13, v13
	v_add_f32_e32 v12, v12, v13
	s_waitcnt vmcnt(2)
	v_lshlrev_b32_e32 v13, 16, v17
	v_add_f32_e32 v13, v12, v13
	v_and_b32_e32 v12, 0x7f800000, v13
	v_cmp_ne_u32_e32 vcc, s46, v12
                                        ; implicit-def: $vgpr12
	s_and_saveexec_b64 s[30:31], vcc
	s_xor_b64 s[30:31], exec, s[30:31]
; %bb.45:                               ;   in Loop: Header=BB187_12 Depth=1
	v_bfe_u32 v12, v13, 16, 1
	v_add3_u32 v12, v13, v12, s47
                                        ; implicit-def: $vgpr13
; %bb.46:                               ;   in Loop: Header=BB187_12 Depth=1
	s_andn2_saveexec_b64 s[30:31], s[30:31]
; %bb.47:                               ;   in Loop: Header=BB187_12 Depth=1
	v_or_b32_e32 v12, 0x10000, v13
	v_cmp_eq_u32_sdwa vcc, v13, v1 src0_sel:WORD_0 src1_sel:DWORD
	s_nop 1
	v_cndmask_b32_e32 v12, v12, v13, vcc
; %bb.48:                               ;   in Loop: Header=BB187_12 Depth=1
	s_or_b64 exec, exec, s[30:31]
	v_mov_b32_e32 v63, v1
	v_lshl_add_u64 v[16:17], v[62:63], 1, s[26:27]
	global_store_short_d16_hi v[16:17], v12, off
	s_or_b64 exec, exec, s[28:29]
	v_cmp_ne_u32_e32 vcc, 0, v4
	s_and_saveexec_b64 s[28:29], vcc
	s_cbranch_execz .LBB187_38
.LBB187_49:                             ;   in Loop: Header=BB187_12 Depth=1
	v_cvt_f32_i32_e32 v10, v10
	v_add_f32_e32 v9, v9, v10
	s_waitcnt vmcnt(1)
	v_lshlrev_b32_e32 v10, 16, v14
	v_add_f32_e32 v10, v9, v10
	v_and_b32_e32 v9, 0x7f800000, v10
	v_cmp_ne_u32_e32 vcc, s46, v9
                                        ; implicit-def: $vgpr9
	s_and_saveexec_b64 s[30:31], vcc
	s_xor_b64 s[30:31], exec, s[30:31]
; %bb.50:                               ;   in Loop: Header=BB187_12 Depth=1
	v_bfe_u32 v9, v10, 16, 1
	v_add3_u32 v9, v10, v9, s47
                                        ; implicit-def: $vgpr10
; %bb.51:                               ;   in Loop: Header=BB187_12 Depth=1
	s_andn2_saveexec_b64 s[30:31], s[30:31]
; %bb.52:                               ;   in Loop: Header=BB187_12 Depth=1
	v_or_b32_e32 v9, 0x10000, v10
	v_cmp_eq_u32_sdwa vcc, v10, v1 src0_sel:WORD_0 src1_sel:DWORD
	s_nop 1
	v_cndmask_b32_e32 v9, v9, v10, vcc
; %bb.53:                               ;   in Loop: Header=BB187_12 Depth=1
	s_or_b64 exec, exec, s[30:31]
	v_lshl_add_u64 v[12:13], v[0:1], 1, s[18:19]
	global_store_short_d16_hi v[12:13], v9, off
	s_or_b64 exec, exec, s[28:29]
	v_cmp_ne_u32_e32 vcc, 0, v5
	s_and_b64 exec, exec, vcc
	s_cbranch_execz .LBB187_59
.LBB187_54:                             ;   in Loop: Header=BB187_12 Depth=1
	v_cvt_f32_i32_e32 v0, v8
	v_add_f32_e32 v0, v7, v0
	s_waitcnt vmcnt(0)
	v_lshlrev_b32_e32 v7, 16, v11
	v_add_f32_e32 v7, v0, v7
	v_and_b32_e32 v0, 0x7f800000, v7
	v_cmp_ne_u32_e32 vcc, s46, v0
                                        ; implicit-def: $vgpr0
	s_and_saveexec_b64 s[28:29], vcc
	s_xor_b64 s[28:29], exec, s[28:29]
; %bb.55:                               ;   in Loop: Header=BB187_12 Depth=1
	v_bfe_u32 v0, v7, 16, 1
	v_add3_u32 v0, v7, v0, s47
                                        ; implicit-def: $vgpr7
; %bb.56:                               ;   in Loop: Header=BB187_12 Depth=1
	s_andn2_saveexec_b64 s[28:29], s[28:29]
; %bb.57:                               ;   in Loop: Header=BB187_12 Depth=1
	v_or_b32_e32 v0, 0x10000, v7
	v_cmp_eq_u32_sdwa vcc, v7, v1 src0_sel:WORD_0 src1_sel:DWORD
	s_nop 1
	v_cndmask_b32_e32 v0, v0, v7, vcc
; %bb.58:                               ;   in Loop: Header=BB187_12 Depth=1
	s_or_b64 exec, exec, s[28:29]
	v_mov_b32_e32 v7, v1
	v_lshl_add_u64 v[6:7], v[6:7], 1, s[18:19]
	global_store_short_d16_hi v[6:7], v0, off
.LBB187_59:                             ;   in Loop: Header=BB187_12 Depth=1
	s_or_b64 exec, exec, s[6:7]
	v_add_u32_e32 v62, s43, v62
	v_add_u32_e32 v0, 4, v62
	v_cmp_gt_u32_e32 vcc, s23, v62
	v_cmp_le_u32_e64 s[6:7], s23, v0
	s_and_b64 s[6:7], vcc, s[6:7]
	s_and_saveexec_b64 s[28:29], s[6:7]
	s_cbranch_execz .LBB187_10
; %bb.60:                               ;   in Loop: Header=BB187_12 Depth=1
	v_cmp_ne_u32_e32 vcc, s44, v62
	s_and_saveexec_b64 s[30:31], vcc
	s_cbranch_execz .LBB187_9
; %bb.61:                               ;   in Loop: Header=BB187_12 Depth=1
	v_subrev_u32_e32 v0, s44, v62
	v_cmp_lt_u32_e32 vcc, 1, v0
	s_mov_b64 s[34:35], 0
	s_mov_b64 s[36:37], 0
	v_cndmask_b32_e32 v0, 1, v0, vcc
.LBB187_62:                             ;   Parent Loop BB187_12 Depth=1
                                        ; =>  This Inner Loop Header: Depth=2
	s_cmp_lg_u32 s36, 3
	s_cselect_b64 vcc, -1, 0
	s_cmp_lg_u32 s36, 2
	v_cndmask_b32_e32 v5, 0, v5, vcc
	s_cselect_b64 vcc, -1, 0
	s_cmp_lg_u32 s36, 1
	v_cndmask_b32_e32 v4, 0, v4, vcc
	;; [unrolled: 3-line block ×3, first 2 shown]
	s_cselect_b64 vcc, -1, 0
	s_add_u32 s36, s36, 1
	s_addc_u32 s37, s37, 0
	v_cmp_eq_u32_e64 s[6:7], s36, v0
	s_or_b64 s[34:35], s[6:7], s[34:35]
	v_cndmask_b32_e32 v2, 0, v2, vcc
	s_andn2_b64 exec, exec, s[34:35]
	s_cbranch_execnz .LBB187_62
; %bb.63:                               ;   in Loop: Header=BB187_12 Depth=1
	s_or_b64 exec, exec, s[34:35]
	s_branch .LBB187_9
.LBB187_64:
	s_endpgm
	.section	.rodata,"a",@progbits
	.p2align	6, 0x0
	.amdhsa_kernel _Z16wvSplitK_hf_big_I14__hip_bfloat16Li64ELi4ELi16ELi8ELi2ELi1EEviiiiiiPKT_S3_S3_PS1_ii
		.amdhsa_group_segment_fixed_size 65536
		.amdhsa_private_segment_fixed_size 0
		.amdhsa_kernarg_size 64
		.amdhsa_user_sgpr_count 2
		.amdhsa_user_sgpr_dispatch_ptr 0
		.amdhsa_user_sgpr_queue_ptr 0
		.amdhsa_user_sgpr_kernarg_segment_ptr 1
		.amdhsa_user_sgpr_dispatch_id 0
		.amdhsa_user_sgpr_kernarg_preload_length 0
		.amdhsa_user_sgpr_kernarg_preload_offset 0
		.amdhsa_user_sgpr_private_segment_size 0
		.amdhsa_uses_dynamic_stack 0
		.amdhsa_enable_private_segment 0
		.amdhsa_system_sgpr_workgroup_id_x 1
		.amdhsa_system_sgpr_workgroup_id_y 0
		.amdhsa_system_sgpr_workgroup_id_z 0
		.amdhsa_system_sgpr_workgroup_info 0
		.amdhsa_system_vgpr_workitem_id 1
		.amdhsa_next_free_vgpr 77
		.amdhsa_next_free_sgpr 50
		.amdhsa_accum_offset 80
		.amdhsa_reserve_vcc 1
		.amdhsa_float_round_mode_32 0
		.amdhsa_float_round_mode_16_64 0
		.amdhsa_float_denorm_mode_32 3
		.amdhsa_float_denorm_mode_16_64 3
		.amdhsa_dx10_clamp 1
		.amdhsa_ieee_mode 1
		.amdhsa_fp16_overflow 0
		.amdhsa_tg_split 0
		.amdhsa_exception_fp_ieee_invalid_op 0
		.amdhsa_exception_fp_denorm_src 0
		.amdhsa_exception_fp_ieee_div_zero 0
		.amdhsa_exception_fp_ieee_overflow 0
		.amdhsa_exception_fp_ieee_underflow 0
		.amdhsa_exception_fp_ieee_inexact 0
		.amdhsa_exception_int_div_zero 0
	.end_amdhsa_kernel
	.section	.text._Z16wvSplitK_hf_big_I14__hip_bfloat16Li64ELi4ELi16ELi8ELi2ELi1EEviiiiiiPKT_S3_S3_PS1_ii,"axG",@progbits,_Z16wvSplitK_hf_big_I14__hip_bfloat16Li64ELi4ELi16ELi8ELi2ELi1EEviiiiiiPKT_S3_S3_PS1_ii,comdat
.Lfunc_end187:
	.size	_Z16wvSplitK_hf_big_I14__hip_bfloat16Li64ELi4ELi16ELi8ELi2ELi1EEviiiiiiPKT_S3_S3_PS1_ii, .Lfunc_end187-_Z16wvSplitK_hf_big_I14__hip_bfloat16Li64ELi4ELi16ELi8ELi2ELi1EEviiiiiiPKT_S3_S3_PS1_ii
                                        ; -- End function
	.section	.AMDGPU.csdata,"",@progbits
; Kernel info:
; codeLenInByte = 3096
; NumSgprs: 56
; NumVgprs: 77
; NumAgprs: 0
; TotalNumVgprs: 77
; ScratchSize: 0
; MemoryBound: 0
; FloatMode: 240
; IeeeMode: 1
; LDSByteSize: 65536 bytes/workgroup (compile time only)
; SGPRBlocks: 6
; VGPRBlocks: 9
; NumSGPRsForWavesPerEU: 56
; NumVGPRsForWavesPerEU: 77
; AccumOffset: 80
; Occupancy: 4
; WaveLimiterHint : 0
; COMPUTE_PGM_RSRC2:SCRATCH_EN: 0
; COMPUTE_PGM_RSRC2:USER_SGPR: 2
; COMPUTE_PGM_RSRC2:TRAP_HANDLER: 0
; COMPUTE_PGM_RSRC2:TGID_X_EN: 1
; COMPUTE_PGM_RSRC2:TGID_Y_EN: 0
; COMPUTE_PGM_RSRC2:TGID_Z_EN: 0
; COMPUTE_PGM_RSRC2:TIDIG_COMP_CNT: 1
; COMPUTE_PGM_RSRC3_GFX90A:ACCUM_OFFSET: 19
; COMPUTE_PGM_RSRC3_GFX90A:TG_SPLIT: 0
	.section	.text._Z16wvSplitK_hf_sml_I14__hip_bfloat16Li32ELi1ELi16ELi8ELi4ELi2EEviiiiiiPKT_S3_S3_PS1_ii,"axG",@progbits,_Z16wvSplitK_hf_sml_I14__hip_bfloat16Li32ELi1ELi16ELi8ELi4ELi2EEviiiiiiPKT_S3_S3_PS1_ii,comdat
	.protected	_Z16wvSplitK_hf_sml_I14__hip_bfloat16Li32ELi1ELi16ELi8ELi4ELi2EEviiiiiiPKT_S3_S3_PS1_ii ; -- Begin function _Z16wvSplitK_hf_sml_I14__hip_bfloat16Li32ELi1ELi16ELi8ELi4ELi2EEviiiiiiPKT_S3_S3_PS1_ii
	.globl	_Z16wvSplitK_hf_sml_I14__hip_bfloat16Li32ELi1ELi16ELi8ELi4ELi2EEviiiiiiPKT_S3_S3_PS1_ii
	.p2align	8
	.type	_Z16wvSplitK_hf_sml_I14__hip_bfloat16Li32ELi1ELi16ELi8ELi4ELi2EEviiiiiiPKT_S3_S3_PS1_ii,@function
_Z16wvSplitK_hf_sml_I14__hip_bfloat16Li32ELi1ELi16ELi8ELi4ELi2EEviiiiiiPKT_S3_S3_PS1_ii: ; @_Z16wvSplitK_hf_sml_I14__hip_bfloat16Li32ELi1ELi16ELi8ELi4ELi2EEviiiiiiPKT_S3_S3_PS1_ii
; %bb.0:
	s_load_dwordx4 s[8:11], s[0:1], 0x0
	v_and_b32_e32 v4, 0x3ff, v0
	v_bfe_u32 v5, v0, 10, 10
	v_lshlrev_b32_e32 v62, 3, v4
	v_lshl_add_u32 v6, v5, 8, v62
	s_waitcnt lgkmcnt(0)
	s_lshl_b32 s10, s10, 1
	s_min_u32 s3, s10, 0x8000
	v_cmp_gt_u32_e32 vcc, s3, v6
	s_and_saveexec_b64 s[4:5], vcc
	s_cbranch_execz .LBB188_9
; %bb.1:
	s_load_dwordx2 s[6:7], s[0:1], 0x20
	v_lshlrev_b32_e32 v0, 1, v6
	v_add_u32_e32 v1, 0x1000, v6
	v_cmp_gt_u32_e32 vcc, s3, v1
	s_waitcnt lgkmcnt(0)
	global_load_dwordx4 v[8:11], v0, s[6:7]
	s_waitcnt vmcnt(0)
	ds_write_b128 v0, v[8:11]
	s_and_saveexec_b64 s[12:13], vcc
	s_xor_b64 s[12:13], exec, s[12:13]
	s_cbranch_execz .LBB188_9
; %bb.2:
	v_mov_b32_e32 v1, 0
	v_lshl_add_u64 v[2:3], s[6:7], 0, v[0:1]
	v_add_co_u32_e32 v8, vcc, 0x2000, v2
	v_add_u32_e32 v1, 0x2000, v6
	s_nop 0
	v_addc_co_u32_e32 v9, vcc, 0, v3, vcc
	global_load_dwordx4 v[8:11], v[8:9], off
	v_cmp_gt_u32_e32 vcc, s3, v1
	s_waitcnt vmcnt(0)
	ds_write_b128 v0, v[8:11] offset:8192
	s_and_saveexec_b64 s[6:7], vcc
	s_xor_b64 s[6:7], exec, s[6:7]
	s_cbranch_execz .LBB188_9
; %bb.3:
	v_add_co_u32_e32 v8, vcc, 0x4000, v2
	v_add_u32_e32 v1, 0x3000, v6
	s_nop 0
	v_addc_co_u32_e32 v9, vcc, 0, v3, vcc
	global_load_dwordx4 v[8:11], v[8:9], off
	v_cmp_gt_u32_e32 vcc, s3, v1
	s_waitcnt vmcnt(0)
	ds_write_b128 v0, v[8:11] offset:16384
	s_and_saveexec_b64 s[6:7], vcc
	s_xor_b64 s[6:7], exec, s[6:7]
	s_cbranch_execz .LBB188_9
; %bb.4:
	;; [unrolled: 12-line block ×6, first 2 shown]
	v_add_co_u32_e32 v2, vcc, 0xe000, v2
	s_nop 1
	v_addc_co_u32_e32 v3, vcc, 0, v3, vcc
	global_load_dwordx4 v[6:9], v[2:3], off
	s_waitcnt vmcnt(0)
	ds_write_b128 v0, v[6:9] offset:57344
.LBB188_9:
	s_or_b64 exec, exec, s[4:5]
	s_load_dwordx2 s[4:5], s[0:1], 0x38
	s_waitcnt lgkmcnt(0)
	s_barrier
	v_cmp_gt_u32_e32 vcc, s4, v5
	s_and_saveexec_b64 s[6:7], vcc
	s_cbranch_execz .LBB188_36
; %bb.10:
	s_load_dwordx2 s[6:7], s[0:1], 0x10
	s_mul_i32 s2, s2, s4
	v_add_u32_e32 v56, s2, v5
	v_cmp_gt_u32_e32 vcc, s11, v56
	s_and_b64 exec, exec, vcc
	s_cbranch_execz .LBB188_36
; %bb.11:
	s_waitcnt lgkmcnt(0)
	v_cvt_f32_u32_e32 v0, s6
	s_load_dwordx4 s[12:15], s[0:1], 0x28
	s_load_dwordx2 s[16:17], s[0:1], 0x18
	s_cmp_lg_u32 s8, 0
	s_cselect_b64 s[2:3], -1, 0
	v_rcp_iflag_f32_e32 v0, v0
	s_add_i32 s28, s8, -8
	s_add_i32 s29, s11, -1
	s_waitcnt lgkmcnt(0)
	s_cmp_lg_u64 s[12:13], 0
	v_mul_f32_e32 v0, 0x4f7ffffe, v0
	v_cvt_u32_f32_e32 v0, v0
	s_cselect_b64 s[20:21], -1, 0
	s_mul_i32 s30, s5, s4
	s_sub_i32 s4, 0, s6
	v_mul_lo_u32 v1, s4, v0
	s_abs_i32 s4, s7
	s_sub_i32 s5, 1, s4
	s_cmp_lt_u32 s4, 2
	s_cselect_b32 s5, s5, 1
	v_mul_hi_u32 v1, v0, v1
	s_sub_i32 s7, s5, s4
	v_add_u32_e32 v63, v0, v1
	s_cmp_ge_u32 s5, s4
	v_cndmask_b32_e64 v0, 0, 1, s[2:3]
	s_cselect_b32 s7, s7, s5
	v_cmp_ne_u32_e64 s[2:3], 1, v0
	v_cndmask_b32_e64 v0, 0, 1, s[20:21]
	v_cmp_eq_u32_e64 s[0:1], 31, v4
	s_mov_b64 s[18:19], 0
	v_mov_b32_e32 v59, 0
	s_mul_i32 s7, s7, s6
	v_lshlrev_b32_e32 v64, 4, v4
	s_mov_b32 s31, 0x7f800000
	s_movk_i32 s33, 0x7fff
	v_cmp_ne_u32_e64 s[4:5], 1, v0
	s_branch .LBB188_14
.LBB188_12:                             ;   in Loop: Header=BB188_14 Depth=1
	s_or_b64 exec, exec, s[22:23]
	v_add_u32_e32 v58, s11, v56
	v_lshl_add_u64 v[2:3], v[58:59], 1, s[14:15]
	global_store_short_d16_hi v[2:3], v0, off
.LBB188_13:                             ;   in Loop: Header=BB188_14 Depth=1
	s_or_b64 exec, exec, s[20:21]
	v_add_u32_e32 v56, s30, v56
	v_cmp_le_u32_e32 vcc, s11, v56
	s_or_b64 s[18:19], vcc, s[18:19]
	s_andn2_b64 exec, exec, s[18:19]
	s_cbranch_execz .LBB188_36
.LBB188_14:                             ; =>This Loop Header: Depth=1
                                        ;     Child Loop BB188_20 Depth 2
	s_and_b64 vcc, exec, s[2:3]
	v_mov_b32_e32 v7, v59
	v_mov_b32_e32 v6, v59
	;; [unrolled: 1-line block ×8, first 2 shown]
	s_cbranch_vccnz .LBB188_25
; %bb.15:                               ;   in Loop: Header=BB188_14 Depth=1
	v_min_u32_e32 v0, s29, v56
	v_mul_lo_u32 v58, v0, s9
	v_mov_b32_e32 v0, 0
	v_lshl_add_u64 v[60:61], v[58:59], 1, s[16:17]
	s_mov_b32 s34, 0
	v_mov_b32_e32 v57, v64
	v_mov_b32_e32 v1, v0
	;; [unrolled: 1-line block ×8, first 2 shown]
	s_branch .LBB188_20
.LBB188_16:                             ;   in Loop: Header=BB188_20 Depth=2
	s_or_b64 exec, exec, s[26:27]
.LBB188_17:                             ;   in Loop: Header=BB188_20 Depth=2
	s_or_b64 exec, exec, s[24:25]
.LBB188_18:                             ;   in Loop: Header=BB188_20 Depth=2
	s_or_b64 exec, exec, s[22:23]
.LBB188_19:                             ;   in Loop: Header=BB188_20 Depth=2
	s_or_b64 exec, exec, s[20:21]
	s_waitcnt vmcnt(3) lgkmcnt(1)
	v_mfma_f32_4x4x4_16b_bf16 v[0:3], v[52:53], v[20:21], v[0:3]
	s_addk_i32 s34, 0x400
	s_waitcnt lgkmcnt(0)
	v_mfma_f32_4x4x4_16b_bf16 v[4:7], v[28:29], v[20:21], v[4:7]
	v_add_u32_e32 v57, 0x800, v57
	v_mfma_f32_4x4x4_16b_bf16 v[0:3], v[54:55], v[22:23], v[0:3]
	s_cmp_ge_u32 s34, s8
	v_mfma_f32_4x4x4_16b_bf16 v[4:7], v[30:31], v[22:23], v[4:7]
	s_waitcnt vmcnt(2)
	v_mfma_f32_4x4x4_16b_bf16 v[0:3], v[44:45], v[12:13], v[0:3]
	v_mfma_f32_4x4x4_16b_bf16 v[4:7], v[32:33], v[12:13], v[4:7]
	s_nop 0
	v_mfma_f32_4x4x4_16b_bf16 v[0:3], v[46:47], v[14:15], v[0:3]
	v_mfma_f32_4x4x4_16b_bf16 v[4:7], v[34:35], v[14:15], v[4:7]
	s_waitcnt vmcnt(1)
	v_mfma_f32_4x4x4_16b_bf16 v[0:3], v[36:37], v[16:17], v[0:3]
	v_mfma_f32_4x4x4_16b_bf16 v[4:7], v[48:49], v[16:17], v[4:7]
	s_nop 0
	v_mfma_f32_4x4x4_16b_bf16 v[0:3], v[38:39], v[18:19], v[0:3]
	;; [unrolled: 6-line block ×3, first 2 shown]
	v_mfma_f32_4x4x4_16b_bf16 v[4:7], v[26:27], v[10:11], v[4:7]
	s_cbranch_scc1 .LBB188_25
.LBB188_20:                             ;   Parent Loop BB188_14 Depth=1
                                        ; =>  This Inner Loop Header: Depth=2
	v_add_u32_e32 v28, s34, v62
	v_min_u32_e32 v58, s28, v28
	v_add_u32_e32 v67, 0x100, v28
	v_lshl_add_u64 v[8:9], v[58:59], 1, v[60:61]
	v_min_u32_e32 v58, s28, v67
	v_add_u32_e32 v66, 0x200, v28
	v_lshl_add_u64 v[10:11], v[58:59], 1, v[60:61]
	;; [unrolled: 3-line block ×3, first 2 shown]
	v_min_u32_e32 v58, s28, v65
	global_load_dwordx4 v[20:23], v[8:9], off nt
	global_load_dwordx4 v[12:15], v[10:11], off nt
	v_lshl_add_u64 v[26:27], v[58:59], 1, v[60:61]
	global_load_dwordx4 v[16:19], v[24:25], off nt
	global_load_dwordx4 v[8:11], v[26:27], off nt
	v_cmp_gt_u32_e32 vcc, s8, v28
	v_mov_b32_e32 v50, 0
	v_mov_b32_e32 v51, 0
	;; [unrolled: 1-line block ×32, first 2 shown]
	s_and_saveexec_b64 s[20:21], vcc
	s_cbranch_execz .LBB188_19
; %bb.21:                               ;   in Loop: Header=BB188_20 Depth=2
	v_add_u32_e32 v58, s10, v57
	ds_read_b128 v[52:55], v57
	ds_read_b128 v[28:31], v58
	v_cmp_gt_u32_e32 vcc, s8, v67
	v_mov_b32_e32 v27, 0
	v_mov_b32_e32 v26, 0
	;; [unrolled: 1-line block ×24, first 2 shown]
	s_and_saveexec_b64 s[22:23], vcc
	s_cbranch_execz .LBB188_18
; %bb.22:                               ;   in Loop: Header=BB188_20 Depth=2
	ds_read_b128 v[44:47], v57 offset:512
	ds_read_b128 v[32:35], v58 offset:512
	v_cmp_gt_u32_e32 vcc, s8, v66
	v_mov_b32_e32 v27, 0
	v_mov_b32_e32 v26, 0
	;; [unrolled: 1-line block ×16, first 2 shown]
	s_and_saveexec_b64 s[24:25], vcc
	s_cbranch_execz .LBB188_17
; %bb.23:                               ;   in Loop: Header=BB188_20 Depth=2
	ds_read_b128 v[36:39], v57 offset:1024
	ds_read_b128 v[48:51], v58 offset:1024
	v_cmp_gt_u32_e32 vcc, s8, v65
	v_mov_b32_e32 v27, 0
	v_mov_b32_e32 v26, 0
	;; [unrolled: 1-line block ×8, first 2 shown]
	s_and_saveexec_b64 s[26:27], vcc
	s_cbranch_execz .LBB188_16
; %bb.24:                               ;   in Loop: Header=BB188_20 Depth=2
	ds_read_b128 v[40:43], v57 offset:1536
	ds_read_b128 v[24:27], v58 offset:1536
	s_branch .LBB188_16
.LBB188_25:                             ;   in Loop: Header=BB188_14 Depth=1
	; sched_barrier mask(0x00000000)
	s_nop 2
	v_cvt_i32_f32_e32 v1, v1
	v_cvt_i32_f32_e32 v2, v2
	;; [unrolled: 1-line block ×4, first 2 shown]
	v_cvt_f32_i32_dpp v1, v1 row_shl:1 row_mask:0xf bank_mask:0xf bound_ctrl:1
	v_cvt_f32_i32_dpp v2, v2 row_shl:2 row_mask:0xf bank_mask:0xf bound_ctrl:1
	v_cvt_i32_f32_e32 v6, v6
	v_cvt_f32_i32_dpp v3, v3 row_shl:3 row_mask:0xf bank_mask:0xf bound_ctrl:1
	v_add_f32_e32 v0, v0, v1
	v_cvt_i32_f32_e32 v1, v7
	v_add_f32_e32 v0, v0, v2
	v_cvt_f32_i32_dpp v2, v5 row_shl:1 row_mask:0xf bank_mask:0xf bound_ctrl:1
	v_add_f32_e32 v0, v0, v3
	v_cvt_f32_i32_dpp v3, v6 row_shl:2 row_mask:0xf bank_mask:0xf bound_ctrl:1
	v_cvt_f32_i32_dpp v1, v1 row_shl:3 row_mask:0xf bank_mask:0xf bound_ctrl:1
	v_add_f32_e32 v2, v4, v2
	v_cvt_i32_f32_e32 v5, v0
	v_add_f32_e32 v2, v2, v3
	v_add_f32_e32 v1, v2, v1
	v_cvt_i32_f32_e32 v2, v1
	v_cvt_f32_i32_dpp v3, v5 row_shl:4 row_mask:0xf bank_mask:0xf bound_ctrl:1
	v_add_f32_e32 v0, v0, v3
	v_cvt_f32_i32_dpp v2, v2 row_shl:4 row_mask:0xf bank_mask:0xf bound_ctrl:1
	v_cvt_i32_f32_e32 v3, v0
	v_add_f32_e32 v1, v1, v2
	v_cvt_i32_f32_e32 v2, v1
	v_cvt_f32_i32_dpp v3, v3 row_shl:8 row_mask:0xf bank_mask:0xf bound_ctrl:1
	v_add_f32_e32 v0, v0, v3
	v_cvt_f32_i32_dpp v2, v2 row_shl:8 row_mask:0xf bank_mask:0xf bound_ctrl:1
	v_cvt_i32_f32_e32 v0, v0
	v_add_f32_e32 v1, v1, v2
	v_cvt_i32_f32_e32 v1, v1
	v_cvt_f32_i32_dpp v0, v0 row_shr:15 row_mask:0xf bank_mask:0xf bound_ctrl:1
	v_cvt_i32_f32_e32 v2, v0
	v_cvt_f32_i32_dpp v1, v1 row_shr:15 row_mask:0xf bank_mask:0xf bound_ctrl:1
	s_nop 0
	v_cvt_f32_i32_dpp v2, v2 row_bcast:15 row_mask:0xf bank_mask:0xf bound_ctrl:1
	v_cvt_i32_f32_e32 v3, v1
	s_nop 1
	v_cvt_f32_i32_dpp v4, v3 row_bcast:15 row_mask:0xf bank_mask:0xf bound_ctrl:1
	v_add_f32_e32 v3, v0, v2
	v_add_f32_e32 v0, v1, v4
	v_cvt_i32_f32_e32 v1, v3
	v_cvt_i32_f32_e32 v2, v0
	s_nop 0
	v_mov_b32_dpp v4, v1 row_bcast:31 row_mask:0xf bank_mask:0xf bound_ctrl:1
	v_mov_b32_dpp v1, v2 row_bcast:31 row_mask:0xf bank_mask:0xf bound_ctrl:1
	s_and_saveexec_b64 s[20:21], s[0:1]
	s_cbranch_execz .LBB188_13
; %bb.26:                               ;   in Loop: Header=BB188_14 Depth=1
	s_and_b64 vcc, exec, s[4:5]
	v_mov_b32_e32 v2, 0
	v_mov_b32_e32 v5, 0
	s_cbranch_vccnz .LBB188_28
; %bb.27:                               ;   in Loop: Header=BB188_14 Depth=1
	v_mul_hi_u32 v2, v56, v63
	v_mul_lo_u32 v2, v2, s6
	v_sub_u32_e32 v2, v56, v2
	v_subrev_u32_e32 v5, s6, v2
	v_cmp_le_u32_e32 vcc, s6, v2
	s_nop 1
	v_cndmask_b32_e32 v2, v2, v5, vcc
	v_subrev_u32_e32 v5, s6, v2
	v_cmp_le_u32_e32 vcc, s6, v2
	s_nop 1
	v_cndmask_b32_e32 v58, v2, v5, vcc
	v_lshl_add_u64 v[6:7], v[58:59], 1, s[12:13]
	v_add_u32_e32 v58, s7, v58
	v_lshl_add_u64 v[8:9], v[58:59], 1, s[12:13]
	global_load_ushort v5, v[6:7], off
	global_load_ushort v2, v[8:9], off
.LBB188_28:                             ;   in Loop: Header=BB188_14 Depth=1
	v_cvt_f32_i32_e32 v4, v4
	v_add_f32_e32 v3, v3, v4
	s_waitcnt vmcnt(1)
	v_lshlrev_b32_e32 v4, 16, v5
	v_add_f32_e32 v4, v3, v4
	v_and_b32_e32 v3, 0x7f800000, v4
	v_cmp_ne_u32_e32 vcc, s31, v3
                                        ; implicit-def: $vgpr3
	s_and_saveexec_b64 s[22:23], vcc
	s_xor_b64 s[22:23], exec, s[22:23]
; %bb.29:                               ;   in Loop: Header=BB188_14 Depth=1
	v_bfe_u32 v3, v4, 16, 1
	v_add3_u32 v3, v4, v3, s33
                                        ; implicit-def: $vgpr4
; %bb.30:                               ;   in Loop: Header=BB188_14 Depth=1
	s_andn2_saveexec_b64 s[22:23], s[22:23]
; %bb.31:                               ;   in Loop: Header=BB188_14 Depth=1
	v_or_b32_e32 v3, 0x10000, v4
	v_cmp_eq_u32_sdwa vcc, v4, v59 src0_sel:WORD_0 src1_sel:DWORD
	s_nop 1
	v_cndmask_b32_e32 v3, v3, v4, vcc
; %bb.32:                               ;   in Loop: Header=BB188_14 Depth=1
	s_or_b64 exec, exec, s[22:23]
	v_cvt_f32_i32_e32 v1, v1
	v_mov_b32_e32 v57, v59
	v_lshl_add_u64 v[4:5], v[56:57], 1, s[14:15]
	global_store_short_d16_hi v[4:5], v3, off
	v_add_f32_e32 v0, v0, v1
	s_waitcnt vmcnt(1)
	v_lshlrev_b32_e32 v1, 16, v2
	v_add_f32_e32 v1, v0, v1
	v_and_b32_e32 v0, 0x7f800000, v1
	v_cmp_ne_u32_e32 vcc, s31, v0
                                        ; implicit-def: $vgpr0
	s_and_saveexec_b64 s[22:23], vcc
	s_xor_b64 s[22:23], exec, s[22:23]
; %bb.33:                               ;   in Loop: Header=BB188_14 Depth=1
	v_bfe_u32 v0, v1, 16, 1
	v_add3_u32 v0, v1, v0, s33
                                        ; implicit-def: $vgpr1
; %bb.34:                               ;   in Loop: Header=BB188_14 Depth=1
	s_andn2_saveexec_b64 s[22:23], s[22:23]
	s_cbranch_execz .LBB188_12
; %bb.35:                               ;   in Loop: Header=BB188_14 Depth=1
	v_or_b32_e32 v0, 0x10000, v1
	v_cmp_eq_u32_sdwa vcc, v1, v59 src0_sel:WORD_0 src1_sel:DWORD
	s_nop 1
	v_cndmask_b32_e32 v0, v0, v1, vcc
	s_branch .LBB188_12
.LBB188_36:
	s_endpgm
	.section	.rodata,"a",@progbits
	.p2align	6, 0x0
	.amdhsa_kernel _Z16wvSplitK_hf_sml_I14__hip_bfloat16Li32ELi1ELi16ELi8ELi4ELi2EEviiiiiiPKT_S3_S3_PS1_ii
		.amdhsa_group_segment_fixed_size 65536
		.amdhsa_private_segment_fixed_size 0
		.amdhsa_kernarg_size 64
		.amdhsa_user_sgpr_count 2
		.amdhsa_user_sgpr_dispatch_ptr 0
		.amdhsa_user_sgpr_queue_ptr 0
		.amdhsa_user_sgpr_kernarg_segment_ptr 1
		.amdhsa_user_sgpr_dispatch_id 0
		.amdhsa_user_sgpr_kernarg_preload_length 0
		.amdhsa_user_sgpr_kernarg_preload_offset 0
		.amdhsa_user_sgpr_private_segment_size 0
		.amdhsa_uses_dynamic_stack 0
		.amdhsa_enable_private_segment 0
		.amdhsa_system_sgpr_workgroup_id_x 1
		.amdhsa_system_sgpr_workgroup_id_y 0
		.amdhsa_system_sgpr_workgroup_id_z 0
		.amdhsa_system_sgpr_workgroup_info 0
		.amdhsa_system_vgpr_workitem_id 1
		.amdhsa_next_free_vgpr 68
		.amdhsa_next_free_sgpr 35
		.amdhsa_accum_offset 68
		.amdhsa_reserve_vcc 1
		.amdhsa_float_round_mode_32 0
		.amdhsa_float_round_mode_16_64 0
		.amdhsa_float_denorm_mode_32 3
		.amdhsa_float_denorm_mode_16_64 3
		.amdhsa_dx10_clamp 1
		.amdhsa_ieee_mode 1
		.amdhsa_fp16_overflow 0
		.amdhsa_tg_split 0
		.amdhsa_exception_fp_ieee_invalid_op 0
		.amdhsa_exception_fp_denorm_src 0
		.amdhsa_exception_fp_ieee_div_zero 0
		.amdhsa_exception_fp_ieee_overflow 0
		.amdhsa_exception_fp_ieee_underflow 0
		.amdhsa_exception_fp_ieee_inexact 0
		.amdhsa_exception_int_div_zero 0
	.end_amdhsa_kernel
	.section	.text._Z16wvSplitK_hf_sml_I14__hip_bfloat16Li32ELi1ELi16ELi8ELi4ELi2EEviiiiiiPKT_S3_S3_PS1_ii,"axG",@progbits,_Z16wvSplitK_hf_sml_I14__hip_bfloat16Li32ELi1ELi16ELi8ELi4ELi2EEviiiiiiPKT_S3_S3_PS1_ii,comdat
.Lfunc_end188:
	.size	_Z16wvSplitK_hf_sml_I14__hip_bfloat16Li32ELi1ELi16ELi8ELi4ELi2EEviiiiiiPKT_S3_S3_PS1_ii, .Lfunc_end188-_Z16wvSplitK_hf_sml_I14__hip_bfloat16Li32ELi1ELi16ELi8ELi4ELi2EEviiiiiiPKT_S3_S3_PS1_ii
                                        ; -- End function
	.section	.AMDGPU.csdata,"",@progbits
; Kernel info:
; codeLenInByte = 2256
; NumSgprs: 41
; NumVgprs: 68
; NumAgprs: 0
; TotalNumVgprs: 68
; ScratchSize: 0
; MemoryBound: 0
; FloatMode: 240
; IeeeMode: 1
; LDSByteSize: 65536 bytes/workgroup (compile time only)
; SGPRBlocks: 5
; VGPRBlocks: 8
; NumSGPRsForWavesPerEU: 41
; NumVGPRsForWavesPerEU: 68
; AccumOffset: 68
; Occupancy: 2
; WaveLimiterHint : 0
; COMPUTE_PGM_RSRC2:SCRATCH_EN: 0
; COMPUTE_PGM_RSRC2:USER_SGPR: 2
; COMPUTE_PGM_RSRC2:TRAP_HANDLER: 0
; COMPUTE_PGM_RSRC2:TGID_X_EN: 1
; COMPUTE_PGM_RSRC2:TGID_Y_EN: 0
; COMPUTE_PGM_RSRC2:TGID_Z_EN: 0
; COMPUTE_PGM_RSRC2:TIDIG_COMP_CNT: 1
; COMPUTE_PGM_RSRC3_GFX90A:ACCUM_OFFSET: 16
; COMPUTE_PGM_RSRC3_GFX90A:TG_SPLIT: 0
	.section	.text._Z12wvSplitK_hf_I14__hip_bfloat16Li32ELi1ELi16ELi8ELi4ELi2EEviiiiiiPKT_S3_S3_PS1_ii,"axG",@progbits,_Z12wvSplitK_hf_I14__hip_bfloat16Li32ELi1ELi16ELi8ELi4ELi2EEviiiiiiPKT_S3_S3_PS1_ii,comdat
	.protected	_Z12wvSplitK_hf_I14__hip_bfloat16Li32ELi1ELi16ELi8ELi4ELi2EEviiiiiiPKT_S3_S3_PS1_ii ; -- Begin function _Z12wvSplitK_hf_I14__hip_bfloat16Li32ELi1ELi16ELi8ELi4ELi2EEviiiiiiPKT_S3_S3_PS1_ii
	.globl	_Z12wvSplitK_hf_I14__hip_bfloat16Li32ELi1ELi16ELi8ELi4ELi2EEviiiiiiPKT_S3_S3_PS1_ii
	.p2align	8
	.type	_Z12wvSplitK_hf_I14__hip_bfloat16Li32ELi1ELi16ELi8ELi4ELi2EEviiiiiiPKT_S3_S3_PS1_ii,@function
_Z12wvSplitK_hf_I14__hip_bfloat16Li32ELi1ELi16ELi8ELi4ELi2EEviiiiiiPKT_S3_S3_PS1_ii: ; @_Z12wvSplitK_hf_I14__hip_bfloat16Li32ELi1ELi16ELi8ELi4ELi2EEviiiiiiPKT_S3_S3_PS1_ii
; %bb.0:
	s_load_dwordx2 s[4:5], s[0:1], 0x38
	s_load_dwordx2 s[16:17], s[0:1], 0x20
	s_load_dwordx4 s[8:11], s[0:1], 0x0
	s_load_dwordx2 s[18:19], s[0:1], 0x10
	v_bfe_u32 v5, v0, 10, 10
	s_waitcnt lgkmcnt(0)
	s_mul_i32 s2, s2, s4
	v_add_u32_e32 v56, s2, v5
	v_add_u32_e32 v1, 1, v56
	v_cmp_gt_u32_e32 vcc, s11, v56
	v_cmp_le_u32_e64 s[2:3], s11, v1
	s_and_b64 s[6:7], vcc, s[2:3]
	v_mov_b32_e32 v70, 1
	s_and_saveexec_b64 s[2:3], s[6:7]
; %bb.1:
	v_subrev_u32_e32 v1, s11, v56
	v_cmp_eq_u32_e32 vcc, -1, v1
	s_add_i32 s6, s11, -1
	v_mov_b32_e32 v56, s6
	v_cndmask_b32_e64 v70, 0, 1, vcc
; %bb.2:
	s_or_b64 exec, exec, s[2:3]
	v_and_b32_e32 v4, 0x3ff, v0
	v_lshlrev_b32_e32 v71, 3, v4
	s_lshl_b32 s33, s10, 1
	v_lshl_add_u32 v6, v5, 8, v71
	s_min_u32 s6, s33, 0x8000
	v_cmp_gt_u32_e32 vcc, s6, v6
	s_and_saveexec_b64 s[2:3], vcc
	s_cbranch_execz .LBB189_11
; %bb.3:
	v_lshlrev_b32_e32 v0, 1, v6
	global_load_dwordx4 v[8:11], v0, s[16:17]
	v_add_u32_e32 v1, 0x1000, v6
	v_cmp_gt_u32_e32 vcc, s6, v1
	s_waitcnt vmcnt(0)
	ds_write_b128 v0, v[8:11]
	s_and_saveexec_b64 s[12:13], vcc
	s_xor_b64 s[12:13], exec, s[12:13]
	s_cbranch_execz .LBB189_11
; %bb.4:
	v_mov_b32_e32 v1, 0
	v_lshl_add_u64 v[2:3], s[16:17], 0, v[0:1]
	v_add_co_u32_e32 v8, vcc, 0x2000, v2
	v_add_u32_e32 v1, 0x2000, v6
	s_nop 0
	v_addc_co_u32_e32 v9, vcc, 0, v3, vcc
	global_load_dwordx4 v[8:11], v[8:9], off
	v_cmp_gt_u32_e32 vcc, s6, v1
	s_waitcnt vmcnt(0)
	ds_write_b128 v0, v[8:11] offset:8192
	s_and_saveexec_b64 s[12:13], vcc
	s_xor_b64 s[12:13], exec, s[12:13]
	s_cbranch_execz .LBB189_11
; %bb.5:
	v_add_co_u32_e32 v8, vcc, 0x4000, v2
	v_add_u32_e32 v1, 0x3000, v6
	s_nop 0
	v_addc_co_u32_e32 v9, vcc, 0, v3, vcc
	global_load_dwordx4 v[8:11], v[8:9], off
	v_cmp_gt_u32_e32 vcc, s6, v1
	s_waitcnt vmcnt(0)
	ds_write_b128 v0, v[8:11] offset:16384
	s_and_saveexec_b64 s[12:13], vcc
	s_xor_b64 s[12:13], exec, s[12:13]
	s_cbranch_execz .LBB189_11
; %bb.6:
	;; [unrolled: 12-line block ×6, first 2 shown]
	v_add_co_u32_e32 v2, vcc, 0xe000, v2
	s_nop 1
	v_addc_co_u32_e32 v3, vcc, 0, v3, vcc
	global_load_dwordx4 v[6:9], v[2:3], off
	s_waitcnt vmcnt(0)
	ds_write_b128 v0, v[6:9] offset:57344
.LBB189_11:
	s_or_b64 exec, exec, s[2:3]
	v_cmp_gt_u32_e32 vcc, s4, v5
	v_cmp_gt_u32_e64 s[2:3], s11, v56
	s_and_b64 s[2:3], vcc, s[2:3]
	s_waitcnt lgkmcnt(0)
	s_barrier
	s_and_saveexec_b64 s[6:7], s[2:3]
	s_cbranch_execz .LBB189_70
; %bb.12:
	v_cvt_f32_u32_e32 v0, s18
	s_load_dwordx4 s[12:15], s[0:1], 0x28
	s_load_dwordx2 s[20:21], s[0:1], 0x18
	s_cmp_lg_u32 s8, 0
	s_cselect_b64 s[2:3], -1, 0
	v_rcp_iflag_f32_e32 v0, v0
	s_add_i32 s38, s8, -8
	s_add_i32 s39, s11, -1
	s_waitcnt lgkmcnt(0)
	s_cmp_lg_u64 s[12:13], 0
	v_mul_f32_e32 v0, 0x4f7ffffe, v0
	v_cvt_u32_f32_e32 v0, v0
	s_cselect_b64 s[24:25], -1, 0
	s_mul_i32 s40, s5, s4
	s_sub_i32 s4, 0, s18
	s_sub_i32 s41, s40, s11
	v_mul_lo_u32 v1, s4, v0
	s_abs_i32 s4, s19
	s_add_i32 s41, s41, 2
	s_sub_i32 s5, 1, s4
	s_cmp_lt_u32 s4, 2
	s_cselect_b32 s5, s5, 1
	s_sub_i32 s6, s5, s4
	v_mul_hi_u32 v1, v0, v1
	s_cmp_ge_u32 s5, s4
	v_add_u32_e32 v72, v0, v1
	s_cselect_b32 s19, s6, s5
	v_cndmask_b32_e64 v0, 0, 1, s[2:3]
	v_cmp_eq_u32_e64 s[0:1], 31, v4
	s_mov_b64 s[22:23], 0
	v_mov_b32_e32 v59, 0
	s_mul_i32 s19, s19, s18
	v_lshlrev_b32_e32 v73, 4, v4
	v_add_u32_e32 v74, s10, v71
	v_cmp_ne_u32_e64 s[2:3], 1, v0
	s_movk_i32 s10, 0x7fff
	s_mov_b32 s42, 0x7f800000
	s_mov_b32 s26, 0
	s_branch .LBB189_15
.LBB189_13:                             ;   in Loop: Header=BB189_15 Depth=1
	s_or_b64 exec, exec, s[6:7]
	v_add_u32_e32 v58, s11, v56
	v_lshl_add_u64 v[2:3], v[58:59], 1, s[14:15]
	global_store_short_d16_hi v[2:3], v0, off
.LBB189_14:                             ;   in Loop: Header=BB189_15 Depth=1
	s_or_b64 exec, exec, s[4:5]
	v_add_u32_e32 v0, s40, v56
	v_add_u32_e32 v1, 1, v0
	v_cmp_le_u32_e32 vcc, s11, v0
	v_cmp_gt_u32_e64 s[4:5], s11, v1
	v_add_u32_e32 v1, s41, v56
	v_cmp_eq_u32_e64 s[6:7], 1, v1
	v_mov_b32_e32 v1, s39
	s_or_b64 vcc, vcc, s[4:5]
	v_cndmask_b32_e32 v56, v1, v0, vcc
	v_cmp_le_u32_e64 s[4:5], s11, v56
	s_or_b64 vcc, vcc, s[6:7]
	s_or_b64 s[22:23], s[4:5], s[22:23]
	v_cndmask_b32_e32 v70, 0, v70, vcc
	s_andn2_b64 exec, exec, s[22:23]
	s_cbranch_execz .LBB189_70
.LBB189_15:                             ; =>This Loop Header: Depth=1
                                        ;     Child Loop BB189_22 Depth 2
	s_and_b64 vcc, exec, s[2:3]
	v_mov_b32_e32 v3, v59
	s_waitcnt vmcnt(0)
	v_mov_b32_e32 v2, v59
	v_mov_b32_e32 v1, v59
	;; [unrolled: 1-line block ×7, first 2 shown]
	s_cbranch_vccnz .LBB189_58
; %bb.16:                               ;   in Loop: Header=BB189_15 Depth=1
	v_min_u32_e32 v0, s39, v56
	v_mul_lo_u32 v58, v0, s9
	v_mov_b32_e32 v4, 0
	v_lshl_add_u64 v[60:61], v[58:59], 1, s[20:21]
	s_mov_b32 s4, 0
	v_mov_b32_e32 v57, v73
	s_mov_b32 s43, 0
	v_mov_b32_e32 v5, v4
	v_mov_b32_e32 v6, v4
	;; [unrolled: 1-line block ×7, first 2 shown]
	s_branch .LBB189_22
.LBB189_17:                             ;   in Loop: Header=BB189_22 Depth=2
	s_or_b64 exec, exec, s[36:37]
.LBB189_18:                             ;   in Loop: Header=BB189_22 Depth=2
	s_or_b64 exec, exec, s[34:35]
.LBB189_19:                             ;   in Loop: Header=BB189_22 Depth=2
	s_or_b64 exec, exec, s[30:31]
.LBB189_20:                             ;   in Loop: Header=BB189_22 Depth=2
	s_or_b64 exec, exec, s[28:29]
.LBB189_21:                             ;   in Loop: Header=BB189_22 Depth=2
	s_or_b64 exec, exec, s[6:7]
	s_waitcnt vmcnt(0) lgkmcnt(0)
	v_mfma_f32_4x4x4_16b_bf16 v[4:7], v[24:25], v[16:17], v[4:7]
	s_addk_i32 s43, 0x400
	v_mfma_f32_4x4x4_16b_bf16 v[0:3], v[28:29], v[16:17], v[0:3]
	v_add_u32_e32 v57, 0x800, v57
	v_mfma_f32_4x4x4_16b_bf16 v[4:7], v[26:27], v[18:19], v[4:7]
	s_cmp_ge_u32 s43, s8
	v_mfma_f32_4x4x4_16b_bf16 v[0:3], v[30:31], v[18:19], v[0:3]
	v_mfma_f32_4x4x4_16b_bf16 v[4:7], v[32:33], v[12:13], v[4:7]
	s_nop 0
	v_mfma_f32_4x4x4_16b_bf16 v[0:3], v[36:37], v[12:13], v[0:3]
	v_mfma_f32_4x4x4_16b_bf16 v[4:7], v[34:35], v[14:15], v[4:7]
	s_nop 0
	v_mfma_f32_4x4x4_16b_bf16 v[0:3], v[38:39], v[14:15], v[0:3]
	v_mfma_f32_4x4x4_16b_bf16 v[4:7], v[40:41], v[20:21], v[4:7]
	s_nop 0
	v_mfma_f32_4x4x4_16b_bf16 v[0:3], v[44:45], v[20:21], v[0:3]
	v_mfma_f32_4x4x4_16b_bf16 v[4:7], v[42:43], v[22:23], v[4:7]
	s_nop 0
	v_mfma_f32_4x4x4_16b_bf16 v[0:3], v[46:47], v[22:23], v[0:3]
	v_mfma_f32_4x4x4_16b_bf16 v[4:7], v[48:49], v[8:9], v[4:7]
	s_nop 0
	v_mfma_f32_4x4x4_16b_bf16 v[0:3], v[52:53], v[8:9], v[0:3]
	v_mfma_f32_4x4x4_16b_bf16 v[4:7], v[50:51], v[10:11], v[4:7]
	s_nop 0
	v_mfma_f32_4x4x4_16b_bf16 v[0:3], v[54:55], v[10:11], v[0:3]
	s_cbranch_scc1 .LBB189_58
.LBB189_22:                             ;   Parent Loop BB189_15 Depth=1
                                        ; =>  This Inner Loop Header: Depth=2
	v_add_u32_e32 v68, s43, v71
	v_min_u32_e32 v58, s38, v68
	v_add_u32_e32 v66, 0x100, v68
	v_lshl_add_u64 v[8:9], v[58:59], 1, v[60:61]
	v_min_u32_e32 v58, s38, v66
	v_add_u32_e32 v64, 0x200, v68
	v_lshl_add_u64 v[10:11], v[58:59], 1, v[60:61]
	;; [unrolled: 3-line block ×3, first 2 shown]
	v_min_u32_e32 v58, s38, v62
	global_load_dwordx4 v[16:19], v[8:9], off nt
	global_load_dwordx4 v[12:15], v[10:11], off nt
	v_lshl_add_u64 v[26:27], v[58:59], 1, v[60:61]
	global_load_dwordx4 v[20:23], v[24:25], off nt
	global_load_dwordx4 v[8:11], v[26:27], off nt
	s_mov_b32 s5, s4
	v_cmp_gt_u32_e32 vcc, s8, v68
	v_mov_b64_e32 v[24:25], s[4:5]
	v_mov_b32_e32 v55, 0
	v_mov_b32_e32 v54, 0
	;; [unrolled: 1-line block ×4, first 2 shown]
	v_mov_b64_e32 v[26:27], s[4:5]
	v_mov_b64_e32 v[32:33], s[4:5]
	;; [unrolled: 1-line block ×13, first 2 shown]
	s_and_saveexec_b64 s[6:7], vcc
	s_cbranch_execz .LBB189_21
; %bb.23:                               ;   in Loop: Header=BB189_22 Depth=2
	v_cmp_lt_u32_e32 vcc, s10, v68
                                        ; implicit-def: $vgpr24_vgpr25
	s_and_saveexec_b64 s[28:29], vcc
	s_xor_b64 s[28:29], exec, s[28:29]
	s_cbranch_execz .LBB189_25
; %bb.24:                               ;   in Loop: Header=BB189_22 Depth=2
	v_mov_b32_e32 v69, v59
	v_lshl_add_u64 v[24:25], v[68:69], 1, s[16:17]
	global_load_dwordx4 v[24:27], v[24:25], off
.LBB189_25:                             ;   in Loop: Header=BB189_22 Depth=2
	s_andn2_saveexec_b64 s[28:29], s[28:29]
	s_cbranch_execz .LBB189_27
; %bb.26:                               ;   in Loop: Header=BB189_22 Depth=2
	s_waitcnt vmcnt(0)
	ds_read_b128 v[24:27], v57
.LBB189_27:                             ;   in Loop: Header=BB189_22 Depth=2
	s_or_b64 exec, exec, s[28:29]
	v_add_u32_e32 v58, s43, v74
	v_cmp_lt_u32_e32 vcc, s10, v58
                                        ; implicit-def: $vgpr28_vgpr29
	s_and_saveexec_b64 s[28:29], vcc
	s_xor_b64 s[28:29], exec, s[28:29]
	s_cbranch_execz .LBB189_29
; %bb.28:                               ;   in Loop: Header=BB189_22 Depth=2
	v_lshl_add_u64 v[28:29], v[58:59], 1, s[16:17]
	global_load_dwordx4 v[28:31], v[28:29], off
.LBB189_29:                             ;   in Loop: Header=BB189_22 Depth=2
	s_andn2_saveexec_b64 s[28:29], s[28:29]
	s_cbranch_execz .LBB189_31
; %bb.30:                               ;   in Loop: Header=BB189_22 Depth=2
	s_waitcnt vmcnt(0)
	v_add_u32_e32 v28, s33, v57
	ds_read_b128 v[28:31], v28
.LBB189_31:                             ;   in Loop: Header=BB189_22 Depth=2
	s_or_b64 exec, exec, s[28:29]
	s_mov_b32 s27, s26
	v_cmp_gt_u32_e32 vcc, s8, v66
	v_mov_b32_e32 v55, 0
	v_mov_b64_e32 v[32:33], s[26:27]
	v_mov_b32_e32 v54, 0
	v_mov_b32_e32 v53, 0
	;; [unrolled: 1-line block ×3, first 2 shown]
	v_mov_b64_e32 v[34:35], s[26:27]
	v_mov_b64_e32 v[40:41], s[26:27]
	;; [unrolled: 1-line block ×9, first 2 shown]
	s_and_saveexec_b64 s[28:29], vcc
	s_cbranch_execz .LBB189_20
; %bb.32:                               ;   in Loop: Header=BB189_22 Depth=2
	v_cmp_lt_u32_e32 vcc, s10, v66
                                        ; implicit-def: $vgpr32_vgpr33
	s_and_saveexec_b64 s[30:31], vcc
	s_xor_b64 s[30:31], exec, s[30:31]
	s_cbranch_execz .LBB189_34
; %bb.33:                               ;   in Loop: Header=BB189_22 Depth=2
	v_mov_b32_e32 v67, v59
	v_lshl_add_u64 v[32:33], v[66:67], 1, s[16:17]
	global_load_dwordx4 v[32:35], v[32:33], off
.LBB189_34:                             ;   in Loop: Header=BB189_22 Depth=2
	s_andn2_saveexec_b64 s[30:31], s[30:31]
	s_cbranch_execz .LBB189_36
; %bb.35:                               ;   in Loop: Header=BB189_22 Depth=2
	s_waitcnt vmcnt(0)
	ds_read_b128 v[32:35], v57 offset:512
.LBB189_36:                             ;   in Loop: Header=BB189_22 Depth=2
	s_or_b64 exec, exec, s[30:31]
	v_add_u32_e32 v38, 0x100, v58
	v_cmp_lt_u32_e32 vcc, s10, v38
                                        ; implicit-def: $vgpr36_vgpr37
	s_and_saveexec_b64 s[30:31], vcc
	s_xor_b64 s[30:31], exec, s[30:31]
	s_cbranch_execz .LBB189_38
; %bb.37:                               ;   in Loop: Header=BB189_22 Depth=2
	v_mov_b32_e32 v39, v59
	v_lshl_add_u64 v[36:37], v[38:39], 1, s[16:17]
	global_load_dwordx4 v[36:39], v[36:37], off
.LBB189_38:                             ;   in Loop: Header=BB189_22 Depth=2
	s_andn2_saveexec_b64 s[30:31], s[30:31]
	s_cbranch_execz .LBB189_40
; %bb.39:                               ;   in Loop: Header=BB189_22 Depth=2
	s_waitcnt vmcnt(0)
	v_add_u32_e32 v36, s33, v57
	ds_read_b128 v[36:39], v36 offset:512
.LBB189_40:                             ;   in Loop: Header=BB189_22 Depth=2
	s_or_b64 exec, exec, s[30:31]
	s_mov_b32 s27, s26
	v_cmp_gt_u32_e32 vcc, s8, v64
	v_mov_b32_e32 v55, 0
	v_mov_b64_e32 v[40:41], s[26:27]
	v_mov_b32_e32 v54, 0
	v_mov_b32_e32 v53, 0
	;; [unrolled: 1-line block ×3, first 2 shown]
	v_mov_b64_e32 v[42:43], s[26:27]
	v_mov_b64_e32 v[48:49], s[26:27]
	;; [unrolled: 1-line block ×5, first 2 shown]
	s_and_saveexec_b64 s[30:31], vcc
	s_cbranch_execz .LBB189_19
; %bb.41:                               ;   in Loop: Header=BB189_22 Depth=2
	v_cmp_lt_u32_e32 vcc, s10, v64
                                        ; implicit-def: $vgpr40_vgpr41
	s_and_saveexec_b64 s[34:35], vcc
	s_xor_b64 s[34:35], exec, s[34:35]
	s_cbranch_execz .LBB189_43
; %bb.42:                               ;   in Loop: Header=BB189_22 Depth=2
	v_mov_b32_e32 v65, v59
	v_lshl_add_u64 v[40:41], v[64:65], 1, s[16:17]
	global_load_dwordx4 v[40:43], v[40:41], off
.LBB189_43:                             ;   in Loop: Header=BB189_22 Depth=2
	s_andn2_saveexec_b64 s[34:35], s[34:35]
	s_cbranch_execz .LBB189_45
; %bb.44:                               ;   in Loop: Header=BB189_22 Depth=2
	s_waitcnt vmcnt(0)
	ds_read_b128 v[40:43], v57 offset:1024
.LBB189_45:                             ;   in Loop: Header=BB189_22 Depth=2
	s_or_b64 exec, exec, s[34:35]
	v_add_u32_e32 v46, 0x200, v58
	v_cmp_lt_u32_e32 vcc, s10, v46
                                        ; implicit-def: $vgpr44_vgpr45
	s_and_saveexec_b64 s[34:35], vcc
	s_xor_b64 s[34:35], exec, s[34:35]
	s_cbranch_execz .LBB189_47
; %bb.46:                               ;   in Loop: Header=BB189_22 Depth=2
	v_mov_b32_e32 v47, v59
	v_lshl_add_u64 v[44:45], v[46:47], 1, s[16:17]
	global_load_dwordx4 v[44:47], v[44:45], off
.LBB189_47:                             ;   in Loop: Header=BB189_22 Depth=2
	s_andn2_saveexec_b64 s[34:35], s[34:35]
	s_cbranch_execz .LBB189_49
; %bb.48:                               ;   in Loop: Header=BB189_22 Depth=2
	s_waitcnt vmcnt(0)
	v_add_u32_e32 v44, s33, v57
	ds_read_b128 v[44:47], v44 offset:1024
.LBB189_49:                             ;   in Loop: Header=BB189_22 Depth=2
	s_or_b64 exec, exec, s[34:35]
	s_mov_b32 s27, s26
	v_cmp_gt_u32_e32 vcc, s8, v62
	v_mov_b32_e32 v55, 0
	v_mov_b64_e32 v[48:49], s[26:27]
	v_mov_b32_e32 v54, 0
	v_mov_b32_e32 v53, 0
	;; [unrolled: 1-line block ×3, first 2 shown]
	v_mov_b64_e32 v[50:51], s[26:27]
	s_and_saveexec_b64 s[34:35], vcc
	s_cbranch_execz .LBB189_18
; %bb.50:                               ;   in Loop: Header=BB189_22 Depth=2
	v_cmp_lt_u32_e32 vcc, s10, v62
                                        ; implicit-def: $vgpr48_vgpr49
	s_and_saveexec_b64 s[36:37], vcc
	s_xor_b64 s[36:37], exec, s[36:37]
	s_cbranch_execz .LBB189_52
; %bb.51:                               ;   in Loop: Header=BB189_22 Depth=2
	v_mov_b32_e32 v63, v59
	v_lshl_add_u64 v[48:49], v[62:63], 1, s[16:17]
	global_load_dwordx4 v[48:51], v[48:49], off
.LBB189_52:                             ;   in Loop: Header=BB189_22 Depth=2
	s_andn2_saveexec_b64 s[36:37], s[36:37]
	s_cbranch_execz .LBB189_54
; %bb.53:                               ;   in Loop: Header=BB189_22 Depth=2
	s_waitcnt vmcnt(0)
	ds_read_b128 v[48:51], v57 offset:1536
.LBB189_54:                             ;   in Loop: Header=BB189_22 Depth=2
	s_or_b64 exec, exec, s[36:37]
	v_add_u32_e32 v58, 0x300, v58
	v_cmp_lt_u32_e32 vcc, s10, v58
                                        ; implicit-def: $vgpr55
	s_and_saveexec_b64 s[36:37], vcc
	s_xor_b64 s[36:37], exec, s[36:37]
	s_cbranch_execz .LBB189_56
; %bb.55:                               ;   in Loop: Header=BB189_22 Depth=2
	v_lshl_add_u64 v[52:53], v[58:59], 1, s[16:17]
	global_load_dwordx4 v[52:55], v[52:53], off
.LBB189_56:                             ;   in Loop: Header=BB189_22 Depth=2
	s_andn2_saveexec_b64 s[36:37], s[36:37]
	s_cbranch_execz .LBB189_17
; %bb.57:                               ;   in Loop: Header=BB189_22 Depth=2
	s_waitcnt vmcnt(0)
	v_add_u32_e32 v52, s33, v57
	ds_read_b128 v[52:55], v52 offset:1536
	s_branch .LBB189_17
.LBB189_58:                             ;   in Loop: Header=BB189_15 Depth=1
	s_nop 1
	v_cvt_i32_f32_e32 v5, v5
	s_nop 0
	v_cvt_i32_f32_e32 v1, v1
	v_cvt_i32_f32_e32 v6, v6
	v_cvt_i32_f32_e32 v2, v2
	v_cvt_i32_f32_e32 v7, v7
	v_cvt_i32_f32_e32 v3, v3
	v_cvt_f32_i32_dpp v5, v5 row_shl:1 row_mask:0xf bank_mask:0xf bound_ctrl:1
	v_cvt_f32_i32_dpp v1, v1 row_shl:1 row_mask:0xf bank_mask:0xf bound_ctrl:1
	;; [unrolled: 1-line block ×6, first 2 shown]
	v_add_f32_e32 v4, v4, v5
	v_add_f32_e32 v0, v0, v1
	;; [unrolled: 1-line block ×6, first 2 shown]
	v_cvt_i32_f32_e32 v5, v4
	v_cvt_i32_f32_e32 v1, v0
	s_nop 0
	v_cvt_f32_i32_dpp v2, v5 row_shl:4 row_mask:0xf bank_mask:0xf bound_ctrl:1
	v_cvt_f32_i32_dpp v1, v1 row_shl:4 row_mask:0xf bank_mask:0xf bound_ctrl:1
	v_add_f32_e32 v2, v4, v2
	v_add_f32_e32 v0, v0, v1
	v_cvt_i32_f32_e32 v3, v2
	v_cvt_i32_f32_e32 v1, v0
	s_nop 0
	v_cvt_f32_i32_dpp v3, v3 row_shl:8 row_mask:0xf bank_mask:0xf bound_ctrl:1
	v_cvt_f32_i32_dpp v1, v1 row_shl:8 row_mask:0xf bank_mask:0xf bound_ctrl:1
	v_add_f32_e32 v2, v2, v3
	v_add_f32_e32 v0, v0, v1
	v_cvt_i32_f32_e32 v2, v2
	v_cvt_i32_f32_e32 v0, v0
	s_nop 0
	v_cvt_f32_i32_dpp v1, v2 row_shr:15 row_mask:0xf bank_mask:0xf bound_ctrl:1
	v_cvt_f32_i32_dpp v0, v0 row_shr:15 row_mask:0xf bank_mask:0xf bound_ctrl:1
	v_cvt_i32_f32_e32 v2, v1
	v_cvt_i32_f32_e32 v3, v0
	s_nop 0
	v_cvt_f32_i32_dpp v2, v2 row_bcast:15 row_mask:0xf bank_mask:0xf bound_ctrl:1
	v_cvt_f32_i32_dpp v4, v3 row_bcast:15 row_mask:0xf bank_mask:0xf bound_ctrl:1
	v_add_f32_e32 v3, v1, v2
	v_add_f32_e32 v0, v0, v4
	v_cvt_i32_f32_e32 v1, v3
	v_cvt_i32_f32_e32 v2, v0
	s_nop 0
	v_mov_b32_dpp v4, v1 row_bcast:31 row_mask:0xf bank_mask:0xf bound_ctrl:1
	v_mov_b32_dpp v1, v2 row_bcast:31 row_mask:0xf bank_mask:0xf bound_ctrl:1
	s_and_saveexec_b64 s[4:5], s[0:1]
	s_cbranch_execz .LBB189_14
; %bb.59:                               ;   in Loop: Header=BB189_15 Depth=1
	s_andn2_b64 vcc, exec, s[24:25]
	v_mov_b32_e32 v2, 0
	v_mov_b32_e32 v5, 0
	s_cbranch_vccnz .LBB189_61
; %bb.60:                               ;   in Loop: Header=BB189_15 Depth=1
	v_mul_hi_u32 v2, v56, v72
	v_mul_lo_u32 v2, v2, s18
	v_sub_u32_e32 v2, v56, v2
	v_subrev_u32_e32 v5, s18, v2
	v_cmp_le_u32_e32 vcc, s18, v2
	s_nop 1
	v_cndmask_b32_e32 v2, v2, v5, vcc
	v_subrev_u32_e32 v5, s18, v2
	v_cmp_le_u32_e32 vcc, s18, v2
	s_nop 1
	v_cndmask_b32_e32 v58, v2, v5, vcc
	v_lshl_add_u64 v[6:7], v[58:59], 1, s[12:13]
	v_add_u32_e32 v58, s19, v58
	v_lshl_add_u64 v[8:9], v[58:59], 1, s[12:13]
	global_load_ushort v5, v[6:7], off
	global_load_ushort v2, v[8:9], off
.LBB189_61:                             ;   in Loop: Header=BB189_15 Depth=1
	v_cmp_ne_u32_e32 vcc, 0, v70
	s_and_b64 exec, exec, vcc
	s_cbranch_execz .LBB189_14
; %bb.62:                               ;   in Loop: Header=BB189_15 Depth=1
	v_cvt_f32_i32_e32 v4, v4
	v_add_f32_e32 v3, v3, v4
	s_waitcnt vmcnt(1)
	v_lshlrev_b32_e32 v4, 16, v5
	v_add_f32_e32 v4, v3, v4
	v_and_b32_e32 v3, 0x7f800000, v4
	v_cmp_ne_u32_e32 vcc, s42, v3
                                        ; implicit-def: $vgpr3
	s_and_saveexec_b64 s[6:7], vcc
	s_xor_b64 s[6:7], exec, s[6:7]
; %bb.63:                               ;   in Loop: Header=BB189_15 Depth=1
	v_bfe_u32 v3, v4, 16, 1
	v_add3_u32 v3, v4, v3, s10
                                        ; implicit-def: $vgpr4
; %bb.64:                               ;   in Loop: Header=BB189_15 Depth=1
	s_andn2_saveexec_b64 s[6:7], s[6:7]
; %bb.65:                               ;   in Loop: Header=BB189_15 Depth=1
	v_or_b32_e32 v3, 0x10000, v4
	v_cmp_eq_u32_sdwa vcc, v4, v59 src0_sel:WORD_0 src1_sel:DWORD
	s_nop 1
	v_cndmask_b32_e32 v3, v3, v4, vcc
; %bb.66:                               ;   in Loop: Header=BB189_15 Depth=1
	s_or_b64 exec, exec, s[6:7]
	v_cvt_f32_i32_e32 v1, v1
	v_mov_b32_e32 v57, v59
	v_lshl_add_u64 v[4:5], v[56:57], 1, s[14:15]
	global_store_short_d16_hi v[4:5], v3, off
	v_add_f32_e32 v0, v0, v1
	s_waitcnt vmcnt(1)
	v_lshlrev_b32_e32 v1, 16, v2
	v_add_f32_e32 v1, v0, v1
	v_and_b32_e32 v0, 0x7f800000, v1
	v_cmp_ne_u32_e32 vcc, s42, v0
                                        ; implicit-def: $vgpr0
	s_and_saveexec_b64 s[6:7], vcc
	s_xor_b64 s[6:7], exec, s[6:7]
; %bb.67:                               ;   in Loop: Header=BB189_15 Depth=1
	v_bfe_u32 v0, v1, 16, 1
	v_add3_u32 v0, v1, v0, s10
                                        ; implicit-def: $vgpr1
; %bb.68:                               ;   in Loop: Header=BB189_15 Depth=1
	s_andn2_saveexec_b64 s[6:7], s[6:7]
	s_cbranch_execz .LBB189_13
; %bb.69:                               ;   in Loop: Header=BB189_15 Depth=1
	v_or_b32_e32 v0, 0x10000, v1
	v_cmp_eq_u32_sdwa vcc, v1, v59 src0_sel:WORD_0 src1_sel:DWORD
	s_nop 1
	v_cndmask_b32_e32 v0, v0, v1, vcc
	s_branch .LBB189_13
.LBB189_70:
	s_endpgm
	.section	.rodata,"a",@progbits
	.p2align	6, 0x0
	.amdhsa_kernel _Z12wvSplitK_hf_I14__hip_bfloat16Li32ELi1ELi16ELi8ELi4ELi2EEviiiiiiPKT_S3_S3_PS1_ii
		.amdhsa_group_segment_fixed_size 65536
		.amdhsa_private_segment_fixed_size 0
		.amdhsa_kernarg_size 64
		.amdhsa_user_sgpr_count 2
		.amdhsa_user_sgpr_dispatch_ptr 0
		.amdhsa_user_sgpr_queue_ptr 0
		.amdhsa_user_sgpr_kernarg_segment_ptr 1
		.amdhsa_user_sgpr_dispatch_id 0
		.amdhsa_user_sgpr_kernarg_preload_length 0
		.amdhsa_user_sgpr_kernarg_preload_offset 0
		.amdhsa_user_sgpr_private_segment_size 0
		.amdhsa_uses_dynamic_stack 0
		.amdhsa_enable_private_segment 0
		.amdhsa_system_sgpr_workgroup_id_x 1
		.amdhsa_system_sgpr_workgroup_id_y 0
		.amdhsa_system_sgpr_workgroup_id_z 0
		.amdhsa_system_sgpr_workgroup_info 0
		.amdhsa_system_vgpr_workitem_id 1
		.amdhsa_next_free_vgpr 75
		.amdhsa_next_free_sgpr 44
		.amdhsa_accum_offset 76
		.amdhsa_reserve_vcc 1
		.amdhsa_float_round_mode_32 0
		.amdhsa_float_round_mode_16_64 0
		.amdhsa_float_denorm_mode_32 3
		.amdhsa_float_denorm_mode_16_64 3
		.amdhsa_dx10_clamp 1
		.amdhsa_ieee_mode 1
		.amdhsa_fp16_overflow 0
		.amdhsa_tg_split 0
		.amdhsa_exception_fp_ieee_invalid_op 0
		.amdhsa_exception_fp_denorm_src 0
		.amdhsa_exception_fp_ieee_div_zero 0
		.amdhsa_exception_fp_ieee_overflow 0
		.amdhsa_exception_fp_ieee_underflow 0
		.amdhsa_exception_fp_ieee_inexact 0
		.amdhsa_exception_int_div_zero 0
	.end_amdhsa_kernel
	.section	.text._Z12wvSplitK_hf_I14__hip_bfloat16Li32ELi1ELi16ELi8ELi4ELi2EEviiiiiiPKT_S3_S3_PS1_ii,"axG",@progbits,_Z12wvSplitK_hf_I14__hip_bfloat16Li32ELi1ELi16ELi8ELi4ELi2EEviiiiiiPKT_S3_S3_PS1_ii,comdat
.Lfunc_end189:
	.size	_Z12wvSplitK_hf_I14__hip_bfloat16Li32ELi1ELi16ELi8ELi4ELi2EEviiiiiiPKT_S3_S3_PS1_ii, .Lfunc_end189-_Z12wvSplitK_hf_I14__hip_bfloat16Li32ELi1ELi16ELi8ELi4ELi2EEviiiiiiPKT_S3_S3_PS1_ii
                                        ; -- End function
	.section	.AMDGPU.csdata,"",@progbits
; Kernel info:
; codeLenInByte = 2720
; NumSgprs: 50
; NumVgprs: 75
; NumAgprs: 0
; TotalNumVgprs: 75
; ScratchSize: 0
; MemoryBound: 1
; FloatMode: 240
; IeeeMode: 1
; LDSByteSize: 65536 bytes/workgroup (compile time only)
; SGPRBlocks: 6
; VGPRBlocks: 9
; NumSGPRsForWavesPerEU: 50
; NumVGPRsForWavesPerEU: 75
; AccumOffset: 76
; Occupancy: 2
; WaveLimiterHint : 0
; COMPUTE_PGM_RSRC2:SCRATCH_EN: 0
; COMPUTE_PGM_RSRC2:USER_SGPR: 2
; COMPUTE_PGM_RSRC2:TRAP_HANDLER: 0
; COMPUTE_PGM_RSRC2:TGID_X_EN: 1
; COMPUTE_PGM_RSRC2:TGID_Y_EN: 0
; COMPUTE_PGM_RSRC2:TGID_Z_EN: 0
; COMPUTE_PGM_RSRC2:TIDIG_COMP_CNT: 1
; COMPUTE_PGM_RSRC3_GFX90A:ACCUM_OFFSET: 18
; COMPUTE_PGM_RSRC3_GFX90A:TG_SPLIT: 0
	.section	.text._Z16wvSplitK_hf_big_I14__hip_bfloat16Li32ELi1ELi16ELi8ELi4ELi2EEviiiiiiPKT_S3_S3_PS1_ii,"axG",@progbits,_Z16wvSplitK_hf_big_I14__hip_bfloat16Li32ELi1ELi16ELi8ELi4ELi2EEviiiiiiPKT_S3_S3_PS1_ii,comdat
	.protected	_Z16wvSplitK_hf_big_I14__hip_bfloat16Li32ELi1ELi16ELi8ELi4ELi2EEviiiiiiPKT_S3_S3_PS1_ii ; -- Begin function _Z16wvSplitK_hf_big_I14__hip_bfloat16Li32ELi1ELi16ELi8ELi4ELi2EEviiiiiiPKT_S3_S3_PS1_ii
	.globl	_Z16wvSplitK_hf_big_I14__hip_bfloat16Li32ELi1ELi16ELi8ELi4ELi2EEviiiiiiPKT_S3_S3_PS1_ii
	.p2align	8
	.type	_Z16wvSplitK_hf_big_I14__hip_bfloat16Li32ELi1ELi16ELi8ELi4ELi2EEviiiiiiPKT_S3_S3_PS1_ii,@function
_Z16wvSplitK_hf_big_I14__hip_bfloat16Li32ELi1ELi16ELi8ELi4ELi2EEviiiiiiPKT_S3_S3_PS1_ii: ; @_Z16wvSplitK_hf_big_I14__hip_bfloat16Li32ELi1ELi16ELi8ELi4ELi2EEviiiiiiPKT_S3_S3_PS1_ii
; %bb.0:
	s_load_dwordx2 s[4:5], s[0:1], 0x38
	v_bfe_u32 v1, v0, 10, 10
	s_waitcnt lgkmcnt(0)
	v_cmp_gt_u32_e32 vcc, s4, v1
	s_and_saveexec_b64 s[6:7], vcc
	s_cbranch_execz .LBB190_46
; %bb.1:
	s_load_dwordx4 s[20:23], s[0:1], 0x0
	s_mul_i32 s2, s2, s4
	v_add_u32_e32 v56, s2, v1
	v_add_u32_e32 v2, 1, v56
	v_mov_b32_e32 v62, 1
	s_waitcnt lgkmcnt(0)
	v_cmp_gt_u32_e32 vcc, s23, v56
	v_cmp_le_u32_e64 s[2:3], s23, v2
	s_and_b64 s[6:7], vcc, s[2:3]
	s_and_saveexec_b64 s[2:3], s[6:7]
; %bb.2:
	v_subrev_u32_e32 v2, s23, v56
	v_cmp_eq_u32_e32 vcc, -1, v2
	s_add_i32 s6, s23, -1
	v_mov_b32_e32 v56, s6
	v_cndmask_b32_e64 v62, 0, 1, vcc
; %bb.3:
	s_or_b64 exec, exec, s[2:3]
	s_abs_i32 s2, s4
	v_cvt_f32_u32_e32 v2, s2
	s_sub_i32 s7, 0, s2
	s_abs_i32 s6, s23
	s_ashr_i32 s3, s23, 31
	v_rcp_iflag_f32_e32 v2, v2
	s_nop 0
	v_mul_f32_e32 v2, 0x4f7ffffe, v2
	v_cvt_u32_f32_e32 v2, v2
	s_nop 0
	v_readfirstlane_b32 s8, v2
	s_mul_i32 s7, s7, s8
	s_mul_hi_u32 s7, s8, s7
	s_add_i32 s8, s8, s7
	s_mul_hi_u32 s7, s6, s8
	s_mul_i32 s7, s7, s2
	s_sub_i32 s6, s6, s7
	s_sub_i32 s7, s6, s2
	s_cmp_ge_u32 s6, s2
	s_cselect_b32 s6, s7, s6
	s_sub_i32 s7, s6, s2
	s_cmp_ge_u32 s6, s2
	s_cselect_b32 s2, s7, s6
	s_xor_b32 s2, s2, s3
	s_sub_i32 s2, s2, s3
	s_add_i32 s3, s4, s23
	s_sub_i32 s3, s3, s2
	s_cmp_eq_u32 s2, 0
	s_cselect_b32 s33, s23, s3
	v_cmp_gt_u32_e32 vcc, s33, v56
	s_and_b64 exec, exec, vcc
	s_cbranch_execz .LBB190_46
; %bb.4:
	s_load_dwordx8 s[12:19], s[0:1], 0x10
	s_min_u32 s38, s22, 0x4000
	s_cmp_lg_u32 s20, 0
	s_cselect_b64 s[2:3], -1, 0
	s_cmp_lg_u32 s22, 0
	s_waitcnt lgkmcnt(0)
	v_cvt_f32_u32_e32 v2, s12
	s_cselect_b64 s[6:7], -1, 0
	s_lshl_b32 s39, s4, 8
	s_add_i32 s40, s20, -8
	v_rcp_iflag_f32_e32 v2, v2
	s_add_i32 s41, s23, -1
	s_cmp_lg_u64 s[18:19], 0
	s_mul_i32 s42, s5, s4
	v_mul_f32_e32 v2, 0x4f7ffffe, v2
	v_cvt_u32_f32_e32 v2, v2
	s_cselect_b64 s[8:9], -1, 0
	s_sub_i32 s5, 0, s12
	s_sub_i32 s43, s42, s23
	v_mul_lo_u32 v3, s5, v2
	s_abs_i32 s5, s13
	s_add_i32 s43, s43, 2
	s_sub_i32 s10, 1, s5
	v_and_b32_e32 v0, 0x3ff, v0
	s_cmp_lt_u32 s5, 2
	s_load_dwordx2 s[24:25], s[0:1], 0x30
	v_lshlrev_b32_e32 v63, 3, v0
	v_cmp_eq_u32_e64 s[0:1], 31, v0
	s_cselect_b32 s10, s10, 1
	v_lshlrev_b32_e32 v0, 4, v0
	s_sub_i32 s11, s10, s5
	v_lshl_add_u32 v65, v1, 9, v0
	v_cndmask_b32_e64 v0, 0, 1, s[2:3]
	s_cmp_ge_u32 s10, s5
	v_cmp_ne_u32_e64 s[2:3], 1, v0
	v_cndmask_b32_e64 v0, 0, 1, s[6:7]
	v_mul_hi_u32 v3, v2, v3
	s_cselect_b32 s13, s11, s10
	s_lshl_b32 s45, s4, 9
	v_lshl_add_u32 v66, v1, 8, v63
	v_cmp_ne_u32_e64 s[4:5], 1, v0
	v_cndmask_b32_e64 v0, 0, 1, s[8:9]
	s_mov_b64 s[26:27], 0
	v_add_u32_e32 v64, v2, v3
	v_mov_b32_e32 v59, 0
	s_mul_i32 s13, s13, s12
	s_lshl_b32 s44, s38, 1
	v_add_u32_e32 v67, s22, v66
	s_mov_b32 s46, 0x7f800000
	s_movk_i32 s47, 0x7fff
	v_cmp_ne_u32_e64 s[6:7], 1, v0
	s_branch .LBB190_7
.LBB190_5:                              ;   in Loop: Header=BB190_7 Depth=1
	s_or_b64 exec, exec, s[8:9]
.LBB190_6:                              ;   in Loop: Header=BB190_7 Depth=1
	s_or_b64 exec, exec, s[10:11]
	v_cmp_le_u32_e32 vcc, s33, v8
	s_or_b64 s[26:27], vcc, s[26:27]
	v_mov_b32_e32 v56, v8
	s_andn2_b64 exec, exec, s[26:27]
	s_cbranch_execz .LBB190_46
.LBB190_7:                              ; =>This Loop Header: Depth=1
                                        ;     Child Loop BB190_14 Depth 2
                                        ;       Child Loop BB190_19 Depth 3
	s_and_b64 vcc, exec, s[2:3]
	v_mov_b32_e32 v3, v59
	s_waitcnt vmcnt(0)
	v_mov_b32_e32 v2, v59
	v_mov_b32_e32 v1, v59
	;; [unrolled: 1-line block ×7, first 2 shown]
	s_cbranch_vccnz .LBB190_28
; %bb.8:                                ;   in Loop: Header=BB190_7 Depth=1
	v_min_u32_e32 v0, s41, v56
	v_mul_lo_u32 v58, v0, s21
	v_mov_b32_e32 v4, 0
	v_cmp_gt_u32_e64 s[8:9], s23, v56
	v_lshl_add_u64 v[60:61], v[58:59], 1, s[14:15]
	s_mov_b32 s48, 0
	s_mov_b32 s49, 0
	v_mov_b32_e32 v5, v4
	v_mov_b32_e32 v6, v4
	;; [unrolled: 1-line block ×7, first 2 shown]
	s_branch .LBB190_14
.LBB190_9:                              ;   in Loop: Header=BB190_14 Depth=2
	s_or_b64 exec, exec, s[36:37]
.LBB190_10:                             ;   in Loop: Header=BB190_14 Depth=2
	s_or_b64 exec, exec, s[34:35]
.LBB190_11:                             ;   in Loop: Header=BB190_14 Depth=2
	s_or_b64 exec, exec, s[30:31]
.LBB190_12:                             ;   in Loop: Header=BB190_14 Depth=2
	s_or_b64 exec, exec, s[28:29]
	s_waitcnt vmcnt(3) lgkmcnt(0)
	v_mfma_f32_4x4x4_16b_bf16 v[4:7], v[52:53], v[20:21], v[4:7]
	v_mfma_f32_4x4x4_16b_bf16 v[0:3], v[24:25], v[20:21], v[0:3]
	s_nop 0
	v_mfma_f32_4x4x4_16b_bf16 v[4:7], v[54:55], v[22:23], v[4:7]
	v_mfma_f32_4x4x4_16b_bf16 v[0:3], v[26:27], v[22:23], v[0:3]
	s_waitcnt vmcnt(2)
	v_mfma_f32_4x4x4_16b_bf16 v[4:7], v[48:49], v[12:13], v[4:7]
	v_mfma_f32_4x4x4_16b_bf16 v[0:3], v[32:33], v[12:13], v[0:3]
	s_nop 0
	v_mfma_f32_4x4x4_16b_bf16 v[4:7], v[50:51], v[14:15], v[4:7]
	v_mfma_f32_4x4x4_16b_bf16 v[0:3], v[34:35], v[14:15], v[0:3]
	s_waitcnt vmcnt(1)
	;; [unrolled: 6-line block ×3, first 2 shown]
	v_mfma_f32_4x4x4_16b_bf16 v[4:7], v[40:41], v[8:9], v[4:7]
	v_mfma_f32_4x4x4_16b_bf16 v[0:3], v[28:29], v[8:9], v[0:3]
	s_nop 0
	v_mfma_f32_4x4x4_16b_bf16 v[4:7], v[42:43], v[10:11], v[4:7]
	v_mfma_f32_4x4x4_16b_bf16 v[0:3], v[30:31], v[10:11], v[0:3]
.LBB190_13:                             ;   in Loop: Header=BB190_14 Depth=2
	s_or_b64 exec, exec, s[10:11]
	s_addk_i32 s49, 0x400
	s_cmp_ge_u32 s49, s20
	s_cbranch_scc1 .LBB190_28
.LBB190_14:                             ;   Parent Loop BB190_7 Depth=1
                                        ; =>  This Loop Header: Depth=2
                                        ;       Child Loop BB190_19 Depth 3
	s_cmp_eq_u32 s49, 0
	s_cselect_b64 s[10:11], -1, 0
	s_add_i32 s28, s48, s38
	s_cmp_eq_u32 s49, s28
	s_cselect_b64 s[30:31], -1, 0
	s_or_b64 s[30:31], s[10:11], s[30:31]
	s_andn2_b64 vcc, exec, s[30:31]
	s_cbranch_vccz .LBB190_16
; %bb.15:                               ;   in Loop: Header=BB190_14 Depth=2
	s_and_saveexec_b64 s[10:11], s[8:9]
	s_cbranch_execz .LBB190_13
	s_branch .LBB190_23
.LBB190_16:                             ;   in Loop: Header=BB190_14 Depth=2
	s_and_b64 s[10:11], s[10:11], exec
	s_cselect_b32 s48, s48, s28
	s_and_b64 vcc, exec, s[4:5]
	s_waitcnt lgkmcnt(0)
	s_barrier
	s_cbranch_vccnz .LBB190_22
; %bb.17:                               ;   in Loop: Header=BB190_14 Depth=2
	v_add_u32_e32 v8, s48, v67
	v_add_u32_e32 v9, s48, v66
	s_mov_b32 s34, 0
	s_mov_b64 s[28:29], 0
	v_mov_b32_e32 v10, v65
                                        ; implicit-def: $sgpr30_sgpr31
	s_branch .LBB190_19
.LBB190_18:                             ;   in Loop: Header=BB190_19 Depth=3
	s_or_b64 exec, exec, s[10:11]
	s_and_b64 s[10:11], exec, s[30:31]
	s_or_b64 s[28:29], s[10:11], s[28:29]
	s_andn2_b64 exec, exec, s[28:29]
	s_cbranch_execz .LBB190_21
.LBB190_19:                             ;   Parent Loop BB190_7 Depth=1
                                        ;     Parent Loop BB190_14 Depth=2
                                        ; =>    This Inner Loop Header: Depth=3
	v_add_u32_e32 v11, s34, v66
	v_add_u32_e32 v58, s34, v9
	v_cmp_gt_u32_e32 vcc, s22, v58
	v_cmp_gt_u32_e64 s[10:11], s38, v11
	s_and_b64 s[36:37], s[10:11], vcc
	s_or_b64 s[30:31], s[30:31], exec
	s_and_saveexec_b64 s[10:11], s[36:37]
	s_cbranch_execz .LBB190_18
; %bb.20:                               ;   in Loop: Header=BB190_19 Depth=3
	v_lshl_add_u64 v[12:13], v[58:59], 1, s[16:17]
	v_add_u32_e32 v58, s34, v8
	global_load_dwordx4 v[12:15], v[12:13], off
	v_lshl_add_u64 v[16:17], v[58:59], 1, s[16:17]
	global_load_dwordx4 v[16:19], v[16:17], off
	s_add_i32 s34, s34, s39
	s_cmp_ge_u32 s34, s38
	s_cselect_b64 s[36:37], -1, 0
	s_andn2_b64 s[30:31], s[30:31], exec
	s_and_b64 s[36:37], s[36:37], exec
	v_add_u32_e32 v11, s44, v10
	s_or_b64 s[30:31], s[30:31], s[36:37]
	s_waitcnt vmcnt(1)
	ds_write_b128 v10, v[12:15]
	v_add_u32_e32 v10, s45, v10
	s_waitcnt vmcnt(0)
	ds_write2_b64 v11, v[16:17], v[18:19] offset1:1
	s_branch .LBB190_18
.LBB190_21:                             ;   in Loop: Header=BB190_14 Depth=2
	s_or_b64 exec, exec, s[28:29]
.LBB190_22:                             ;   in Loop: Header=BB190_14 Depth=2
	s_waitcnt lgkmcnt(0)
	s_barrier
	s_and_saveexec_b64 s[10:11], s[8:9]
	s_cbranch_execz .LBB190_13
.LBB190_23:                             ;   in Loop: Header=BB190_14 Depth=2
	v_add_u32_e32 v69, s49, v63
	v_min_u32_e32 v58, s40, v69
	v_add_u32_e32 v70, 0x100, v69
	v_lshl_add_u64 v[8:9], v[58:59], 1, v[60:61]
	v_min_u32_e32 v58, s40, v70
	v_add_u32_e32 v68, 0x200, v69
	v_lshl_add_u64 v[10:11], v[58:59], 1, v[60:61]
	;; [unrolled: 3-line block ×3, first 2 shown]
	v_min_u32_e32 v58, s40, v57
	global_load_dwordx4 v[20:23], v[8:9], off nt
	global_load_dwordx4 v[12:15], v[10:11], off nt
	v_lshl_add_u64 v[26:27], v[58:59], 1, v[60:61]
	global_load_dwordx4 v[16:19], v[24:25], off nt
	global_load_dwordx4 v[8:11], v[26:27], off nt
	v_cmp_gt_u32_e32 vcc, s20, v69
	v_mov_b32_e32 v46, 0
	v_mov_b32_e32 v47, 0
	;; [unrolled: 1-line block ×32, first 2 shown]
	s_and_saveexec_b64 s[28:29], vcc
	s_cbranch_execz .LBB190_12
; %bb.24:                               ;   in Loop: Header=BB190_14 Depth=2
	v_subrev_u32_e32 v24, s48, v69
	v_lshlrev_b32_e32 v69, 1, v24
	v_lshl_add_u32 v58, s38, 1, v69
	ds_read_b128 v[52:55], v69
	ds_read_b128 v[24:27], v58
	v_cmp_gt_u32_e32 vcc, s20, v70
	v_mov_b32_e32 v31, 0
	v_mov_b32_e32 v30, 0
	v_mov_b32_e32 v29, 0
	v_mov_b32_e32 v28, 0
	v_mov_b32_e32 v49, 0
	v_mov_b32_e32 v48, 0
	v_mov_b32_e32 v51, 0
	v_mov_b32_e32 v50, 0
	v_mov_b32_e32 v37, 0
	v_mov_b32_e32 v36, 0
	v_mov_b32_e32 v39, 0
	v_mov_b32_e32 v38, 0
	v_mov_b32_e32 v41, 0
	v_mov_b32_e32 v40, 0
	v_mov_b32_e32 v43, 0
	v_mov_b32_e32 v42, 0
	v_mov_b32_e32 v33, 0
	v_mov_b32_e32 v32, 0
	v_mov_b32_e32 v35, 0
	v_mov_b32_e32 v34, 0
	v_mov_b32_e32 v45, 0
	v_mov_b32_e32 v44, 0
	v_mov_b32_e32 v47, 0
	v_mov_b32_e32 v46, 0
	s_and_saveexec_b64 s[30:31], vcc
	s_cbranch_execz .LBB190_11
; %bb.25:                               ;   in Loop: Header=BB190_14 Depth=2
	ds_read_b128 v[48:51], v69 offset:512
	ds_read_b128 v[32:35], v58 offset:512
	v_cmp_gt_u32_e32 vcc, s20, v68
	v_mov_b32_e32 v31, 0
	v_mov_b32_e32 v30, 0
	;; [unrolled: 1-line block ×16, first 2 shown]
	s_and_saveexec_b64 s[34:35], vcc
	s_cbranch_execz .LBB190_10
; %bb.26:                               ;   in Loop: Header=BB190_14 Depth=2
	ds_read_b128 v[36:39], v69 offset:1024
	ds_read_b128 v[44:47], v58 offset:1024
	v_cmp_gt_u32_e32 vcc, s20, v57
	v_mov_b32_e32 v31, 0
	v_mov_b32_e32 v30, 0
	v_mov_b32_e32 v29, 0
	v_mov_b32_e32 v28, 0
	v_mov_b32_e32 v41, 0
	v_mov_b32_e32 v40, 0
	v_mov_b32_e32 v43, 0
	v_mov_b32_e32 v42, 0
	s_and_saveexec_b64 s[36:37], vcc
	s_cbranch_execz .LBB190_9
; %bb.27:                               ;   in Loop: Header=BB190_14 Depth=2
	ds_read_b128 v[40:43], v69 offset:1536
	ds_read_b128 v[28:31], v58 offset:1536
	s_branch .LBB190_9
.LBB190_28:                             ;   in Loop: Header=BB190_7 Depth=1
	v_cmp_le_u32_e32 vcc, s23, v56
                                        ; implicit-def: $vgpr8
	s_and_saveexec_b64 s[8:9], vcc
	s_xor_b64 s[8:9], exec, s[8:9]
; %bb.29:                               ;   in Loop: Header=BB190_7 Depth=1
	v_add_u32_e32 v8, s42, v56
                                        ; implicit-def: $vgpr56
                                        ; implicit-def: $vgpr3
                                        ; implicit-def: $vgpr7
; %bb.30:                               ;   in Loop: Header=BB190_7 Depth=1
	s_andn2_saveexec_b64 s[10:11], s[8:9]
	s_cbranch_execz .LBB190_6
; %bb.31:                               ;   in Loop: Header=BB190_7 Depth=1
	v_cvt_i32_f32_e32 v5, v5
	v_cvt_i32_f32_e32 v1, v1
	;; [unrolled: 1-line block ×6, first 2 shown]
	v_cvt_f32_i32_dpp v5, v5 row_shl:1 row_mask:0xf bank_mask:0xf bound_ctrl:1
	v_cvt_f32_i32_dpp v1, v1 row_shl:1 row_mask:0xf bank_mask:0xf bound_ctrl:1
	;; [unrolled: 1-line block ×6, first 2 shown]
	v_add_f32_e32 v4, v4, v5
	v_add_f32_e32 v0, v0, v1
	;; [unrolled: 1-line block ×6, first 2 shown]
	v_cvt_i32_f32_e32 v5, v4
	v_cvt_i32_f32_e32 v1, v0
	s_nop 0
	v_cvt_f32_i32_dpp v2, v5 row_shl:4 row_mask:0xf bank_mask:0xf bound_ctrl:1
	v_cvt_f32_i32_dpp v1, v1 row_shl:4 row_mask:0xf bank_mask:0xf bound_ctrl:1
	v_add_f32_e32 v2, v4, v2
	v_add_f32_e32 v0, v0, v1
	v_cvt_i32_f32_e32 v3, v2
	v_cvt_i32_f32_e32 v1, v0
	s_nop 0
	v_cvt_f32_i32_dpp v3, v3 row_shl:8 row_mask:0xf bank_mask:0xf bound_ctrl:1
	v_cvt_f32_i32_dpp v1, v1 row_shl:8 row_mask:0xf bank_mask:0xf bound_ctrl:1
	v_add_f32_e32 v2, v2, v3
	v_add_f32_e32 v0, v0, v1
	v_cvt_i32_f32_e32 v2, v2
	v_cvt_i32_f32_e32 v0, v0
	s_nop 0
	v_cvt_f32_i32_dpp v1, v2 row_shr:15 row_mask:0xf bank_mask:0xf bound_ctrl:1
	v_cvt_f32_i32_dpp v0, v0 row_shr:15 row_mask:0xf bank_mask:0xf bound_ctrl:1
	v_cvt_i32_f32_e32 v2, v1
	v_cvt_i32_f32_e32 v3, v0
	s_nop 0
	v_cvt_f32_i32_dpp v2, v2 row_bcast:15 row_mask:0xf bank_mask:0xf bound_ctrl:1
	v_cvt_f32_i32_dpp v4, v3 row_bcast:15 row_mask:0xf bank_mask:0xf bound_ctrl:1
	v_add_f32_e32 v3, v1, v2
	v_add_f32_e32 v0, v0, v4
	v_cvt_i32_f32_e32 v1, v3
	v_cvt_i32_f32_e32 v2, v0
	s_nop 0
	v_mov_b32_dpp v4, v1 row_bcast:31 row_mask:0xf bank_mask:0xf bound_ctrl:1
	v_mov_b32_dpp v1, v2 row_bcast:31 row_mask:0xf bank_mask:0xf bound_ctrl:1
	s_and_saveexec_b64 s[8:9], s[0:1]
	s_cbranch_execz .LBB190_44
; %bb.32:                               ;   in Loop: Header=BB190_7 Depth=1
	s_and_b64 vcc, exec, s[6:7]
	v_mov_b32_e32 v2, 0
	v_mov_b32_e32 v5, 0
	s_cbranch_vccnz .LBB190_34
; %bb.33:                               ;   in Loop: Header=BB190_7 Depth=1
	v_mul_hi_u32 v2, v56, v64
	v_mul_lo_u32 v2, v2, s12
	v_sub_u32_e32 v2, v56, v2
	v_subrev_u32_e32 v5, s12, v2
	v_cmp_le_u32_e32 vcc, s12, v2
	s_nop 1
	v_cndmask_b32_e32 v2, v2, v5, vcc
	v_subrev_u32_e32 v5, s12, v2
	v_cmp_le_u32_e32 vcc, s12, v2
	s_nop 1
	v_cndmask_b32_e32 v58, v2, v5, vcc
	v_lshl_add_u64 v[6:7], v[58:59], 1, s[18:19]
	v_add_u32_e32 v58, s13, v58
	v_lshl_add_u64 v[8:9], v[58:59], 1, s[18:19]
	global_load_ushort v5, v[6:7], off
	global_load_ushort v2, v[8:9], off
.LBB190_34:                             ;   in Loop: Header=BB190_7 Depth=1
	v_cmp_ne_u32_e32 vcc, 0, v62
	s_and_b64 exec, exec, vcc
	s_cbranch_execz .LBB190_44
; %bb.35:                               ;   in Loop: Header=BB190_7 Depth=1
	v_cvt_f32_i32_e32 v4, v4
	v_add_f32_e32 v3, v3, v4
	s_waitcnt vmcnt(1)
	v_lshlrev_b32_e32 v4, 16, v5
	v_add_f32_e32 v4, v3, v4
	v_and_b32_e32 v3, 0x7f800000, v4
	v_cmp_ne_u32_e32 vcc, s46, v3
                                        ; implicit-def: $vgpr3
	s_and_saveexec_b64 s[28:29], vcc
	s_xor_b64 s[28:29], exec, s[28:29]
; %bb.36:                               ;   in Loop: Header=BB190_7 Depth=1
	v_bfe_u32 v3, v4, 16, 1
	v_add3_u32 v3, v4, v3, s47
                                        ; implicit-def: $vgpr4
; %bb.37:                               ;   in Loop: Header=BB190_7 Depth=1
	s_andn2_saveexec_b64 s[28:29], s[28:29]
; %bb.38:                               ;   in Loop: Header=BB190_7 Depth=1
	v_or_b32_e32 v3, 0x10000, v4
	v_cmp_eq_u32_sdwa vcc, v4, v59 src0_sel:WORD_0 src1_sel:DWORD
	s_nop 1
	v_cndmask_b32_e32 v3, v3, v4, vcc
; %bb.39:                               ;   in Loop: Header=BB190_7 Depth=1
	s_or_b64 exec, exec, s[28:29]
	v_cvt_f32_i32_e32 v1, v1
	v_mov_b32_e32 v57, v59
	s_waitcnt lgkmcnt(0)
	v_lshl_add_u64 v[4:5], v[56:57], 1, s[24:25]
	global_store_short_d16_hi v[4:5], v3, off
	v_add_f32_e32 v0, v0, v1
	s_waitcnt vmcnt(1)
	v_lshlrev_b32_e32 v1, 16, v2
	v_add_f32_e32 v1, v0, v1
	v_and_b32_e32 v0, 0x7f800000, v1
	v_cmp_ne_u32_e32 vcc, s46, v0
                                        ; implicit-def: $vgpr0
	s_and_saveexec_b64 s[28:29], vcc
	s_xor_b64 s[28:29], exec, s[28:29]
; %bb.40:                               ;   in Loop: Header=BB190_7 Depth=1
	v_bfe_u32 v0, v1, 16, 1
	v_add3_u32 v0, v1, v0, s47
                                        ; implicit-def: $vgpr1
; %bb.41:                               ;   in Loop: Header=BB190_7 Depth=1
	s_andn2_saveexec_b64 s[28:29], s[28:29]
; %bb.42:                               ;   in Loop: Header=BB190_7 Depth=1
	v_or_b32_e32 v0, 0x10000, v1
	v_cmp_eq_u32_sdwa vcc, v1, v59 src0_sel:WORD_0 src1_sel:DWORD
	s_nop 1
	v_cndmask_b32_e32 v0, v0, v1, vcc
; %bb.43:                               ;   in Loop: Header=BB190_7 Depth=1
	s_or_b64 exec, exec, s[28:29]
	v_add_u32_e32 v58, s23, v56
	v_lshl_add_u64 v[2:3], v[58:59], 1, s[24:25]
	global_store_short_d16_hi v[2:3], v0, off
.LBB190_44:                             ;   in Loop: Header=BB190_7 Depth=1
	s_or_b64 exec, exec, s[8:9]
	v_add_u32_e32 v8, s42, v56
	v_add_u32_e32 v0, 1, v8
	v_cmp_gt_u32_e32 vcc, s23, v8
	v_cmp_le_u32_e64 s[8:9], s23, v0
	s_and_b64 s[28:29], vcc, s[8:9]
	s_and_saveexec_b64 s[8:9], s[28:29]
	s_cbranch_execz .LBB190_5
; %bb.45:                               ;   in Loop: Header=BB190_7 Depth=1
	v_add_u32_e32 v0, s43, v56
	v_cmp_eq_u32_e32 vcc, 1, v0
	v_mov_b32_e32 v8, s41
	s_nop 0
	v_cndmask_b32_e32 v62, 0, v62, vcc
	s_branch .LBB190_5
.LBB190_46:
	s_endpgm
	.section	.rodata,"a",@progbits
	.p2align	6, 0x0
	.amdhsa_kernel _Z16wvSplitK_hf_big_I14__hip_bfloat16Li32ELi1ELi16ELi8ELi4ELi2EEviiiiiiPKT_S3_S3_PS1_ii
		.amdhsa_group_segment_fixed_size 65536
		.amdhsa_private_segment_fixed_size 0
		.amdhsa_kernarg_size 64
		.amdhsa_user_sgpr_count 2
		.amdhsa_user_sgpr_dispatch_ptr 0
		.amdhsa_user_sgpr_queue_ptr 0
		.amdhsa_user_sgpr_kernarg_segment_ptr 1
		.amdhsa_user_sgpr_dispatch_id 0
		.amdhsa_user_sgpr_kernarg_preload_length 0
		.amdhsa_user_sgpr_kernarg_preload_offset 0
		.amdhsa_user_sgpr_private_segment_size 0
		.amdhsa_uses_dynamic_stack 0
		.amdhsa_enable_private_segment 0
		.amdhsa_system_sgpr_workgroup_id_x 1
		.amdhsa_system_sgpr_workgroup_id_y 0
		.amdhsa_system_sgpr_workgroup_id_z 0
		.amdhsa_system_sgpr_workgroup_info 0
		.amdhsa_system_vgpr_workitem_id 1
		.amdhsa_next_free_vgpr 71
		.amdhsa_next_free_sgpr 50
		.amdhsa_accum_offset 72
		.amdhsa_reserve_vcc 1
		.amdhsa_float_round_mode_32 0
		.amdhsa_float_round_mode_16_64 0
		.amdhsa_float_denorm_mode_32 3
		.amdhsa_float_denorm_mode_16_64 3
		.amdhsa_dx10_clamp 1
		.amdhsa_ieee_mode 1
		.amdhsa_fp16_overflow 0
		.amdhsa_tg_split 0
		.amdhsa_exception_fp_ieee_invalid_op 0
		.amdhsa_exception_fp_denorm_src 0
		.amdhsa_exception_fp_ieee_div_zero 0
		.amdhsa_exception_fp_ieee_overflow 0
		.amdhsa_exception_fp_ieee_underflow 0
		.amdhsa_exception_fp_ieee_inexact 0
		.amdhsa_exception_int_div_zero 0
	.end_amdhsa_kernel
	.section	.text._Z16wvSplitK_hf_big_I14__hip_bfloat16Li32ELi1ELi16ELi8ELi4ELi2EEviiiiiiPKT_S3_S3_PS1_ii,"axG",@progbits,_Z16wvSplitK_hf_big_I14__hip_bfloat16Li32ELi1ELi16ELi8ELi4ELi2EEviiiiiiPKT_S3_S3_PS1_ii,comdat
.Lfunc_end190:
	.size	_Z16wvSplitK_hf_big_I14__hip_bfloat16Li32ELi1ELi16ELi8ELi4ELi2EEviiiiiiPKT_S3_S3_PS1_ii, .Lfunc_end190-_Z16wvSplitK_hf_big_I14__hip_bfloat16Li32ELi1ELi16ELi8ELi4ELi2EEviiiiiiPKT_S3_S3_PS1_ii
                                        ; -- End function
	.section	.AMDGPU.csdata,"",@progbits
; Kernel info:
; codeLenInByte = 2368
; NumSgprs: 56
; NumVgprs: 71
; NumAgprs: 0
; TotalNumVgprs: 71
; ScratchSize: 0
; MemoryBound: 0
; FloatMode: 240
; IeeeMode: 1
; LDSByteSize: 65536 bytes/workgroup (compile time only)
; SGPRBlocks: 6
; VGPRBlocks: 8
; NumSGPRsForWavesPerEU: 56
; NumVGPRsForWavesPerEU: 71
; AccumOffset: 72
; Occupancy: 2
; WaveLimiterHint : 0
; COMPUTE_PGM_RSRC2:SCRATCH_EN: 0
; COMPUTE_PGM_RSRC2:USER_SGPR: 2
; COMPUTE_PGM_RSRC2:TRAP_HANDLER: 0
; COMPUTE_PGM_RSRC2:TGID_X_EN: 1
; COMPUTE_PGM_RSRC2:TGID_Y_EN: 0
; COMPUTE_PGM_RSRC2:TGID_Z_EN: 0
; COMPUTE_PGM_RSRC2:TIDIG_COMP_CNT: 1
; COMPUTE_PGM_RSRC3_GFX90A:ACCUM_OFFSET: 17
; COMPUTE_PGM_RSRC3_GFX90A:TG_SPLIT: 0
	.section	.text._Z16wvSplitK_hf_sml_I14__hip_bfloat16Li32ELi2ELi16ELi8ELi2ELi2EEviiiiiiPKT_S3_S3_PS1_ii,"axG",@progbits,_Z16wvSplitK_hf_sml_I14__hip_bfloat16Li32ELi2ELi16ELi8ELi2ELi2EEviiiiiiPKT_S3_S3_PS1_ii,comdat
	.protected	_Z16wvSplitK_hf_sml_I14__hip_bfloat16Li32ELi2ELi16ELi8ELi2ELi2EEviiiiiiPKT_S3_S3_PS1_ii ; -- Begin function _Z16wvSplitK_hf_sml_I14__hip_bfloat16Li32ELi2ELi16ELi8ELi2ELi2EEviiiiiiPKT_S3_S3_PS1_ii
	.globl	_Z16wvSplitK_hf_sml_I14__hip_bfloat16Li32ELi2ELi16ELi8ELi2ELi2EEviiiiiiPKT_S3_S3_PS1_ii
	.p2align	8
	.type	_Z16wvSplitK_hf_sml_I14__hip_bfloat16Li32ELi2ELi16ELi8ELi2ELi2EEviiiiiiPKT_S3_S3_PS1_ii,@function
_Z16wvSplitK_hf_sml_I14__hip_bfloat16Li32ELi2ELi16ELi8ELi2ELi2EEviiiiiiPKT_S3_S3_PS1_ii: ; @_Z16wvSplitK_hf_sml_I14__hip_bfloat16Li32ELi2ELi16ELi8ELi2ELi2EEviiiiiiPKT_S3_S3_PS1_ii
; %bb.0:
	s_load_dwordx4 s[8:11], s[0:1], 0x0
	v_and_b32_e32 v4, 0x3ff, v0
	v_bfe_u32 v5, v0, 10, 10
	v_lshlrev_b32_e32 v56, 3, v4
	v_lshl_add_u32 v6, v5, 8, v56
	s_waitcnt lgkmcnt(0)
	s_lshl_b32 s10, s10, 1
	s_min_u32 s3, s10, 0x8000
	v_cmp_gt_u32_e32 vcc, s3, v6
	s_and_saveexec_b64 s[4:5], vcc
	s_cbranch_execz .LBB191_9
; %bb.1:
	s_load_dwordx2 s[6:7], s[0:1], 0x20
	v_lshlrev_b32_e32 v0, 1, v6
	v_add_u32_e32 v1, 0x1000, v6
	v_cmp_gt_u32_e32 vcc, s3, v1
	s_waitcnt lgkmcnt(0)
	global_load_dwordx4 v[8:11], v0, s[6:7]
	s_waitcnt vmcnt(0)
	ds_write_b128 v0, v[8:11]
	s_and_saveexec_b64 s[12:13], vcc
	s_xor_b64 s[12:13], exec, s[12:13]
	s_cbranch_execz .LBB191_9
; %bb.2:
	v_mov_b32_e32 v1, 0
	v_lshl_add_u64 v[2:3], s[6:7], 0, v[0:1]
	v_add_co_u32_e32 v8, vcc, 0x2000, v2
	v_add_u32_e32 v1, 0x2000, v6
	s_nop 0
	v_addc_co_u32_e32 v9, vcc, 0, v3, vcc
	global_load_dwordx4 v[8:11], v[8:9], off
	v_cmp_gt_u32_e32 vcc, s3, v1
	s_waitcnt vmcnt(0)
	ds_write_b128 v0, v[8:11] offset:8192
	s_and_saveexec_b64 s[6:7], vcc
	s_xor_b64 s[6:7], exec, s[6:7]
	s_cbranch_execz .LBB191_9
; %bb.3:
	v_add_co_u32_e32 v8, vcc, 0x4000, v2
	v_add_u32_e32 v1, 0x3000, v6
	s_nop 0
	v_addc_co_u32_e32 v9, vcc, 0, v3, vcc
	global_load_dwordx4 v[8:11], v[8:9], off
	v_cmp_gt_u32_e32 vcc, s3, v1
	s_waitcnt vmcnt(0)
	ds_write_b128 v0, v[8:11] offset:16384
	s_and_saveexec_b64 s[6:7], vcc
	s_xor_b64 s[6:7], exec, s[6:7]
	s_cbranch_execz .LBB191_9
; %bb.4:
	;; [unrolled: 12-line block ×6, first 2 shown]
	v_add_co_u32_e32 v2, vcc, 0xe000, v2
	s_nop 1
	v_addc_co_u32_e32 v3, vcc, 0, v3, vcc
	global_load_dwordx4 v[6:9], v[2:3], off
	s_waitcnt vmcnt(0)
	ds_write_b128 v0, v[6:9] offset:57344
.LBB191_9:
	s_or_b64 exec, exec, s[4:5]
	s_load_dwordx2 s[4:5], s[0:1], 0x38
	s_waitcnt lgkmcnt(0)
	s_barrier
	v_cmp_gt_u32_e32 vcc, s4, v5
	s_and_saveexec_b64 s[6:7], vcc
	s_cbranch_execz .LBB191_40
; %bb.10:
	s_load_dwordx2 s[6:7], s[0:1], 0x10
	s_mul_i32 s2, s2, s4
	v_add_lshl_u32 v48, s2, v5, 1
	v_cmp_gt_u32_e32 vcc, s11, v48
	s_and_b64 exec, exec, vcc
	s_cbranch_execz .LBB191_40
; %bb.11:
	s_waitcnt lgkmcnt(0)
	v_cvt_f32_u32_e32 v0, s6
	s_load_dwordx4 s[12:15], s[0:1], 0x28
	s_load_dwordx2 s[16:17], s[0:1], 0x18
	s_cmp_lg_u32 s8, 0
	s_cselect_b64 s[2:3], -1, 0
	v_rcp_iflag_f32_e32 v0, v0
	s_add_i32 s24, s8, -8
	s_add_i32 s25, s11, -1
	s_mul_i32 s20, s4, s5
	v_mul_f32_e32 v0, 0x4f7ffffe, v0
	v_cvt_u32_f32_e32 v0, v0
	s_waitcnt lgkmcnt(0)
	s_cmp_lg_u64 s[12:13], 0
	s_cselect_b64 s[4:5], -1, 0
	s_lshl_b32 s26, s20, 1
	s_sub_i32 s20, 0, s6
	s_abs_i32 s7, s7
	v_mul_lo_u32 v1, s20, v0
	s_sub_i32 s20, 1, s7
	s_cmp_lt_u32 s7, 2
	s_cselect_b32 s20, s20, 1
	v_mul_hi_u32 v1, v0, v1
	s_sub_i32 s21, s20, s7
	v_add_u32_e32 v57, v0, v1
	s_cmp_ge_u32 s20, s7
	v_cndmask_b32_e64 v0, 0, 1, s[2:3]
	s_cselect_b32 s7, s21, s20
	v_cmp_ne_u32_e64 s[2:3], 1, v0
	v_cndmask_b32_e64 v0, 0, 1, s[4:5]
	v_cmp_eq_u32_e64 s[0:1], 31, v4
	s_mov_b64 s[18:19], 0
	v_mov_b32_e32 v51, 0
	s_mul_i32 s7, s7, s6
	v_lshlrev_b32_e32 v58, 4, v4
	s_mov_b32 s27, 0x7f800000
	s_movk_i32 s28, 0x7fff
	v_cmp_ne_u32_e64 s[4:5], 1, v0
	s_branch .LBB191_14
.LBB191_12:                             ;   in Loop: Header=BB191_14 Depth=1
	s_or_b64 exec, exec, s[22:23]
	v_add_u32_e32 v50, 1, v50
	v_lshl_add_u64 v[2:3], v[50:51], 1, s[14:15]
	global_store_short_d16_hi v[2:3], v0, off
.LBB191_13:                             ;   in Loop: Header=BB191_14 Depth=1
	s_or_b64 exec, exec, s[20:21]
	v_add_u32_e32 v48, s26, v48
	v_cmp_le_u32_e32 vcc, s11, v48
	s_or_b64 s[18:19], vcc, s[18:19]
	s_andn2_b64 exec, exec, s[18:19]
	s_cbranch_execz .LBB191_40
.LBB191_14:                             ; =>This Loop Header: Depth=1
                                        ;     Child Loop BB191_18 Depth 2
	s_and_b64 vcc, exec, s[2:3]
	v_mov_b32_e32 v3, v51
	v_mov_b32_e32 v2, v51
	;; [unrolled: 1-line block ×16, first 2 shown]
	s_cbranch_vccnz .LBB191_21
; %bb.15:                               ;   in Loop: Header=BB191_14 Depth=1
	v_min_u32_e32 v0, s25, v48
	v_mul_lo_u32 v50, v0, s9
	v_or_b32_e32 v0, 1, v48
	v_min_u32_e32 v0, s25, v0
	v_mul_lo_u32 v0, v0, s9
	v_mov_b32_e32 v1, v51
	v_mov_b32_e32 v12, 0
	s_mov_b32 s29, 0
	v_lshlrev_b64 v[52:53], 1, v[50:51]
	v_lshlrev_b64 v[54:55], 1, v[0:1]
	v_mov_b32_e32 v49, v58
	v_mov_b32_e32 v13, v12
	;; [unrolled: 1-line block ×16, first 2 shown]
	s_branch .LBB191_18
.LBB191_16:                             ;   in Loop: Header=BB191_18 Depth=2
	s_or_b64 exec, exec, s[22:23]
.LBB191_17:                             ;   in Loop: Header=BB191_18 Depth=2
	s_or_b64 exec, exec, s[20:21]
	s_waitcnt vmcnt(3) lgkmcnt(1)
	v_mfma_f32_4x4x4_16b_bf16 v[12:15], v[44:45], v[32:33], v[12:15]
	s_addk_i32 s29, 0x200
	s_waitcnt vmcnt(2)
	v_mfma_f32_4x4x4_16b_bf16 v[8:11], v[44:45], v[28:29], v[8:11]
	v_add_u32_e32 v49, 0x400, v49
	s_waitcnt lgkmcnt(0)
	v_mfma_f32_4x4x4_16b_bf16 v[4:7], v[40:41], v[32:33], v[4:7]
	s_cmp_ge_u32 s29, s8
	v_mfma_f32_4x4x4_16b_bf16 v[0:3], v[40:41], v[28:29], v[0:3]
	v_mfma_f32_4x4x4_16b_bf16 v[12:15], v[46:47], v[34:35], v[12:15]
	v_mfma_f32_4x4x4_16b_bf16 v[8:11], v[46:47], v[30:31], v[8:11]
	v_mfma_f32_4x4x4_16b_bf16 v[4:7], v[42:43], v[34:35], v[4:7]
	v_mfma_f32_4x4x4_16b_bf16 v[0:3], v[42:43], v[30:31], v[0:3]
	s_waitcnt vmcnt(1)
	v_mfma_f32_4x4x4_16b_bf16 v[12:15], v[36:37], v[24:25], v[12:15]
	s_waitcnt vmcnt(0)
	v_mfma_f32_4x4x4_16b_bf16 v[8:11], v[36:37], v[16:17], v[8:11]
	v_mfma_f32_4x4x4_16b_bf16 v[4:7], v[20:21], v[24:25], v[4:7]
	;; [unrolled: 1-line block ×7, first 2 shown]
	s_cbranch_scc1 .LBB191_21
.LBB191_18:                             ;   Parent Loop BB191_14 Depth=1
                                        ; =>  This Inner Loop Header: Depth=2
	v_add_u32_e32 v36, s29, v56
	v_min_u32_e32 v50, s24, v36
	v_lshl_add_u64 v[16:17], v[50:51], 1, s[16:17]
	v_add_u32_e32 v59, 0x100, v36
	v_lshl_add_u64 v[18:19], v[16:17], 0, v[52:53]
	v_lshl_add_u64 v[16:17], v[16:17], 0, v[54:55]
	v_min_u32_e32 v50, s24, v59
	global_load_dwordx4 v[32:35], v[18:19], off nt
	global_load_dwordx4 v[28:31], v[16:17], off nt
	v_lshl_add_u64 v[16:17], v[50:51], 1, s[16:17]
	v_lshl_add_u64 v[20:21], v[16:17], 0, v[52:53]
	;; [unrolled: 1-line block ×3, first 2 shown]
	global_load_dwordx4 v[24:27], v[20:21], off nt
	global_load_dwordx4 v[16:19], v[22:23], off nt
	v_cmp_gt_u32_e32 vcc, s8, v36
	v_mov_b32_e32 v22, 0
	v_mov_b32_e32 v23, 0
	;; [unrolled: 1-line block ×16, first 2 shown]
	s_and_saveexec_b64 s[20:21], vcc
	s_cbranch_execz .LBB191_17
; %bb.19:                               ;   in Loop: Header=BB191_18 Depth=2
	v_add_u32_e32 v50, s10, v49
	ds_read_b128 v[44:47], v49
	ds_read_b128 v[40:43], v50
	v_cmp_gt_u32_e32 vcc, s8, v59
	v_mov_b32_e32 v37, 0
	v_mov_b32_e32 v36, 0
	;; [unrolled: 1-line block ×8, first 2 shown]
	s_and_saveexec_b64 s[22:23], vcc
	s_cbranch_execz .LBB191_16
; %bb.20:                               ;   in Loop: Header=BB191_18 Depth=2
	ds_read_b128 v[36:39], v49 offset:512
	ds_read_b128 v[20:23], v50 offset:512
	s_branch .LBB191_16
.LBB191_21:                             ;   in Loop: Header=BB191_14 Depth=1
	; sched_barrier mask(0x00000000)
	s_nop 0
	v_cvt_i32_f32_e32 v13, v13
	v_cvt_i32_f32_e32 v14, v14
	;; [unrolled: 1-line block ×4, first 2 shown]
	v_cvt_f32_i32_dpp v13, v13 row_shl:1 row_mask:0xf bank_mask:0xf bound_ctrl:1
	v_cvt_f32_i32_dpp v14, v14 row_shl:2 row_mask:0xf bank_mask:0xf bound_ctrl:1
	v_cvt_i32_f32_e32 v10, v10
	v_cvt_f32_i32_dpp v15, v15 row_shl:3 row_mask:0xf bank_mask:0xf bound_ctrl:1
	v_cvt_i32_f32_e32 v11, v11
	v_cvt_i32_f32_e32 v5, v5
	v_add_f32_e32 v12, v12, v13
	v_cvt_f32_i32_dpp v9, v9 row_shl:1 row_mask:0xf bank_mask:0xf bound_ctrl:1
	v_cvt_i32_f32_e32 v1, v1
	v_add_f32_e32 v12, v12, v14
	v_cvt_f32_i32_dpp v10, v10 row_shl:2 row_mask:0xf bank_mask:0xf bound_ctrl:1
	v_cvt_i32_f32_e32 v6, v6
	v_cvt_i32_f32_e32 v2, v2
	v_add_f32_e32 v12, v12, v15
	v_cvt_f32_i32_dpp v11, v11 row_shl:3 row_mask:0xf bank_mask:0xf bound_ctrl:1
	v_cvt_f32_i32_dpp v5, v5 row_shl:1 row_mask:0xf bank_mask:0xf bound_ctrl:1
	v_cvt_i32_f32_e32 v7, v7
	v_cvt_i32_f32_e32 v3, v3
	;; [unrolled: 1-line block ×3, first 2 shown]
	v_add_f32_e32 v8, v8, v9
	v_cvt_f32_i32_dpp v1, v1 row_shl:1 row_mask:0xf bank_mask:0xf bound_ctrl:1
	v_add_f32_e32 v8, v8, v10
	v_cvt_f32_i32_dpp v6, v6 row_shl:2 row_mask:0xf bank_mask:0xf bound_ctrl:1
	v_cvt_f32_i32_dpp v2, v2 row_shl:2 row_mask:0xf bank_mask:0xf bound_ctrl:1
	v_add_f32_e32 v8, v8, v11
	v_add_f32_e32 v4, v4, v5
	v_cvt_f32_i32_dpp v5, v7 row_shl:3 row_mask:0xf bank_mask:0xf bound_ctrl:1
	v_cvt_f32_i32_dpp v3, v3 row_shl:3 row_mask:0xf bank_mask:0xf bound_ctrl:1
	v_cvt_f32_i32_dpp v13, v13 row_shl:4 row_mask:0xf bank_mask:0xf bound_ctrl:1
	v_cvt_i32_f32_e32 v10, v8
	v_add_f32_e32 v0, v0, v1
	v_add_f32_e32 v4, v4, v6
	;; [unrolled: 1-line block ×6, first 2 shown]
	v_cvt_f32_i32_dpp v10, v10 row_shl:4 row_mask:0xf bank_mask:0xf bound_ctrl:1
	v_cvt_i32_f32_e32 v5, v4
	v_cvt_i32_f32_e32 v1, v0
	;; [unrolled: 1-line block ×3, first 2 shown]
	v_add_f32_e32 v8, v8, v10
	v_cvt_f32_i32_dpp v3, v5 row_shl:4 row_mask:0xf bank_mask:0xf bound_ctrl:1
	v_cvt_f32_i32_dpp v1, v1 row_shl:4 row_mask:0xf bank_mask:0xf bound_ctrl:1
	;; [unrolled: 1-line block ×3, first 2 shown]
	v_cvt_i32_f32_e32 v10, v8
	v_add_f32_e32 v3, v4, v3
	v_add_f32_e32 v0, v0, v1
	;; [unrolled: 1-line block ×3, first 2 shown]
	v_cvt_f32_i32_dpp v2, v10 row_shl:8 row_mask:0xf bank_mask:0xf bound_ctrl:1
	v_cvt_i32_f32_e32 v4, v3
	v_cvt_i32_f32_e32 v1, v0
	v_cvt_i32_f32_e32 v9, v9
	v_add_f32_e32 v2, v8, v2
	v_cvt_f32_i32_dpp v4, v4 row_shl:8 row_mask:0xf bank_mask:0xf bound_ctrl:1
	v_cvt_f32_i32_dpp v1, v1 row_shl:8 row_mask:0xf bank_mask:0xf bound_ctrl:1
	v_cvt_f32_i32_dpp v5, v9 row_shr:15 row_mask:0xf bank_mask:0xf bound_ctrl:1
	v_cvt_i32_f32_e32 v2, v2
	v_add_f32_e32 v3, v3, v4
	v_add_f32_e32 v0, v0, v1
	v_cvt_i32_f32_e32 v6, v5
	v_cvt_f32_i32_dpp v2, v2 row_shr:15 row_mask:0xf bank_mask:0xf bound_ctrl:1
	v_cvt_i32_f32_e32 v3, v3
	v_cvt_i32_f32_e32 v0, v0
	v_cvt_f32_i32_dpp v1, v6 row_bcast:15 row_mask:0xf bank_mask:0xf bound_ctrl:1
	v_cvt_i32_f32_e32 v4, v2
	v_cvt_f32_i32_dpp v3, v3 row_shr:15 row_mask:0xf bank_mask:0xf bound_ctrl:1
	v_cvt_f32_i32_dpp v0, v0 row_shr:15 row_mask:0xf bank_mask:0xf bound_ctrl:1
	v_add_f32_e32 v1, v5, v1
	v_cvt_f32_i32_dpp v4, v4 row_bcast:15 row_mask:0xf bank_mask:0xf bound_ctrl:1
	v_cvt_i32_f32_e32 v5, v3
	v_cvt_i32_f32_e32 v6, v0
	;; [unrolled: 1-line block ×3, first 2 shown]
	v_add_f32_e32 v7, v2, v4
	v_cvt_f32_i32_dpp v5, v5 row_bcast:15 row_mask:0xf bank_mask:0xf bound_ctrl:1
	v_cvt_f32_i32_dpp v2, v6 row_bcast:15 row_mask:0xf bank_mask:0xf bound_ctrl:1
	v_cvt_i32_f32_e32 v6, v7
	v_mov_b32_dpp v9, v8 row_bcast:31 row_mask:0xf bank_mask:0xf bound_ctrl:1
	v_add_f32_e32 v4, v3, v5
	v_add_f32_e32 v2, v0, v2
	v_cvt_i32_f32_e32 v3, v4
	v_cvt_i32_f32_e32 v10, v2
	v_mov_b32_dpp v0, v6 row_bcast:31 row_mask:0xf bank_mask:0xf bound_ctrl:1
	v_mov_b32_dpp v5, v3 row_bcast:31 row_mask:0xf bank_mask:0xf bound_ctrl:1
	;; [unrolled: 1-line block ×3, first 2 shown]
	s_and_saveexec_b64 s[20:21], s[0:1]
	s_cbranch_execz .LBB191_13
; %bb.22:                               ;   in Loop: Header=BB191_14 Depth=1
	s_and_b64 vcc, exec, s[4:5]
	v_mov_b32_e32 v6, 0
	v_mov_b32_e32 v8, 0
	;; [unrolled: 1-line block ×4, first 2 shown]
	s_cbranch_vccnz .LBB191_24
; %bb.23:                               ;   in Loop: Header=BB191_14 Depth=1
	v_mul_hi_u32 v6, v48, v57
	v_mul_lo_u32 v6, v6, s6
	v_sub_u32_e32 v6, v48, v6
	v_subrev_u32_e32 v8, s6, v6
	v_cmp_le_u32_e32 vcc, s6, v6
	v_mov_b32_e32 v11, v51
	s_nop 0
	v_cndmask_b32_e32 v6, v6, v8, vcc
	v_subrev_u32_e32 v8, s6, v6
	v_cmp_le_u32_e32 vcc, s6, v6
	s_nop 1
	v_cndmask_b32_e32 v50, v6, v8, vcc
	v_or_b32_e32 v6, 1, v48
	v_mul_hi_u32 v8, v6, v57
	v_mul_lo_u32 v8, v8, s6
	v_sub_u32_e32 v6, v6, v8
	v_subrev_u32_e32 v8, s6, v6
	v_cmp_le_u32_e32 vcc, s6, v6
	v_lshl_add_u64 v[12:13], v[50:51], 1, s[12:13]
	v_add_u32_e32 v50, s7, v50
	v_cndmask_b32_e32 v6, v6, v8, vcc
	v_subrev_u32_e32 v8, s6, v6
	v_cmp_le_u32_e32 vcc, s6, v6
	v_lshl_add_u64 v[16:17], v[50:51], 1, s[12:13]
	s_nop 0
	v_cndmask_b32_e32 v10, v6, v8, vcc
	v_add_u32_e32 v50, s7, v10
	v_lshl_add_u64 v[14:15], v[10:11], 1, s[12:13]
	v_lshl_add_u64 v[18:19], v[50:51], 1, s[12:13]
	global_load_ushort v11, v[12:13], off
	global_load_ushort v10, v[14:15], off
	;; [unrolled: 1-line block ×4, first 2 shown]
.LBB191_24:                             ;   in Loop: Header=BB191_14 Depth=1
	v_cvt_f32_i32_e32 v9, v9
	v_add_f32_e32 v1, v1, v9
	s_waitcnt vmcnt(3)
	v_lshlrev_b32_e32 v9, 16, v11
	v_add_f32_e32 v1, v1, v9
	v_and_b32_e32 v9, 0x7f800000, v1
	v_cmp_ne_u32_e32 vcc, s27, v9
                                        ; implicit-def: $vgpr9
	s_and_saveexec_b64 s[22:23], vcc
	s_xor_b64 s[22:23], exec, s[22:23]
; %bb.25:                               ;   in Loop: Header=BB191_14 Depth=1
	v_bfe_u32 v9, v1, 16, 1
	v_add3_u32 v9, v1, v9, s28
                                        ; implicit-def: $vgpr1
; %bb.26:                               ;   in Loop: Header=BB191_14 Depth=1
	s_andn2_saveexec_b64 s[22:23], s[22:23]
; %bb.27:                               ;   in Loop: Header=BB191_14 Depth=1
	v_or_b32_e32 v9, 0x10000, v1
	v_cmp_eq_u32_sdwa vcc, v1, v51 src0_sel:WORD_0 src1_sel:DWORD
	s_nop 1
	v_cndmask_b32_e32 v9, v9, v1, vcc
; %bb.28:                               ;   in Loop: Header=BB191_14 Depth=1
	s_or_b64 exec, exec, s[22:23]
	v_cvt_f32_i32_e32 v11, v0
	v_mov_b32_e32 v49, v51
	v_lshl_add_u64 v[0:1], v[48:49], 1, s[14:15]
	global_store_short_d16_hi v[0:1], v9, off
	v_add_f32_e32 v7, v7, v11
	s_waitcnt vmcnt(3)
	v_lshlrev_b32_e32 v9, 16, v10
	v_add_f32_e32 v7, v7, v9
	v_and_b32_e32 v9, 0x7f800000, v7
	v_cmp_ne_u32_e32 vcc, s27, v9
                                        ; implicit-def: $vgpr9
	s_and_saveexec_b64 s[22:23], vcc
	s_xor_b64 s[22:23], exec, s[22:23]
; %bb.29:                               ;   in Loop: Header=BB191_14 Depth=1
	v_bfe_u32 v9, v7, 16, 1
	v_add3_u32 v9, v7, v9, s28
                                        ; implicit-def: $vgpr7
; %bb.30:                               ;   in Loop: Header=BB191_14 Depth=1
	s_andn2_saveexec_b64 s[22:23], s[22:23]
; %bb.31:                               ;   in Loop: Header=BB191_14 Depth=1
	v_or_b32_e32 v9, 0x10000, v7
	v_cmp_eq_u32_sdwa vcc, v7, v51 src0_sel:WORD_0 src1_sel:DWORD
	s_nop 1
	v_cndmask_b32_e32 v9, v9, v7, vcc
; %bb.32:                               ;   in Loop: Header=BB191_14 Depth=1
	s_or_b64 exec, exec, s[22:23]
	v_cvt_f32_i32_e32 v5, v5
	global_store_short_d16_hi v[0:1], v9, off offset:2
	s_waitcnt vmcnt(3)
	v_lshlrev_b32_e32 v1, 16, v8
	v_add_f32_e32 v0, v4, v5
	v_add_f32_e32 v1, v0, v1
	v_and_b32_e32 v0, 0x7f800000, v1
	v_cmp_ne_u32_e32 vcc, s27, v0
                                        ; implicit-def: $vgpr0
	s_and_saveexec_b64 s[22:23], vcc
	s_xor_b64 s[22:23], exec, s[22:23]
; %bb.33:                               ;   in Loop: Header=BB191_14 Depth=1
	v_bfe_u32 v0, v1, 16, 1
	v_add3_u32 v0, v1, v0, s28
                                        ; implicit-def: $vgpr1
; %bb.34:                               ;   in Loop: Header=BB191_14 Depth=1
	s_andn2_saveexec_b64 s[22:23], s[22:23]
; %bb.35:                               ;   in Loop: Header=BB191_14 Depth=1
	v_or_b32_e32 v0, 0x10000, v1
	v_cmp_eq_u32_sdwa vcc, v1, v51 src0_sel:WORD_0 src1_sel:DWORD
	s_nop 1
	v_cndmask_b32_e32 v0, v0, v1, vcc
; %bb.36:                               ;   in Loop: Header=BB191_14 Depth=1
	s_or_b64 exec, exec, s[22:23]
	v_cvt_f32_i32_e32 v1, v3
	v_add_u32_e32 v50, s11, v48
	v_lshl_add_u64 v[4:5], v[50:51], 1, s[14:15]
	global_store_short_d16_hi v[4:5], v0, off
	v_add_f32_e32 v0, v2, v1
	s_waitcnt vmcnt(3)
	v_lshlrev_b32_e32 v1, 16, v6
	v_add_f32_e32 v1, v0, v1
	v_and_b32_e32 v0, 0x7f800000, v1
	v_cmp_ne_u32_e32 vcc, s27, v0
                                        ; implicit-def: $vgpr0
	s_and_saveexec_b64 s[22:23], vcc
	s_xor_b64 s[22:23], exec, s[22:23]
; %bb.37:                               ;   in Loop: Header=BB191_14 Depth=1
	v_bfe_u32 v0, v1, 16, 1
	v_add3_u32 v0, v1, v0, s28
                                        ; implicit-def: $vgpr1
; %bb.38:                               ;   in Loop: Header=BB191_14 Depth=1
	s_andn2_saveexec_b64 s[22:23], s[22:23]
	s_cbranch_execz .LBB191_12
; %bb.39:                               ;   in Loop: Header=BB191_14 Depth=1
	v_or_b32_e32 v0, 0x10000, v1
	v_cmp_eq_u32_sdwa vcc, v1, v51 src0_sel:WORD_0 src1_sel:DWORD
	s_nop 1
	v_cndmask_b32_e32 v0, v0, v1, vcc
	s_branch .LBB191_12
.LBB191_40:
	s_endpgm
	.section	.rodata,"a",@progbits
	.p2align	6, 0x0
	.amdhsa_kernel _Z16wvSplitK_hf_sml_I14__hip_bfloat16Li32ELi2ELi16ELi8ELi2ELi2EEviiiiiiPKT_S3_S3_PS1_ii
		.amdhsa_group_segment_fixed_size 65536
		.amdhsa_private_segment_fixed_size 0
		.amdhsa_kernarg_size 64
		.amdhsa_user_sgpr_count 2
		.amdhsa_user_sgpr_dispatch_ptr 0
		.amdhsa_user_sgpr_queue_ptr 0
		.amdhsa_user_sgpr_kernarg_segment_ptr 1
		.amdhsa_user_sgpr_dispatch_id 0
		.amdhsa_user_sgpr_kernarg_preload_length 0
		.amdhsa_user_sgpr_kernarg_preload_offset 0
		.amdhsa_user_sgpr_private_segment_size 0
		.amdhsa_uses_dynamic_stack 0
		.amdhsa_enable_private_segment 0
		.amdhsa_system_sgpr_workgroup_id_x 1
		.amdhsa_system_sgpr_workgroup_id_y 0
		.amdhsa_system_sgpr_workgroup_id_z 0
		.amdhsa_system_sgpr_workgroup_info 0
		.amdhsa_system_vgpr_workitem_id 1
		.amdhsa_next_free_vgpr 60
		.amdhsa_next_free_sgpr 30
		.amdhsa_accum_offset 60
		.amdhsa_reserve_vcc 1
		.amdhsa_float_round_mode_32 0
		.amdhsa_float_round_mode_16_64 0
		.amdhsa_float_denorm_mode_32 3
		.amdhsa_float_denorm_mode_16_64 3
		.amdhsa_dx10_clamp 1
		.amdhsa_ieee_mode 1
		.amdhsa_fp16_overflow 0
		.amdhsa_tg_split 0
		.amdhsa_exception_fp_ieee_invalid_op 0
		.amdhsa_exception_fp_denorm_src 0
		.amdhsa_exception_fp_ieee_div_zero 0
		.amdhsa_exception_fp_ieee_overflow 0
		.amdhsa_exception_fp_ieee_underflow 0
		.amdhsa_exception_fp_ieee_inexact 0
		.amdhsa_exception_int_div_zero 0
	.end_amdhsa_kernel
	.section	.text._Z16wvSplitK_hf_sml_I14__hip_bfloat16Li32ELi2ELi16ELi8ELi2ELi2EEviiiiiiPKT_S3_S3_PS1_ii,"axG",@progbits,_Z16wvSplitK_hf_sml_I14__hip_bfloat16Li32ELi2ELi16ELi8ELi2ELi2EEviiiiiiPKT_S3_S3_PS1_ii,comdat
.Lfunc_end191:
	.size	_Z16wvSplitK_hf_sml_I14__hip_bfloat16Li32ELi2ELi16ELi8ELi2ELi2EEviiiiiiPKT_S3_S3_PS1_ii, .Lfunc_end191-_Z16wvSplitK_hf_sml_I14__hip_bfloat16Li32ELi2ELi16ELi8ELi2ELi2EEviiiiiiPKT_S3_S3_PS1_ii
                                        ; -- End function
	.section	.AMDGPU.csdata,"",@progbits
; Kernel info:
; codeLenInByte = 2580
; NumSgprs: 36
; NumVgprs: 60
; NumAgprs: 0
; TotalNumVgprs: 60
; ScratchSize: 0
; MemoryBound: 0
; FloatMode: 240
; IeeeMode: 1
; LDSByteSize: 65536 bytes/workgroup (compile time only)
; SGPRBlocks: 4
; VGPRBlocks: 7
; NumSGPRsForWavesPerEU: 36
; NumVGPRsForWavesPerEU: 60
; AccumOffset: 60
; Occupancy: 2
; WaveLimiterHint : 0
; COMPUTE_PGM_RSRC2:SCRATCH_EN: 0
; COMPUTE_PGM_RSRC2:USER_SGPR: 2
; COMPUTE_PGM_RSRC2:TRAP_HANDLER: 0
; COMPUTE_PGM_RSRC2:TGID_X_EN: 1
; COMPUTE_PGM_RSRC2:TGID_Y_EN: 0
; COMPUTE_PGM_RSRC2:TGID_Z_EN: 0
; COMPUTE_PGM_RSRC2:TIDIG_COMP_CNT: 1
; COMPUTE_PGM_RSRC3_GFX90A:ACCUM_OFFSET: 14
; COMPUTE_PGM_RSRC3_GFX90A:TG_SPLIT: 0
	.section	.text._Z12wvSplitK_hf_I14__hip_bfloat16Li32ELi2ELi16ELi8ELi2ELi2EEviiiiiiPKT_S3_S3_PS1_ii,"axG",@progbits,_Z12wvSplitK_hf_I14__hip_bfloat16Li32ELi2ELi16ELi8ELi2ELi2EEviiiiiiPKT_S3_S3_PS1_ii,comdat
	.protected	_Z12wvSplitK_hf_I14__hip_bfloat16Li32ELi2ELi16ELi8ELi2ELi2EEviiiiiiPKT_S3_S3_PS1_ii ; -- Begin function _Z12wvSplitK_hf_I14__hip_bfloat16Li32ELi2ELi16ELi8ELi2ELi2EEviiiiiiPKT_S3_S3_PS1_ii
	.globl	_Z12wvSplitK_hf_I14__hip_bfloat16Li32ELi2ELi16ELi8ELi2ELi2EEviiiiiiPKT_S3_S3_PS1_ii
	.p2align	8
	.type	_Z12wvSplitK_hf_I14__hip_bfloat16Li32ELi2ELi16ELi8ELi2ELi2EEviiiiiiPKT_S3_S3_PS1_ii,@function
_Z12wvSplitK_hf_I14__hip_bfloat16Li32ELi2ELi16ELi8ELi2ELi2EEviiiiiiPKT_S3_S3_PS1_ii: ; @_Z12wvSplitK_hf_I14__hip_bfloat16Li32ELi2ELi16ELi8ELi2ELi2EEviiiiiiPKT_S3_S3_PS1_ii
; %bb.0:
	s_load_dwordx2 s[4:5], s[0:1], 0x38
	s_load_dwordx2 s[16:17], s[0:1], 0x20
	s_load_dwordx4 s[8:11], s[0:1], 0x0
	s_load_dwordx2 s[18:19], s[0:1], 0x10
	v_bfe_u32 v4, v0, 10, 10
	s_waitcnt lgkmcnt(0)
	s_mul_i32 s2, s2, s4
	v_add_lshl_u32 v50, s2, v4, 1
	s_mov_b32 s6, 1
	v_add_u32_e32 v1, 2, v50
	v_cmp_gt_u32_e32 vcc, s11, v50
	v_cmp_le_u32_e64 s[2:3], s11, v1
	s_mov_b32 s7, s6
	s_and_b64 s[12:13], vcc, s[2:3]
	v_mov_b64_e32 v[48:49], s[6:7]
	s_and_saveexec_b64 s[2:3], s[12:13]
	s_cbranch_execz .LBB192_6
; %bb.1:
	s_add_i32 s22, s11, -2
	v_cmp_ne_u32_e32 vcc, s22, v50
	v_mov_b64_e32 v[48:49], s[6:7]
	s_and_saveexec_b64 s[6:7], vcc
	s_cbranch_execz .LBB192_5
; %bb.2:
	v_subrev_u32_e32 v1, s22, v50
	s_mov_b32 s12, 1
	v_cmp_lt_u32_e32 vcc, 1, v1
	s_mov_b64 s[14:15], 0
	s_mov_b64 s[20:21], 0
	v_cndmask_b32_e32 v2, 1, v1, vcc
	s_mov_b32 s13, s12
.LBB192_3:                              ; =>This Inner Loop Header: Depth=1
	s_cmp_lg_u32 s20, 1
	s_cselect_b32 s13, s13, 0
	s_cmp_lg_u32 s20, 0
	s_cselect_b32 s12, s12, 0
	s_add_u32 s20, s20, 1
	s_addc_u32 s21, s21, 0
	v_cmp_eq_u32_e32 vcc, s20, v2
	s_or_b64 s[14:15], vcc, s[14:15]
	v_mov_b64_e32 v[48:49], s[12:13]
	s_andn2_b64 exec, exec, s[14:15]
	s_cbranch_execnz .LBB192_3
; %bb.4:
	s_or_b64 exec, exec, s[14:15]
	v_mov_b32_e32 v50, s22
.LBB192_5:
	s_or_b64 exec, exec, s[6:7]
.LBB192_6:
	s_or_b64 exec, exec, s[2:3]
	v_and_b32_e32 v5, 0x3ff, v0
	v_lshlrev_b32_e32 v64, 3, v5
	s_lshl_b32 s2, s10, 1
	v_lshl_add_u32 v6, v4, 8, v64
	s_min_u32 s6, s2, 0x8000
	v_cmp_gt_u32_e32 vcc, s6, v6
	s_and_saveexec_b64 s[2:3], vcc
	s_cbranch_execz .LBB192_15
; %bb.7:
	v_lshlrev_b32_e32 v0, 1, v6
	global_load_dwordx4 v[8:11], v0, s[16:17]
	v_add_u32_e32 v1, 0x1000, v6
	v_cmp_gt_u32_e32 vcc, s6, v1
	s_waitcnt vmcnt(0)
	ds_write_b128 v0, v[8:11]
	s_and_saveexec_b64 s[12:13], vcc
	s_xor_b64 s[12:13], exec, s[12:13]
	s_cbranch_execz .LBB192_15
; %bb.8:
	v_mov_b32_e32 v1, 0
	v_lshl_add_u64 v[2:3], s[16:17], 0, v[0:1]
	v_add_co_u32_e32 v8, vcc, 0x2000, v2
	v_add_u32_e32 v1, 0x2000, v6
	s_nop 0
	v_addc_co_u32_e32 v9, vcc, 0, v3, vcc
	global_load_dwordx4 v[8:11], v[8:9], off
	v_cmp_gt_u32_e32 vcc, s6, v1
	s_waitcnt vmcnt(0)
	ds_write_b128 v0, v[8:11] offset:8192
	s_and_saveexec_b64 s[12:13], vcc
	s_xor_b64 s[12:13], exec, s[12:13]
	s_cbranch_execz .LBB192_15
; %bb.9:
	v_add_co_u32_e32 v8, vcc, 0x4000, v2
	v_add_u32_e32 v1, 0x3000, v6
	s_nop 0
	v_addc_co_u32_e32 v9, vcc, 0, v3, vcc
	global_load_dwordx4 v[8:11], v[8:9], off
	v_cmp_gt_u32_e32 vcc, s6, v1
	s_waitcnt vmcnt(0)
	ds_write_b128 v0, v[8:11] offset:16384
	s_and_saveexec_b64 s[12:13], vcc
	s_xor_b64 s[12:13], exec, s[12:13]
	s_cbranch_execz .LBB192_15
; %bb.10:
	v_add_co_u32_e32 v8, vcc, 0x6000, v2
	v_add_u32_e32 v1, 0x4000, v6
	s_nop 0
	v_addc_co_u32_e32 v9, vcc, 0, v3, vcc
	global_load_dwordx4 v[8:11], v[8:9], off
	v_cmp_gt_u32_e32 vcc, s6, v1
	s_waitcnt vmcnt(0)
	ds_write_b128 v0, v[8:11] offset:24576
	s_and_saveexec_b64 s[12:13], vcc
	s_xor_b64 s[12:13], exec, s[12:13]
	s_cbranch_execz .LBB192_15
; %bb.11:
	v_add_co_u32_e32 v8, vcc, 0x8000, v2
	v_add_u32_e32 v1, 0x5000, v6
	s_nop 0
	v_addc_co_u32_e32 v9, vcc, 0, v3, vcc
	global_load_dwordx4 v[8:11], v[8:9], off
	v_cmp_gt_u32_e32 vcc, s6, v1
	s_waitcnt vmcnt(0)
	ds_write_b128 v0, v[8:11] offset:32768
	s_and_saveexec_b64 s[12:13], vcc
	s_xor_b64 s[12:13], exec, s[12:13]
	s_cbranch_execz .LBB192_15
; %bb.12:
	v_add_co_u32_e32 v8, vcc, 0xa000, v2
	v_add_u32_e32 v1, 0x6000, v6
	s_nop 0
	v_addc_co_u32_e32 v9, vcc, 0, v3, vcc
	global_load_dwordx4 v[8:11], v[8:9], off
	v_cmp_gt_u32_e32 vcc, s6, v1
	s_waitcnt vmcnt(0)
	ds_write_b128 v0, v[8:11] offset:40960
	s_and_saveexec_b64 s[12:13], vcc
	s_xor_b64 s[12:13], exec, s[12:13]
	s_cbranch_execz .LBB192_15
; %bb.13:
	v_add_co_u32_e32 v8, vcc, 0xc000, v2
	v_add_u32_e32 v1, 0x7000, v6
	s_nop 0
	v_addc_co_u32_e32 v9, vcc, 0, v3, vcc
	global_load_dwordx4 v[8:11], v[8:9], off
	v_cmp_gt_u32_e32 vcc, s6, v1
	s_waitcnt vmcnt(0)
	ds_write_b128 v0, v[8:11] offset:49152
	s_and_saveexec_b64 s[6:7], vcc
	s_xor_b64 s[6:7], exec, s[6:7]
	s_cbranch_execz .LBB192_15
; %bb.14:
	v_add_co_u32_e32 v2, vcc, 0xe000, v2
	s_nop 1
	v_addc_co_u32_e32 v3, vcc, 0, v3, vcc
	global_load_dwordx4 v[6:9], v[2:3], off
	s_waitcnt vmcnt(0)
	ds_write_b128 v0, v[6:9] offset:57344
.LBB192_15:
	s_or_b64 exec, exec, s[2:3]
	v_cmp_gt_u32_e32 vcc, s4, v4
	v_cmp_gt_u32_e64 s[2:3], s11, v50
	s_and_b64 s[2:3], vcc, s[2:3]
	s_waitcnt lgkmcnt(0)
	s_barrier
	s_and_saveexec_b64 s[6:7], s[2:3]
	s_cbranch_execz .LBB192_74
; %bb.16:
	v_cvt_f32_u32_e32 v0, s18
	s_load_dwordx4 s[12:15], s[0:1], 0x28
	s_load_dwordx2 s[20:21], s[0:1], 0x18
	s_cmp_lg_u32 s8, 0
	s_cselect_b64 s[2:3], -1, 0
	v_rcp_iflag_f32_e32 v0, v0
	s_add_i32 s33, s8, -8
	s_add_i32 s36, s11, -1
	s_mul_i32 s4, s4, s5
	v_mul_f32_e32 v0, 0x4f7ffffe, v0
	v_cvt_u32_f32_e32 v0, v0
	s_waitcnt lgkmcnt(0)
	s_cmp_lg_u64 s[12:13], 0
	s_cselect_b64 s[24:25], -1, 0
	s_lshl_b32 s37, s4, 1
	s_sub_i32 s4, 0, s18
	v_mul_lo_u32 v1, s4, v0
	s_abs_i32 s4, s19
	s_add_i32 s38, s11, -2
	s_sub_i32 s5, 1, s4
	s_cmp_lt_u32 s4, 2
	s_cselect_b32 s5, s5, 1
	s_sub_i32 s6, s5, s4
	v_mul_hi_u32 v1, v0, v1
	s_cmp_ge_u32 s5, s4
	v_add_u32_e32 v65, v0, v1
	s_cselect_b32 s19, s6, s5
	v_cndmask_b32_e64 v0, 0, 1, s[2:3]
	v_cmp_eq_u32_e64 s[0:1], 31, v5
	s_mov_b64 s[22:23], 0
	v_mov_b32_e32 v53, 0
	s_mul_i32 s19, s19, s18
	v_cmp_ne_u32_e64 s[2:3], 1, v0
	s_movk_i32 s39, 0x7fff
	s_mov_b32 s40, 0x7f800000
	s_mov_b32 s26, 0
	s_branch .LBB192_19
.LBB192_17:                             ;   in Loop: Header=BB192_19 Depth=1
	s_or_b64 exec, exec, s[28:29]
	v_mov_b32_e32 v50, s38
.LBB192_18:                             ;   in Loop: Header=BB192_19 Depth=1
	s_or_b64 exec, exec, s[6:7]
	v_cmp_le_u32_e32 vcc, s11, v50
	s_or_b64 s[22:23], vcc, s[22:23]
	s_andn2_b64 exec, exec, s[22:23]
	s_cbranch_execz .LBB192_74
.LBB192_19:                             ; =>This Loop Header: Depth=1
                                        ;     Child Loop BB192_24 Depth 2
                                        ;     Child Loop BB192_72 Depth 2
	s_and_b64 vcc, exec, s[2:3]
	v_add_u32_e32 v54, 1, v50
	s_waitcnt vmcnt(0)
	v_mov_b32_e32 v3, v53
	v_mov_b32_e32 v2, v53
	;; [unrolled: 1-line block ×16, first 2 shown]
	s_cbranch_vccnz .LBB192_42
; %bb.20:                               ;   in Loop: Header=BB192_19 Depth=1
	v_min_u32_e32 v0, s36, v50
	v_mul_lo_u32 v52, v0, s9
	v_min_u32_e32 v0, s36, v54
	v_mul_lo_u32 v0, v0, s9
	v_mov_b32_e32 v1, v53
	v_mov_b32_e32 v12, 0
	s_mov_b32 s4, 0
	v_lshlrev_b64 v[56:57], 1, v[52:53]
	v_lshlrev_b64 v[58:59], 1, v[0:1]
	s_mov_b32 s34, 0
	v_mov_b32_e32 v13, v12
	v_mov_b32_e32 v14, v12
	;; [unrolled: 1-line block ×15, first 2 shown]
	s_branch .LBB192_24
.LBB192_21:                             ;   in Loop: Header=BB192_24 Depth=2
	s_or_b64 exec, exec, s[30:31]
.LBB192_22:                             ;   in Loop: Header=BB192_24 Depth=2
	s_or_b64 exec, exec, s[28:29]
.LBB192_23:                             ;   in Loop: Header=BB192_24 Depth=2
	s_or_b64 exec, exec, s[6:7]
	s_waitcnt vmcnt(0) lgkmcnt(0)
	v_mfma_f32_4x4x4_16b_bf16 v[12:15], v[32:33], v[24:25], v[12:15]
	s_addk_i32 s34, 0x200
	v_mfma_f32_4x4x4_16b_bf16 v[8:11], v[32:33], v[20:21], v[8:11]
	s_cmp_ge_u32 s34, s8
	v_mfma_f32_4x4x4_16b_bf16 v[4:7], v[36:37], v[24:25], v[4:7]
	v_mfma_f32_4x4x4_16b_bf16 v[0:3], v[36:37], v[20:21], v[0:3]
	;; [unrolled: 1-line block ×14, first 2 shown]
	s_cbranch_scc1 .LBB192_42
.LBB192_24:                             ;   Parent Loop BB192_19 Depth=1
                                        ; =>  This Inner Loop Header: Depth=2
	v_add_u32_e32 v62, s34, v64
	v_min_u32_e32 v52, s33, v62
	v_lshl_add_u64 v[16:17], v[52:53], 1, s[20:21]
	v_add_u32_e32 v60, 0x100, v62
	v_lshl_add_u64 v[18:19], v[16:17], 0, v[56:57]
	v_lshl_add_u64 v[16:17], v[16:17], 0, v[58:59]
	v_min_u32_e32 v52, s33, v60
	global_load_dwordx4 v[24:27], v[18:19], off nt
	global_load_dwordx4 v[20:23], v[16:17], off nt
	v_lshl_add_u64 v[16:17], v[52:53], 1, s[20:21]
	v_lshl_add_u64 v[32:33], v[16:17], 0, v[56:57]
	;; [unrolled: 1-line block ×3, first 2 shown]
	global_load_dwordx4 v[28:31], v[32:33], off nt
	global_load_dwordx4 v[16:19], v[34:35], off nt
	s_mov_b32 s5, s4
	v_cmp_gt_u32_e32 vcc, s8, v62
	v_mov_b64_e32 v[32:33], s[4:5]
	v_mov_b32_e32 v45, 0
	v_mov_b32_e32 v44, 0
	;; [unrolled: 1-line block ×4, first 2 shown]
	v_mov_b64_e32 v[34:35], s[4:5]
	v_mov_b64_e32 v[40:41], s[4:5]
	v_mov_b64_e32 v[42:43], s[4:5]
	v_mov_b64_e32 v[36:37], s[4:5]
	v_mov_b64_e32 v[38:39], s[4:5]
	s_and_saveexec_b64 s[6:7], vcc
	s_cbranch_execz .LBB192_23
; %bb.25:                               ;   in Loop: Header=BB192_24 Depth=2
	v_cmp_lt_u32_e32 vcc, s39, v62
                                        ; implicit-def: $vgpr32_vgpr33
	s_and_saveexec_b64 s[28:29], vcc
	s_xor_b64 s[28:29], exec, s[28:29]
	s_cbranch_execz .LBB192_27
; %bb.26:                               ;   in Loop: Header=BB192_24 Depth=2
	v_mov_b32_e32 v63, v53
	v_lshl_add_u64 v[32:33], v[62:63], 1, s[16:17]
	global_load_dwordx4 v[32:35], v[32:33], off
.LBB192_27:                             ;   in Loop: Header=BB192_24 Depth=2
	s_andn2_saveexec_b64 s[28:29], s[28:29]
	s_cbranch_execz .LBB192_29
; %bb.28:                               ;   in Loop: Header=BB192_24 Depth=2
	s_waitcnt vmcnt(0)
	v_lshlrev_b32_e32 v32, 1, v62
	ds_read_b128 v[32:35], v32
.LBB192_29:                             ;   in Loop: Header=BB192_24 Depth=2
	s_or_b64 exec, exec, s[28:29]
	v_add_u32_e32 v52, s10, v62
	v_cmp_lt_u32_e32 vcc, s39, v52
                                        ; implicit-def: $vgpr36_vgpr37
	s_and_saveexec_b64 s[28:29], vcc
	s_xor_b64 s[28:29], exec, s[28:29]
	s_cbranch_execz .LBB192_31
; %bb.30:                               ;   in Loop: Header=BB192_24 Depth=2
	v_lshl_add_u64 v[36:37], v[52:53], 1, s[16:17]
	global_load_dwordx4 v[36:39], v[36:37], off
.LBB192_31:                             ;   in Loop: Header=BB192_24 Depth=2
	s_andn2_saveexec_b64 s[28:29], s[28:29]
	s_cbranch_execz .LBB192_33
; %bb.32:                               ;   in Loop: Header=BB192_24 Depth=2
	s_waitcnt vmcnt(0)
	v_lshlrev_b32_e32 v36, 1, v52
	ds_read_b128 v[36:39], v36
.LBB192_33:                             ;   in Loop: Header=BB192_24 Depth=2
	s_or_b64 exec, exec, s[28:29]
	s_mov_b32 s27, s26
	v_cmp_gt_u32_e32 vcc, s8, v60
	v_mov_b32_e32 v45, 0
	v_mov_b64_e32 v[40:41], s[26:27]
	v_mov_b32_e32 v44, 0
	v_mov_b32_e32 v47, 0
	;; [unrolled: 1-line block ×3, first 2 shown]
	v_mov_b64_e32 v[42:43], s[26:27]
	s_and_saveexec_b64 s[28:29], vcc
	s_cbranch_execz .LBB192_22
; %bb.34:                               ;   in Loop: Header=BB192_24 Depth=2
	v_cmp_lt_u32_e32 vcc, s39, v60
                                        ; implicit-def: $vgpr40_vgpr41
	s_and_saveexec_b64 s[30:31], vcc
	s_xor_b64 s[30:31], exec, s[30:31]
	s_cbranch_execz .LBB192_36
; %bb.35:                               ;   in Loop: Header=BB192_24 Depth=2
	v_mov_b32_e32 v61, v53
	v_lshl_add_u64 v[40:41], v[60:61], 1, s[16:17]
	global_load_dwordx4 v[40:43], v[40:41], off
                                        ; implicit-def: $vgpr62
.LBB192_36:                             ;   in Loop: Header=BB192_24 Depth=2
	s_andn2_saveexec_b64 s[30:31], s[30:31]
	s_cbranch_execz .LBB192_38
; %bb.37:                               ;   in Loop: Header=BB192_24 Depth=2
	s_waitcnt vmcnt(0)
	v_lshlrev_b32_e32 v40, 1, v62
	ds_read_b128 v[40:43], v40 offset:512
.LBB192_38:                             ;   in Loop: Header=BB192_24 Depth=2
	s_or_b64 exec, exec, s[30:31]
	v_add_u32_e32 v44, s10, v60
	v_cmp_lt_u32_e32 vcc, s39, v44
                                        ; implicit-def: $vgpr45
	s_and_saveexec_b64 s[30:31], vcc
	s_xor_b64 s[30:31], exec, s[30:31]
	s_cbranch_execz .LBB192_40
; %bb.39:                               ;   in Loop: Header=BB192_24 Depth=2
	v_mov_b32_e32 v45, v53
	v_lshl_add_u64 v[44:45], v[44:45], 1, s[16:17]
	global_load_dwordx4 v[44:47], v[44:45], off
.LBB192_40:                             ;   in Loop: Header=BB192_24 Depth=2
	s_andn2_saveexec_b64 s[30:31], s[30:31]
	s_cbranch_execz .LBB192_21
; %bb.41:                               ;   in Loop: Header=BB192_24 Depth=2
	s_waitcnt vmcnt(0)
	v_lshlrev_b32_e32 v44, 1, v52
	ds_read_b128 v[44:47], v44 offset:512
	s_branch .LBB192_21
.LBB192_42:                             ;   in Loop: Header=BB192_19 Depth=1
	s_nop 0
	v_cvt_i32_f32_e32 v13, v13
	v_cvt_i32_f32_e32 v14, v14
	;; [unrolled: 1-line block ×4, first 2 shown]
	v_cvt_f32_i32_dpp v13, v13 row_shl:1 row_mask:0xf bank_mask:0xf bound_ctrl:1
	v_cvt_f32_i32_dpp v14, v14 row_shl:2 row_mask:0xf bank_mask:0xf bound_ctrl:1
	v_cvt_i32_f32_e32 v10, v10
	v_cvt_f32_i32_dpp v15, v15 row_shl:3 row_mask:0xf bank_mask:0xf bound_ctrl:1
	v_cvt_i32_f32_e32 v11, v11
	v_cvt_i32_f32_e32 v5, v5
	v_add_f32_e32 v12, v12, v13
	v_cvt_f32_i32_dpp v9, v9 row_shl:1 row_mask:0xf bank_mask:0xf bound_ctrl:1
	v_cvt_i32_f32_e32 v1, v1
	v_add_f32_e32 v12, v12, v14
	v_cvt_f32_i32_dpp v10, v10 row_shl:2 row_mask:0xf bank_mask:0xf bound_ctrl:1
	v_cvt_i32_f32_e32 v6, v6
	v_cvt_i32_f32_e32 v2, v2
	v_add_f32_e32 v12, v12, v15
	v_cvt_f32_i32_dpp v11, v11 row_shl:3 row_mask:0xf bank_mask:0xf bound_ctrl:1
	v_cvt_f32_i32_dpp v5, v5 row_shl:1 row_mask:0xf bank_mask:0xf bound_ctrl:1
	v_cvt_i32_f32_e32 v7, v7
	v_cvt_i32_f32_e32 v3, v3
	;; [unrolled: 1-line block ×3, first 2 shown]
	v_add_f32_e32 v8, v8, v9
	v_cvt_f32_i32_dpp v1, v1 row_shl:1 row_mask:0xf bank_mask:0xf bound_ctrl:1
	v_add_f32_e32 v8, v8, v10
	v_cvt_f32_i32_dpp v6, v6 row_shl:2 row_mask:0xf bank_mask:0xf bound_ctrl:1
	v_cvt_f32_i32_dpp v2, v2 row_shl:2 row_mask:0xf bank_mask:0xf bound_ctrl:1
	v_add_f32_e32 v8, v8, v11
	v_add_f32_e32 v4, v4, v5
	v_cvt_f32_i32_dpp v5, v7 row_shl:3 row_mask:0xf bank_mask:0xf bound_ctrl:1
	v_cvt_f32_i32_dpp v3, v3 row_shl:3 row_mask:0xf bank_mask:0xf bound_ctrl:1
	;; [unrolled: 1-line block ×3, first 2 shown]
	v_cvt_i32_f32_e32 v10, v8
	v_add_f32_e32 v0, v0, v1
	v_add_f32_e32 v4, v4, v6
	v_add_f32_e32 v0, v0, v2
	v_add_f32_e32 v4, v4, v5
	v_add_f32_e32 v0, v0, v3
	v_add_f32_e32 v9, v12, v13
	v_cvt_f32_i32_dpp v10, v10 row_shl:4 row_mask:0xf bank_mask:0xf bound_ctrl:1
	v_cvt_i32_f32_e32 v5, v4
	v_cvt_i32_f32_e32 v1, v0
	;; [unrolled: 1-line block ×3, first 2 shown]
	v_add_f32_e32 v8, v8, v10
	v_cvt_f32_i32_dpp v3, v5 row_shl:4 row_mask:0xf bank_mask:0xf bound_ctrl:1
	v_cvt_f32_i32_dpp v1, v1 row_shl:4 row_mask:0xf bank_mask:0xf bound_ctrl:1
	;; [unrolled: 1-line block ×3, first 2 shown]
	v_cvt_i32_f32_e32 v10, v8
	v_add_f32_e32 v3, v4, v3
	v_add_f32_e32 v0, v0, v1
	;; [unrolled: 1-line block ×3, first 2 shown]
	v_cvt_f32_i32_dpp v2, v10 row_shl:8 row_mask:0xf bank_mask:0xf bound_ctrl:1
	v_cvt_i32_f32_e32 v4, v3
	v_cvt_i32_f32_e32 v1, v0
	v_cvt_i32_f32_e32 v9, v9
	v_add_f32_e32 v2, v8, v2
	v_cvt_f32_i32_dpp v4, v4 row_shl:8 row_mask:0xf bank_mask:0xf bound_ctrl:1
	v_cvt_f32_i32_dpp v1, v1 row_shl:8 row_mask:0xf bank_mask:0xf bound_ctrl:1
	v_cvt_f32_i32_dpp v5, v9 row_shr:15 row_mask:0xf bank_mask:0xf bound_ctrl:1
	v_cvt_i32_f32_e32 v2, v2
	v_add_f32_e32 v3, v3, v4
	v_add_f32_e32 v0, v0, v1
	v_cvt_i32_f32_e32 v6, v5
	v_cvt_f32_i32_dpp v2, v2 row_shr:15 row_mask:0xf bank_mask:0xf bound_ctrl:1
	v_cvt_i32_f32_e32 v3, v3
	v_cvt_i32_f32_e32 v0, v0
	v_cvt_f32_i32_dpp v1, v6 row_bcast:15 row_mask:0xf bank_mask:0xf bound_ctrl:1
	v_cvt_i32_f32_e32 v4, v2
	v_cvt_f32_i32_dpp v3, v3 row_shr:15 row_mask:0xf bank_mask:0xf bound_ctrl:1
	v_cvt_f32_i32_dpp v0, v0 row_shr:15 row_mask:0xf bank_mask:0xf bound_ctrl:1
	v_add_f32_e32 v8, v5, v1
	v_cvt_f32_i32_dpp v4, v4 row_bcast:15 row_mask:0xf bank_mask:0xf bound_ctrl:1
	v_cvt_i32_f32_e32 v1, v3
	v_cvt_i32_f32_e32 v6, v0
	;; [unrolled: 1-line block ×3, first 2 shown]
	v_add_f32_e32 v5, v2, v4
	v_cvt_f32_i32_dpp v1, v1 row_bcast:15 row_mask:0xf bank_mask:0xf bound_ctrl:1
	v_cvt_f32_i32_dpp v4, v6 row_bcast:15 row_mask:0xf bank_mask:0xf bound_ctrl:1
	v_cvt_i32_f32_e32 v6, v5
	v_mov_b32_dpp v9, v7 row_bcast:31 row_mask:0xf bank_mask:0xf bound_ctrl:1
	v_add_f32_e32 v2, v3, v1
	v_add_f32_e32 v0, v0, v4
	v_cvt_i32_f32_e32 v1, v2
	v_cvt_i32_f32_e32 v3, v0
	v_mov_b32_dpp v6, v6 row_bcast:31 row_mask:0xf bank_mask:0xf bound_ctrl:1
	v_mov_b32_dpp v4, v1 row_bcast:31 row_mask:0xf bank_mask:0xf bound_ctrl:1
	;; [unrolled: 1-line block ×3, first 2 shown]
	s_and_saveexec_b64 s[28:29], s[0:1]
	s_cbranch_execz .LBB192_69
; %bb.43:                               ;   in Loop: Header=BB192_19 Depth=1
	s_andn2_b64 vcc, exec, s[24:25]
	v_mov_b32_e32 v3, 0
	v_mov_b32_e32 v7, 0
	;; [unrolled: 1-line block ×4, first 2 shown]
	s_cbranch_vccnz .LBB192_45
; %bb.44:                               ;   in Loop: Header=BB192_19 Depth=1
	v_mul_hi_u32 v3, v50, v65
	v_mul_lo_u32 v3, v3, s18
	v_sub_u32_e32 v3, v50, v3
	v_subrev_u32_e32 v7, s18, v3
	v_cmp_le_u32_e32 vcc, s18, v3
	v_mov_b32_e32 v11, v53
	s_nop 0
	v_cndmask_b32_e32 v3, v3, v7, vcc
	v_subrev_u32_e32 v7, s18, v3
	v_cmp_le_u32_e32 vcc, s18, v3
	s_nop 1
	v_cndmask_b32_e32 v52, v3, v7, vcc
	v_mul_hi_u32 v3, v54, v65
	v_mul_lo_u32 v3, v3, s18
	v_sub_u32_e32 v3, v54, v3
	v_subrev_u32_e32 v7, s18, v3
	v_cmp_le_u32_e32 vcc, s18, v3
	v_lshl_add_u64 v[12:13], v[52:53], 1, s[12:13]
	v_add_u32_e32 v52, s19, v52
	v_cndmask_b32_e32 v3, v3, v7, vcc
	v_subrev_u32_e32 v7, s18, v3
	v_cmp_le_u32_e32 vcc, s18, v3
	v_lshl_add_u64 v[16:17], v[52:53], 1, s[12:13]
	s_nop 0
	v_cndmask_b32_e32 v10, v3, v7, vcc
	v_add_u32_e32 v52, s19, v10
	v_lshl_add_u64 v[14:15], v[10:11], 1, s[12:13]
	v_lshl_add_u64 v[18:19], v[52:53], 1, s[12:13]
	global_load_ushort v11, v[12:13], off
	global_load_ushort v10, v[14:15], off
	;; [unrolled: 1-line block ×4, first 2 shown]
.LBB192_45:                             ;   in Loop: Header=BB192_19 Depth=1
	v_cmp_ne_u32_e32 vcc, 0, v48
	s_and_saveexec_b64 s[6:7], vcc
	s_cbranch_execnz .LBB192_49
; %bb.46:                               ;   in Loop: Header=BB192_19 Depth=1
	s_or_b64 exec, exec, s[6:7]
	v_cmp_ne_u32_e64 s[4:5], 0, v49
	s_and_saveexec_b64 s[30:31], s[4:5]
	s_cbranch_execnz .LBB192_54
.LBB192_47:                             ;   in Loop: Header=BB192_19 Depth=1
	s_or_b64 exec, exec, s[30:31]
	v_add_u32_e32 v52, s11, v50
	s_and_saveexec_b64 s[6:7], vcc
	s_cbranch_execnz .LBB192_59
.LBB192_48:                             ;   in Loop: Header=BB192_19 Depth=1
	s_or_b64 exec, exec, s[6:7]
	s_and_b64 exec, exec, s[4:5]
	s_cbranch_execnz .LBB192_64
	s_branch .LBB192_69
.LBB192_49:                             ;   in Loop: Header=BB192_19 Depth=1
	v_cvt_f32_i32_e32 v9, v9
	v_add_f32_e32 v8, v8, v9
	s_waitcnt vmcnt(3)
	v_lshlrev_b32_e32 v9, 16, v11
	v_add_f32_e32 v9, v8, v9
	v_and_b32_e32 v8, 0x7f800000, v9
	v_cmp_ne_u32_e64 s[4:5], s40, v8
                                        ; implicit-def: $vgpr8
	s_and_saveexec_b64 s[30:31], s[4:5]
	s_xor_b64 s[4:5], exec, s[30:31]
; %bb.50:                               ;   in Loop: Header=BB192_19 Depth=1
	v_bfe_u32 v8, v9, 16, 1
	v_add3_u32 v8, v9, v8, s39
                                        ; implicit-def: $vgpr9
; %bb.51:                               ;   in Loop: Header=BB192_19 Depth=1
	s_andn2_saveexec_b64 s[30:31], s[4:5]
; %bb.52:                               ;   in Loop: Header=BB192_19 Depth=1
	v_or_b32_e32 v8, 0x10000, v9
	v_cmp_eq_u32_sdwa s[4:5], v9, v53 src0_sel:WORD_0 src1_sel:DWORD
	s_nop 1
	v_cndmask_b32_e64 v8, v8, v9, s[4:5]
; %bb.53:                               ;   in Loop: Header=BB192_19 Depth=1
	s_or_b64 exec, exec, s[30:31]
	v_mov_b32_e32 v51, v53
	v_lshl_add_u64 v[12:13], v[50:51], 1, s[14:15]
	global_store_short_d16_hi v[12:13], v8, off
	s_or_b64 exec, exec, s[6:7]
	v_cmp_ne_u32_e64 s[4:5], 0, v49
	s_and_saveexec_b64 s[30:31], s[4:5]
	s_cbranch_execz .LBB192_47
.LBB192_54:                             ;   in Loop: Header=BB192_19 Depth=1
	v_cvt_f32_i32_e32 v6, v6
	v_add_f32_e32 v5, v5, v6
	s_waitcnt vmcnt(2)
	v_lshlrev_b32_e32 v6, 16, v10
	v_add_f32_e32 v6, v5, v6
	v_and_b32_e32 v5, 0x7f800000, v6
	v_cmp_ne_u32_e64 s[6:7], s40, v5
                                        ; implicit-def: $vgpr5
	s_and_saveexec_b64 s[34:35], s[6:7]
	s_xor_b64 s[6:7], exec, s[34:35]
; %bb.55:                               ;   in Loop: Header=BB192_19 Depth=1
	v_bfe_u32 v5, v6, 16, 1
	v_add3_u32 v5, v6, v5, s39
                                        ; implicit-def: $vgpr6
; %bb.56:                               ;   in Loop: Header=BB192_19 Depth=1
	s_andn2_saveexec_b64 s[34:35], s[6:7]
; %bb.57:                               ;   in Loop: Header=BB192_19 Depth=1
	v_or_b32_e32 v5, 0x10000, v6
	v_cmp_eq_u32_sdwa s[6:7], v6, v53 src0_sel:WORD_0 src1_sel:DWORD
	s_nop 1
	v_cndmask_b32_e64 v5, v5, v6, s[6:7]
; %bb.58:                               ;   in Loop: Header=BB192_19 Depth=1
	s_or_b64 exec, exec, s[34:35]
	v_mov_b32_e32 v55, v53
	v_lshl_add_u64 v[8:9], v[54:55], 1, s[14:15]
	global_store_short_d16_hi v[8:9], v5, off
	s_or_b64 exec, exec, s[30:31]
	v_add_u32_e32 v52, s11, v50
	s_and_saveexec_b64 s[6:7], vcc
	s_cbranch_execz .LBB192_48
.LBB192_59:                             ;   in Loop: Header=BB192_19 Depth=1
	v_cvt_f32_i32_e32 v4, v4
	v_add_f32_e32 v2, v2, v4
	s_waitcnt vmcnt(1)
	v_lshlrev_b32_e32 v4, 16, v7
	v_add_f32_e32 v4, v2, v4
	v_and_b32_e32 v2, 0x7f800000, v4
	v_cmp_ne_u32_e32 vcc, s40, v2
                                        ; implicit-def: $vgpr2
	s_and_saveexec_b64 s[30:31], vcc
	s_xor_b64 s[30:31], exec, s[30:31]
; %bb.60:                               ;   in Loop: Header=BB192_19 Depth=1
	v_bfe_u32 v2, v4, 16, 1
	v_add3_u32 v2, v4, v2, s39
                                        ; implicit-def: $vgpr4
; %bb.61:                               ;   in Loop: Header=BB192_19 Depth=1
	s_andn2_saveexec_b64 s[30:31], s[30:31]
; %bb.62:                               ;   in Loop: Header=BB192_19 Depth=1
	v_or_b32_e32 v2, 0x10000, v4
	v_cmp_eq_u32_sdwa vcc, v4, v53 src0_sel:WORD_0 src1_sel:DWORD
	s_nop 1
	v_cndmask_b32_e32 v2, v2, v4, vcc
; %bb.63:                               ;   in Loop: Header=BB192_19 Depth=1
	s_or_b64 exec, exec, s[30:31]
	v_lshl_add_u64 v[4:5], v[52:53], 1, s[14:15]
	global_store_short_d16_hi v[4:5], v2, off
	s_or_b64 exec, exec, s[6:7]
	s_and_b64 exec, exec, s[4:5]
	s_cbranch_execz .LBB192_69
.LBB192_64:                             ;   in Loop: Header=BB192_19 Depth=1
	v_cvt_f32_i32_e32 v1, v1
	v_add_f32_e32 v0, v0, v1
	s_waitcnt vmcnt(0)
	v_lshlrev_b32_e32 v1, 16, v3
	v_add_f32_e32 v1, v0, v1
	v_and_b32_e32 v0, 0x7f800000, v1
	v_cmp_ne_u32_e32 vcc, s40, v0
                                        ; implicit-def: $vgpr0
	s_and_saveexec_b64 s[4:5], vcc
	s_xor_b64 s[4:5], exec, s[4:5]
; %bb.65:                               ;   in Loop: Header=BB192_19 Depth=1
	v_bfe_u32 v0, v1, 16, 1
	v_add3_u32 v0, v1, v0, s39
                                        ; implicit-def: $vgpr1
; %bb.66:                               ;   in Loop: Header=BB192_19 Depth=1
	s_andn2_saveexec_b64 s[4:5], s[4:5]
; %bb.67:                               ;   in Loop: Header=BB192_19 Depth=1
	v_or_b32_e32 v0, 0x10000, v1
	v_cmp_eq_u32_sdwa vcc, v1, v53 src0_sel:WORD_0 src1_sel:DWORD
	s_nop 1
	v_cndmask_b32_e32 v0, v0, v1, vcc
; %bb.68:                               ;   in Loop: Header=BB192_19 Depth=1
	s_or_b64 exec, exec, s[4:5]
	v_add_u32_e32 v52, 1, v52
	v_lshl_add_u64 v[2:3], v[52:53], 1, s[14:15]
	global_store_short_d16_hi v[2:3], v0, off
.LBB192_69:                             ;   in Loop: Header=BB192_19 Depth=1
	s_or_b64 exec, exec, s[28:29]
	v_add_u32_e32 v50, s37, v50
	v_add_u32_e32 v0, 2, v50
	v_cmp_gt_u32_e32 vcc, s11, v50
	v_cmp_le_u32_e64 s[4:5], s11, v0
	s_and_b64 s[4:5], vcc, s[4:5]
	s_and_saveexec_b64 s[6:7], s[4:5]
	s_cbranch_execz .LBB192_18
; %bb.70:                               ;   in Loop: Header=BB192_19 Depth=1
	v_cmp_ne_u32_e32 vcc, s38, v50
	s_and_saveexec_b64 s[28:29], vcc
	s_cbranch_execz .LBB192_17
; %bb.71:                               ;   in Loop: Header=BB192_19 Depth=1
	v_subrev_u32_e32 v0, s38, v50
	v_cmp_lt_u32_e32 vcc, 1, v0
	s_mov_b64 s[30:31], 0
	s_mov_b64 s[34:35], 0
	v_cndmask_b32_e32 v0, 1, v0, vcc
.LBB192_72:                             ;   Parent Loop BB192_19 Depth=1
                                        ; =>  This Inner Loop Header: Depth=2
	s_cmp_lg_u32 s34, 1
	s_cselect_b64 vcc, -1, 0
	s_cmp_lg_u32 s34, 0
	v_cndmask_b32_e32 v49, 0, v49, vcc
	s_cselect_b64 vcc, -1, 0
	s_add_u32 s34, s34, 1
	s_addc_u32 s35, s35, 0
	v_cmp_eq_u32_e64 s[4:5], s34, v0
	s_or_b64 s[30:31], s[4:5], s[30:31]
	v_cndmask_b32_e32 v48, 0, v48, vcc
	s_andn2_b64 exec, exec, s[30:31]
	s_cbranch_execnz .LBB192_72
; %bb.73:                               ;   in Loop: Header=BB192_19 Depth=1
	s_or_b64 exec, exec, s[30:31]
	s_branch .LBB192_17
.LBB192_74:
	s_endpgm
	.section	.rodata,"a",@progbits
	.p2align	6, 0x0
	.amdhsa_kernel _Z12wvSplitK_hf_I14__hip_bfloat16Li32ELi2ELi16ELi8ELi2ELi2EEviiiiiiPKT_S3_S3_PS1_ii
		.amdhsa_group_segment_fixed_size 65536
		.amdhsa_private_segment_fixed_size 0
		.amdhsa_kernarg_size 64
		.amdhsa_user_sgpr_count 2
		.amdhsa_user_sgpr_dispatch_ptr 0
		.amdhsa_user_sgpr_queue_ptr 0
		.amdhsa_user_sgpr_kernarg_segment_ptr 1
		.amdhsa_user_sgpr_dispatch_id 0
		.amdhsa_user_sgpr_kernarg_preload_length 0
		.amdhsa_user_sgpr_kernarg_preload_offset 0
		.amdhsa_user_sgpr_private_segment_size 0
		.amdhsa_uses_dynamic_stack 0
		.amdhsa_enable_private_segment 0
		.amdhsa_system_sgpr_workgroup_id_x 1
		.amdhsa_system_sgpr_workgroup_id_y 0
		.amdhsa_system_sgpr_workgroup_id_z 0
		.amdhsa_system_sgpr_workgroup_info 0
		.amdhsa_system_vgpr_workitem_id 1
		.amdhsa_next_free_vgpr 66
		.amdhsa_next_free_sgpr 41
		.amdhsa_accum_offset 68
		.amdhsa_reserve_vcc 1
		.amdhsa_float_round_mode_32 0
		.amdhsa_float_round_mode_16_64 0
		.amdhsa_float_denorm_mode_32 3
		.amdhsa_float_denorm_mode_16_64 3
		.amdhsa_dx10_clamp 1
		.amdhsa_ieee_mode 1
		.amdhsa_fp16_overflow 0
		.amdhsa_tg_split 0
		.amdhsa_exception_fp_ieee_invalid_op 0
		.amdhsa_exception_fp_denorm_src 0
		.amdhsa_exception_fp_ieee_div_zero 0
		.amdhsa_exception_fp_ieee_overflow 0
		.amdhsa_exception_fp_ieee_underflow 0
		.amdhsa_exception_fp_ieee_inexact 0
		.amdhsa_exception_int_div_zero 0
	.end_amdhsa_kernel
	.section	.text._Z12wvSplitK_hf_I14__hip_bfloat16Li32ELi2ELi16ELi8ELi2ELi2EEviiiiiiPKT_S3_S3_PS1_ii,"axG",@progbits,_Z12wvSplitK_hf_I14__hip_bfloat16Li32ELi2ELi16ELi8ELi2ELi2EEviiiiiiPKT_S3_S3_PS1_ii,comdat
.Lfunc_end192:
	.size	_Z12wvSplitK_hf_I14__hip_bfloat16Li32ELi2ELi16ELi8ELi2ELi2EEviiiiiiPKT_S3_S3_PS1_ii, .Lfunc_end192-_Z12wvSplitK_hf_I14__hip_bfloat16Li32ELi2ELi16ELi8ELi2ELi2EEviiiiiiPKT_S3_S3_PS1_ii
                                        ; -- End function
	.section	.AMDGPU.csdata,"",@progbits
; Kernel info:
; codeLenInByte = 3144
; NumSgprs: 47
; NumVgprs: 66
; NumAgprs: 0
; TotalNumVgprs: 66
; ScratchSize: 0
; MemoryBound: 1
; FloatMode: 240
; IeeeMode: 1
; LDSByteSize: 65536 bytes/workgroup (compile time only)
; SGPRBlocks: 5
; VGPRBlocks: 8
; NumSGPRsForWavesPerEU: 47
; NumVGPRsForWavesPerEU: 66
; AccumOffset: 68
; Occupancy: 2
; WaveLimiterHint : 0
; COMPUTE_PGM_RSRC2:SCRATCH_EN: 0
; COMPUTE_PGM_RSRC2:USER_SGPR: 2
; COMPUTE_PGM_RSRC2:TRAP_HANDLER: 0
; COMPUTE_PGM_RSRC2:TGID_X_EN: 1
; COMPUTE_PGM_RSRC2:TGID_Y_EN: 0
; COMPUTE_PGM_RSRC2:TGID_Z_EN: 0
; COMPUTE_PGM_RSRC2:TIDIG_COMP_CNT: 1
; COMPUTE_PGM_RSRC3_GFX90A:ACCUM_OFFSET: 16
; COMPUTE_PGM_RSRC3_GFX90A:TG_SPLIT: 0
	.section	.text._Z16wvSplitK_hf_big_I14__hip_bfloat16Li32ELi2ELi16ELi8ELi2ELi2EEviiiiiiPKT_S3_S3_PS1_ii,"axG",@progbits,_Z16wvSplitK_hf_big_I14__hip_bfloat16Li32ELi2ELi16ELi8ELi2ELi2EEviiiiiiPKT_S3_S3_PS1_ii,comdat
	.protected	_Z16wvSplitK_hf_big_I14__hip_bfloat16Li32ELi2ELi16ELi8ELi2ELi2EEviiiiiiPKT_S3_S3_PS1_ii ; -- Begin function _Z16wvSplitK_hf_big_I14__hip_bfloat16Li32ELi2ELi16ELi8ELi2ELi2EEviiiiiiPKT_S3_S3_PS1_ii
	.globl	_Z16wvSplitK_hf_big_I14__hip_bfloat16Li32ELi2ELi16ELi8ELi2ELi2EEviiiiiiPKT_S3_S3_PS1_ii
	.p2align	8
	.type	_Z16wvSplitK_hf_big_I14__hip_bfloat16Li32ELi2ELi16ELi8ELi2ELi2EEviiiiiiPKT_S3_S3_PS1_ii,@function
_Z16wvSplitK_hf_big_I14__hip_bfloat16Li32ELi2ELi16ELi8ELi2ELi2EEviiiiiiPKT_S3_S3_PS1_ii: ; @_Z16wvSplitK_hf_big_I14__hip_bfloat16Li32ELi2ELi16ELi8ELi2ELi2EEviiiiiiPKT_S3_S3_PS1_ii
; %bb.0:
	s_load_dwordx2 s[4:5], s[0:1], 0x38
	v_bfe_u32 v1, v0, 10, 10
	s_waitcnt lgkmcnt(0)
	v_cmp_gt_u32_e32 vcc, s4, v1
	s_and_saveexec_b64 s[6:7], vcc
	s_cbranch_execz .LBB193_64
; %bb.1:
	s_load_dwordx4 s[20:23], s[0:1], 0x0
	s_mul_i32 s2, s2, s4
	v_add_lshl_u32 v50, s2, v1, 1
	s_mov_b32 s6, 1
	v_add_u32_e32 v2, 2, v50
	s_waitcnt lgkmcnt(0)
	v_cmp_gt_u32_e32 vcc, s23, v50
	v_cmp_le_u32_e64 s[2:3], s23, v2
	s_mov_b32 s7, s6
	s_and_b64 s[8:9], vcc, s[2:3]
	v_mov_b64_e32 v[48:49], s[6:7]
	s_and_saveexec_b64 s[2:3], s[8:9]
	s_cbranch_execz .LBB193_7
; %bb.2:
	s_add_i32 s14, s23, -2
	v_cmp_ne_u32_e32 vcc, s14, v50
	v_mov_b64_e32 v[48:49], s[6:7]
	s_and_saveexec_b64 s[6:7], vcc
	s_cbranch_execz .LBB193_6
; %bb.3:
	v_subrev_u32_e32 v2, s14, v50
	s_mov_b32 s8, 1
	v_cmp_lt_u32_e32 vcc, 1, v2
	s_mov_b64 s[10:11], 0
	s_mov_b64 s[12:13], 0
	v_cndmask_b32_e32 v2, 1, v2, vcc
	s_mov_b32 s9, s8
.LBB193_4:                              ; =>This Inner Loop Header: Depth=1
	s_cmp_lg_u32 s12, 1
	s_cselect_b32 s9, s9, 0
	s_cmp_lg_u32 s12, 0
	s_cselect_b32 s8, s8, 0
	s_add_u32 s12, s12, 1
	s_addc_u32 s13, s13, 0
	v_cmp_eq_u32_e32 vcc, s12, v2
	s_or_b64 s[10:11], vcc, s[10:11]
	v_mov_b64_e32 v[48:49], s[8:9]
	s_andn2_b64 exec, exec, s[10:11]
	s_cbranch_execnz .LBB193_4
; %bb.5:
	s_or_b64 exec, exec, s[10:11]
	v_mov_b32_e32 v50, s14
.LBB193_6:
	s_or_b64 exec, exec, s[6:7]
.LBB193_7:
	s_or_b64 exec, exec, s[2:3]
	s_lshl_b32 s2, s4, 1
	s_abs_i32 s3, s2
	v_cvt_f32_u32_e32 v2, s3
	s_sub_i32 s8, 0, s3
	s_abs_i32 s7, s23
	s_ashr_i32 s6, s23, 31
	v_rcp_iflag_f32_e32 v2, v2
	s_nop 0
	v_mul_f32_e32 v2, 0x4f7ffffe, v2
	v_cvt_u32_f32_e32 v2, v2
	s_nop 0
	v_readfirstlane_b32 s9, v2
	s_mul_i32 s8, s8, s9
	s_mul_hi_u32 s8, s9, s8
	s_add_i32 s9, s9, s8
	s_mul_hi_u32 s8, s7, s9
	s_mul_i32 s8, s8, s3
	s_sub_i32 s7, s7, s8
	s_sub_i32 s8, s7, s3
	s_cmp_ge_u32 s7, s3
	s_cselect_b32 s7, s8, s7
	s_sub_i32 s8, s7, s3
	s_cmp_ge_u32 s7, s3
	s_cselect_b32 s3, s8, s7
	s_xor_b32 s3, s3, s6
	s_sub_i32 s3, s3, s6
	s_add_i32 s2, s2, s23
	s_sub_i32 s2, s2, s3
	s_cmp_eq_u32 s3, 0
	s_cselect_b32 s33, s23, s2
	v_cmp_gt_u32_e32 vcc, s33, v50
	s_and_b64 exec, exec, vcc
	s_cbranch_execz .LBB193_64
; %bb.8:
	s_load_dwordx8 s[12:19], s[0:1], 0x10
	s_min_u32 s40, s22, 0x4000
	s_cmp_lg_u32 s20, 0
	s_load_dwordx2 s[24:25], s[0:1], 0x30
	s_cselect_b64 s[2:3], -1, 0
	s_waitcnt lgkmcnt(0)
	v_cvt_f32_u32_e32 v2, s12
	s_cmp_lg_u32 s22, 0
	s_mul_i32 s0, s5, s4
	s_cselect_b64 s[6:7], -1, 0
	v_rcp_iflag_f32_e32 v2, v2
	s_lshl_b32 s41, s4, 8
	s_add_i32 s42, s20, -8
	s_add_i32 s43, s23, -1
	v_mul_f32_e32 v2, 0x4f7ffffe, v2
	v_cvt_u32_f32_e32 v2, v2
	s_lshl_b32 s44, s0, 1
	s_cmp_lg_u64 s[18:19], 0
	s_cselect_b64 s[8:9], -1, 0
	s_sub_i32 s5, 0, s12
	v_mul_lo_u32 v3, s5, v2
	s_abs_i32 s5, s13
	s_add_i32 s45, s23, -2
	s_sub_i32 s10, 1, s5
	s_cmp_lt_u32 s5, 2
	v_and_b32_e32 v0, 0x3ff, v0
	s_cselect_b32 s10, s10, 1
	v_lshlrev_b32_e32 v58, 3, v0
	v_cmp_eq_u32_e64 s[0:1], 31, v0
	s_sub_i32 s11, s10, s5
	v_lshlrev_b32_e32 v0, 4, v0
	s_cmp_ge_u32 s10, s5
	v_lshl_add_u32 v60, v1, 9, v0
	v_cndmask_b32_e64 v0, 0, 1, s[2:3]
	s_cselect_b32 s13, s11, s10
	s_add_u32 s28, s24, 2
	v_cmp_ne_u32_e64 s[2:3], 1, v0
	v_cndmask_b32_e64 v0, 0, 1, s[6:7]
	v_mul_hi_u32 v3, v2, v3
	s_addc_u32 s29, s25, 0
	s_lshl_b32 s47, s4, 9
	v_lshl_add_u32 v61, v1, 8, v58
	v_cmp_ne_u32_e64 s[4:5], 1, v0
	v_cndmask_b32_e64 v0, 0, 1, s[8:9]
	s_mov_b64 s[26:27], 0
	v_add_u32_e32 v59, v2, v3
	v_mov_b32_e32 v53, 0
	s_mul_i32 s13, s13, s12
	s_lshl_b32 s46, s40, 1
	v_add_u32_e32 v62, s22, v61
	s_mov_b32 s48, 0x7f800000
	s_movk_i32 s49, 0x7fff
	v_cmp_ne_u32_e64 s[6:7], 1, v0
	s_branch .LBB193_12
.LBB193_9:                              ;   in Loop: Header=BB193_12 Depth=1
	s_or_b64 exec, exec, s[34:35]
	v_mov_b32_e32 v50, s45
.LBB193_10:                             ;   in Loop: Header=BB193_12 Depth=1
	s_or_b64 exec, exec, s[10:11]
.LBB193_11:                             ;   in Loop: Header=BB193_12 Depth=1
	s_or_b64 exec, exec, s[30:31]
	v_cmp_le_u32_e32 vcc, s33, v50
	s_or_b64 s[26:27], vcc, s[26:27]
	s_andn2_b64 exec, exec, s[26:27]
	s_cbranch_execz .LBB193_64
.LBB193_12:                             ; =>This Loop Header: Depth=1
                                        ;     Child Loop BB193_17 Depth 2
                                        ;       Child Loop BB193_22 Depth 3
                                        ;     Child Loop BB193_62 Depth 2
	s_and_b64 vcc, exec, s[2:3]
	s_waitcnt vmcnt(0)
	v_mov_b32_e32 v3, v53
	v_mov_b32_e32 v2, v53
	;; [unrolled: 1-line block ×16, first 2 shown]
	s_cbranch_vccnz .LBB193_29
; %bb.13:                               ;   in Loop: Header=BB193_12 Depth=1
	v_min_u32_e32 v0, s43, v50
	v_mul_lo_u32 v52, v0, s21
	v_add_u32_e32 v0, 1, v50
	v_min_u32_e32 v0, s43, v0
	v_mul_lo_u32 v0, v0, s21
	v_mov_b32_e32 v1, v53
	v_mov_b32_e32 v12, 0
	v_cmp_gt_u32_e64 s[8:9], s23, v50
	s_mov_b32 s36, 0
	v_lshlrev_b64 v[54:55], 1, v[52:53]
	v_lshlrev_b64 v[56:57], 1, v[0:1]
	s_mov_b32 s37, 0
	v_mov_b32_e32 v13, v12
	v_mov_b32_e32 v14, v12
	;; [unrolled: 1-line block ×15, first 2 shown]
	s_branch .LBB193_17
.LBB193_14:                             ;   in Loop: Header=BB193_17 Depth=2
	s_or_b64 exec, exec, s[34:35]
.LBB193_15:                             ;   in Loop: Header=BB193_17 Depth=2
	s_or_b64 exec, exec, s[30:31]
	s_waitcnt vmcnt(3) lgkmcnt(1)
	v_mfma_f32_4x4x4_16b_bf16 v[12:15], v[44:45], v[28:29], v[12:15]
	s_waitcnt vmcnt(2)
	v_mfma_f32_4x4x4_16b_bf16 v[8:11], v[44:45], v[24:25], v[8:11]
	s_waitcnt lgkmcnt(0)
	v_mfma_f32_4x4x4_16b_bf16 v[4:7], v[40:41], v[28:29], v[4:7]
	v_mfma_f32_4x4x4_16b_bf16 v[0:3], v[40:41], v[24:25], v[0:3]
	;; [unrolled: 1-line block ×6, first 2 shown]
	s_waitcnt vmcnt(1)
	v_mfma_f32_4x4x4_16b_bf16 v[12:15], v[36:37], v[20:21], v[12:15]
	s_waitcnt vmcnt(0)
	v_mfma_f32_4x4x4_16b_bf16 v[8:11], v[36:37], v[16:17], v[8:11]
	v_mfma_f32_4x4x4_16b_bf16 v[4:7], v[32:33], v[20:21], v[4:7]
	;; [unrolled: 1-line block ×7, first 2 shown]
.LBB193_16:                             ;   in Loop: Header=BB193_17 Depth=2
	s_or_b64 exec, exec, s[10:11]
	s_addk_i32 s37, 0x200
	s_cmp_ge_u32 s37, s20
	s_cbranch_scc1 .LBB193_29
.LBB193_17:                             ;   Parent Loop BB193_12 Depth=1
                                        ; =>  This Loop Header: Depth=2
                                        ;       Child Loop BB193_22 Depth 3
	s_cmp_eq_u32 s37, 0
	s_cselect_b64 s[10:11], -1, 0
	s_add_i32 s30, s36, s40
	s_cmp_eq_u32 s37, s30
	s_cselect_b64 s[34:35], -1, 0
	s_or_b64 s[34:35], s[10:11], s[34:35]
	s_andn2_b64 vcc, exec, s[34:35]
	s_cbranch_vccz .LBB193_19
; %bb.18:                               ;   in Loop: Header=BB193_17 Depth=2
	s_and_saveexec_b64 s[10:11], s[8:9]
	s_cbranch_execz .LBB193_16
	s_branch .LBB193_26
.LBB193_19:                             ;   in Loop: Header=BB193_17 Depth=2
	s_and_b64 s[10:11], s[10:11], exec
	s_cselect_b32 s36, s36, s30
	s_and_b64 vcc, exec, s[4:5]
	s_barrier
	s_cbranch_vccnz .LBB193_25
; %bb.20:                               ;   in Loop: Header=BB193_17 Depth=2
	v_add_u32_e32 v16, s36, v62
	v_add_u32_e32 v17, s36, v61
	s_mov_b32 s38, 0
	s_mov_b64 s[30:31], 0
	v_mov_b32_e32 v18, v60
                                        ; implicit-def: $sgpr34_sgpr35
	s_branch .LBB193_22
.LBB193_21:                             ;   in Loop: Header=BB193_22 Depth=3
	s_or_b64 exec, exec, s[10:11]
	s_and_b64 s[10:11], exec, s[34:35]
	s_or_b64 s[30:31], s[10:11], s[30:31]
	s_andn2_b64 exec, exec, s[30:31]
	s_cbranch_execz .LBB193_24
.LBB193_22:                             ;   Parent Loop BB193_12 Depth=1
                                        ;     Parent Loop BB193_17 Depth=2
                                        ; =>    This Inner Loop Header: Depth=3
	v_add_u32_e32 v19, s38, v61
	v_add_u32_e32 v52, s38, v17
	v_cmp_gt_u32_e32 vcc, s22, v52
	v_cmp_gt_u32_e64 s[10:11], s40, v19
	s_and_b64 s[50:51], s[10:11], vcc
	s_or_b64 s[34:35], s[34:35], exec
	s_and_saveexec_b64 s[10:11], s[50:51]
	s_cbranch_execz .LBB193_21
; %bb.23:                               ;   in Loop: Header=BB193_22 Depth=3
	v_lshl_add_u64 v[20:21], v[52:53], 1, s[16:17]
	v_add_u32_e32 v52, s38, v16
	global_load_dwordx4 v[20:23], v[20:21], off
	v_lshl_add_u64 v[24:25], v[52:53], 1, s[16:17]
	global_load_dwordx4 v[24:27], v[24:25], off
	s_add_i32 s38, s38, s41
	s_cmp_ge_u32 s38, s40
	s_cselect_b64 s[50:51], -1, 0
	s_andn2_b64 s[34:35], s[34:35], exec
	s_and_b64 s[50:51], s[50:51], exec
	v_add_u32_e32 v19, s46, v18
	s_or_b64 s[34:35], s[34:35], s[50:51]
	s_waitcnt vmcnt(1)
	ds_write_b128 v18, v[20:23]
	v_add_u32_e32 v18, s47, v18
	s_waitcnt vmcnt(0)
	ds_write2_b64 v19, v[24:25], v[26:27] offset1:1
	s_branch .LBB193_21
.LBB193_24:                             ;   in Loop: Header=BB193_17 Depth=2
	s_or_b64 exec, exec, s[30:31]
.LBB193_25:                             ;   in Loop: Header=BB193_17 Depth=2
	s_waitcnt lgkmcnt(0)
	s_barrier
	s_and_saveexec_b64 s[10:11], s[8:9]
	s_cbranch_execz .LBB193_16
.LBB193_26:                             ;   in Loop: Header=BB193_17 Depth=2
	v_add_u32_e32 v51, s37, v58
	v_min_u32_e32 v52, s42, v51
	v_lshl_add_u64 v[16:17], v[52:53], 1, s[14:15]
	v_add_u32_e32 v63, 0x100, v51
	v_lshl_add_u64 v[18:19], v[16:17], 0, v[54:55]
	v_lshl_add_u64 v[16:17], v[16:17], 0, v[56:57]
	v_min_u32_e32 v52, s42, v63
	global_load_dwordx4 v[28:31], v[18:19], off nt
	global_load_dwordx4 v[24:27], v[16:17], off nt
	v_lshl_add_u64 v[16:17], v[52:53], 1, s[14:15]
	v_lshl_add_u64 v[32:33], v[16:17], 0, v[54:55]
	;; [unrolled: 1-line block ×3, first 2 shown]
	global_load_dwordx4 v[20:23], v[32:33], off nt
	global_load_dwordx4 v[16:19], v[34:35], off nt
	v_cmp_gt_u32_e32 vcc, s20, v51
	v_mov_b32_e32 v34, 0
	v_mov_b32_e32 v35, 0
	;; [unrolled: 1-line block ×16, first 2 shown]
	s_and_saveexec_b64 s[30:31], vcc
	s_cbranch_execz .LBB193_15
; %bb.27:                               ;   in Loop: Header=BB193_17 Depth=2
	v_subrev_u32_e32 v32, s36, v51
	v_lshlrev_b32_e32 v52, 1, v32
	v_lshl_add_u32 v51, s40, 1, v52
	ds_read_b128 v[44:47], v52
	ds_read_b128 v[40:43], v51
	v_cmp_gt_u32_e32 vcc, s20, v63
	v_mov_b32_e32 v37, 0
	v_mov_b32_e32 v36, 0
	;; [unrolled: 1-line block ×8, first 2 shown]
	s_and_saveexec_b64 s[34:35], vcc
	s_cbranch_execz .LBB193_14
; %bb.28:                               ;   in Loop: Header=BB193_17 Depth=2
	ds_read_b128 v[36:39], v52 offset:512
	ds_read_b128 v[32:35], v51 offset:512
	s_branch .LBB193_14
.LBB193_29:                             ;   in Loop: Header=BB193_12 Depth=1
	v_cmp_le_u32_e32 vcc, s23, v50
	s_and_saveexec_b64 s[8:9], vcc
	s_xor_b64 s[8:9], exec, s[8:9]
; %bb.30:                               ;   in Loop: Header=BB193_12 Depth=1
	v_add_u32_e32 v50, s44, v50
                                        ; implicit-def: $vgpr3
                                        ; implicit-def: $vgpr7
                                        ; implicit-def: $vgpr11
                                        ; implicit-def: $vgpr15
; %bb.31:                               ;   in Loop: Header=BB193_12 Depth=1
	s_andn2_saveexec_b64 s[30:31], s[8:9]
	s_cbranch_execz .LBB193_11
; %bb.32:                               ;   in Loop: Header=BB193_12 Depth=1
	v_cvt_i32_f32_e32 v13, v13
	v_cvt_i32_f32_e32 v14, v14
	;; [unrolled: 1-line block ×4, first 2 shown]
	v_cvt_f32_i32_dpp v13, v13 row_shl:1 row_mask:0xf bank_mask:0xf bound_ctrl:1
	v_cvt_f32_i32_dpp v14, v14 row_shl:2 row_mask:0xf bank_mask:0xf bound_ctrl:1
	v_cvt_i32_f32_e32 v10, v10
	v_cvt_f32_i32_dpp v15, v15 row_shl:3 row_mask:0xf bank_mask:0xf bound_ctrl:1
	v_cvt_i32_f32_e32 v11, v11
	v_cvt_i32_f32_e32 v5, v5
	v_add_f32_e32 v12, v12, v13
	v_cvt_f32_i32_dpp v9, v9 row_shl:1 row_mask:0xf bank_mask:0xf bound_ctrl:1
	v_cvt_i32_f32_e32 v1, v1
	v_add_f32_e32 v12, v12, v14
	v_cvt_f32_i32_dpp v10, v10 row_shl:2 row_mask:0xf bank_mask:0xf bound_ctrl:1
	v_cvt_i32_f32_e32 v6, v6
	v_cvt_i32_f32_e32 v2, v2
	v_add_f32_e32 v12, v12, v15
	v_cvt_f32_i32_dpp v11, v11 row_shl:3 row_mask:0xf bank_mask:0xf bound_ctrl:1
	v_cvt_f32_i32_dpp v5, v5 row_shl:1 row_mask:0xf bank_mask:0xf bound_ctrl:1
	v_cvt_i32_f32_e32 v7, v7
	v_cvt_i32_f32_e32 v3, v3
	;; [unrolled: 1-line block ×3, first 2 shown]
	v_add_f32_e32 v8, v8, v9
	v_cvt_f32_i32_dpp v1, v1 row_shl:1 row_mask:0xf bank_mask:0xf bound_ctrl:1
	v_add_f32_e32 v8, v8, v10
	v_cvt_f32_i32_dpp v6, v6 row_shl:2 row_mask:0xf bank_mask:0xf bound_ctrl:1
	v_cvt_f32_i32_dpp v2, v2 row_shl:2 row_mask:0xf bank_mask:0xf bound_ctrl:1
	v_add_f32_e32 v8, v8, v11
	v_add_f32_e32 v4, v4, v5
	v_cvt_f32_i32_dpp v5, v7 row_shl:3 row_mask:0xf bank_mask:0xf bound_ctrl:1
	v_cvt_f32_i32_dpp v3, v3 row_shl:3 row_mask:0xf bank_mask:0xf bound_ctrl:1
	v_cvt_f32_i32_dpp v13, v13 row_shl:4 row_mask:0xf bank_mask:0xf bound_ctrl:1
	v_cvt_i32_f32_e32 v10, v8
	v_add_f32_e32 v0, v0, v1
	v_add_f32_e32 v4, v4, v6
	;; [unrolled: 1-line block ×6, first 2 shown]
	v_cvt_f32_i32_dpp v10, v10 row_shl:4 row_mask:0xf bank_mask:0xf bound_ctrl:1
	v_cvt_i32_f32_e32 v5, v4
	v_cvt_i32_f32_e32 v1, v0
	;; [unrolled: 1-line block ×3, first 2 shown]
	v_add_f32_e32 v8, v8, v10
	v_cvt_f32_i32_dpp v3, v5 row_shl:4 row_mask:0xf bank_mask:0xf bound_ctrl:1
	v_cvt_f32_i32_dpp v1, v1 row_shl:4 row_mask:0xf bank_mask:0xf bound_ctrl:1
	;; [unrolled: 1-line block ×3, first 2 shown]
	v_cvt_i32_f32_e32 v10, v8
	v_add_f32_e32 v3, v4, v3
	v_add_f32_e32 v0, v0, v1
	v_add_f32_e32 v9, v9, v11
	v_cvt_f32_i32_dpp v2, v10 row_shl:8 row_mask:0xf bank_mask:0xf bound_ctrl:1
	v_cvt_i32_f32_e32 v4, v3
	v_cvt_i32_f32_e32 v1, v0
	;; [unrolled: 1-line block ×3, first 2 shown]
	v_add_f32_e32 v2, v8, v2
	v_cvt_f32_i32_dpp v4, v4 row_shl:8 row_mask:0xf bank_mask:0xf bound_ctrl:1
	v_cvt_f32_i32_dpp v1, v1 row_shl:8 row_mask:0xf bank_mask:0xf bound_ctrl:1
	v_cvt_f32_i32_dpp v5, v9 row_shr:15 row_mask:0xf bank_mask:0xf bound_ctrl:1
	v_cvt_i32_f32_e32 v2, v2
	v_add_f32_e32 v3, v3, v4
	v_add_f32_e32 v0, v0, v1
	v_cvt_i32_f32_e32 v6, v5
	v_cvt_f32_i32_dpp v2, v2 row_shr:15 row_mask:0xf bank_mask:0xf bound_ctrl:1
	v_cvt_i32_f32_e32 v3, v3
	v_cvt_i32_f32_e32 v0, v0
	v_cvt_f32_i32_dpp v1, v6 row_bcast:15 row_mask:0xf bank_mask:0xf bound_ctrl:1
	v_cvt_i32_f32_e32 v4, v2
	v_cvt_f32_i32_dpp v3, v3 row_shr:15 row_mask:0xf bank_mask:0xf bound_ctrl:1
	v_cvt_f32_i32_dpp v0, v0 row_shr:15 row_mask:0xf bank_mask:0xf bound_ctrl:1
	v_add_f32_e32 v8, v5, v1
	v_cvt_f32_i32_dpp v4, v4 row_bcast:15 row_mask:0xf bank_mask:0xf bound_ctrl:1
	v_cvt_i32_f32_e32 v1, v3
	v_cvt_i32_f32_e32 v6, v0
	;; [unrolled: 1-line block ×3, first 2 shown]
	v_add_f32_e32 v5, v2, v4
	v_cvt_f32_i32_dpp v1, v1 row_bcast:15 row_mask:0xf bank_mask:0xf bound_ctrl:1
	v_cvt_f32_i32_dpp v4, v6 row_bcast:15 row_mask:0xf bank_mask:0xf bound_ctrl:1
	v_cvt_i32_f32_e32 v6, v5
	v_mov_b32_dpp v9, v7 row_bcast:31 row_mask:0xf bank_mask:0xf bound_ctrl:1
	v_add_f32_e32 v2, v3, v1
	v_add_f32_e32 v0, v0, v4
	v_cvt_i32_f32_e32 v1, v2
	v_cvt_i32_f32_e32 v3, v0
	v_mov_b32_dpp v7, v6 row_bcast:31 row_mask:0xf bank_mask:0xf bound_ctrl:1
	v_mov_b32_dpp v4, v1 row_bcast:31 row_mask:0xf bank_mask:0xf bound_ctrl:1
	;; [unrolled: 1-line block ×3, first 2 shown]
	s_and_saveexec_b64 s[34:35], s[0:1]
	s_cbranch_execz .LBB193_59
; %bb.33:                               ;   in Loop: Header=BB193_12 Depth=1
	s_and_b64 vcc, exec, s[6:7]
	v_mov_b32_e32 v3, 0
	v_mov_b32_e32 v6, 0
	;; [unrolled: 1-line block ×4, first 2 shown]
	s_cbranch_vccnz .LBB193_35
; %bb.34:                               ;   in Loop: Header=BB193_12 Depth=1
	v_mul_hi_u32 v3, v50, v59
	v_mul_lo_u32 v3, v3, s12
	v_sub_u32_e32 v3, v50, v3
	v_subrev_u32_e32 v6, s12, v3
	v_cmp_le_u32_e32 vcc, s12, v3
	v_mov_b32_e32 v11, v53
	s_nop 0
	v_cndmask_b32_e32 v3, v3, v6, vcc
	v_subrev_u32_e32 v6, s12, v3
	v_cmp_le_u32_e32 vcc, s12, v3
	s_nop 1
	v_cndmask_b32_e32 v52, v3, v6, vcc
	v_add_u32_e32 v3, 1, v50
	v_mul_hi_u32 v6, v3, v59
	v_mul_lo_u32 v6, v6, s12
	v_sub_u32_e32 v3, v3, v6
	v_subrev_u32_e32 v6, s12, v3
	v_cmp_le_u32_e32 vcc, s12, v3
	v_lshl_add_u64 v[12:13], v[52:53], 1, s[18:19]
	v_add_u32_e32 v52, s13, v52
	v_cndmask_b32_e32 v3, v3, v6, vcc
	v_subrev_u32_e32 v6, s12, v3
	v_cmp_le_u32_e32 vcc, s12, v3
	v_lshl_add_u64 v[16:17], v[52:53], 1, s[18:19]
	s_nop 0
	v_cndmask_b32_e32 v10, v3, v6, vcc
	v_add_u32_e32 v52, s13, v10
	v_lshl_add_u64 v[14:15], v[10:11], 1, s[18:19]
	v_lshl_add_u64 v[18:19], v[52:53], 1, s[18:19]
	global_load_ushort v11, v[12:13], off
	global_load_ushort v10, v[14:15], off
	;; [unrolled: 1-line block ×4, first 2 shown]
.LBB193_35:                             ;   in Loop: Header=BB193_12 Depth=1
	v_cmp_ne_u32_e32 vcc, 0, v48
	s_and_saveexec_b64 s[10:11], vcc
	s_cbranch_execnz .LBB193_39
; %bb.36:                               ;   in Loop: Header=BB193_12 Depth=1
	s_or_b64 exec, exec, s[10:11]
	v_cmp_ne_u32_e64 s[8:9], 0, v49
	s_and_saveexec_b64 s[36:37], s[8:9]
	s_cbranch_execnz .LBB193_44
.LBB193_37:                             ;   in Loop: Header=BB193_12 Depth=1
	s_or_b64 exec, exec, s[36:37]
	v_add_u32_e32 v52, s23, v50
	s_and_saveexec_b64 s[10:11], vcc
	s_cbranch_execnz .LBB193_49
.LBB193_38:                             ;   in Loop: Header=BB193_12 Depth=1
	s_or_b64 exec, exec, s[10:11]
	s_and_b64 exec, exec, s[8:9]
	s_cbranch_execnz .LBB193_54
	s_branch .LBB193_59
.LBB193_39:                             ;   in Loop: Header=BB193_12 Depth=1
	v_cvt_f32_i32_e32 v9, v9
	v_add_f32_e32 v8, v8, v9
	s_waitcnt vmcnt(3)
	v_lshlrev_b32_e32 v9, 16, v11
	v_add_f32_e32 v9, v8, v9
	v_and_b32_e32 v8, 0x7f800000, v9
	v_cmp_ne_u32_e64 s[8:9], s48, v8
                                        ; implicit-def: $vgpr8
	s_and_saveexec_b64 s[36:37], s[8:9]
	s_xor_b64 s[8:9], exec, s[36:37]
; %bb.40:                               ;   in Loop: Header=BB193_12 Depth=1
	v_bfe_u32 v8, v9, 16, 1
	v_add3_u32 v8, v9, v8, s49
                                        ; implicit-def: $vgpr9
; %bb.41:                               ;   in Loop: Header=BB193_12 Depth=1
	s_andn2_saveexec_b64 s[36:37], s[8:9]
; %bb.42:                               ;   in Loop: Header=BB193_12 Depth=1
	v_or_b32_e32 v8, 0x10000, v9
	v_cmp_eq_u32_sdwa s[8:9], v9, v53 src0_sel:WORD_0 src1_sel:DWORD
	s_nop 1
	v_cndmask_b32_e64 v8, v8, v9, s[8:9]
; %bb.43:                               ;   in Loop: Header=BB193_12 Depth=1
	s_or_b64 exec, exec, s[36:37]
	v_mov_b32_e32 v51, v53
	v_lshl_add_u64 v[12:13], v[50:51], 1, s[24:25]
	global_store_short_d16_hi v[12:13], v8, off
	s_or_b64 exec, exec, s[10:11]
	v_cmp_ne_u32_e64 s[8:9], 0, v49
	s_and_saveexec_b64 s[36:37], s[8:9]
	s_cbranch_execz .LBB193_37
.LBB193_44:                             ;   in Loop: Header=BB193_12 Depth=1
	v_cvt_f32_i32_e32 v7, v7
	v_add_f32_e32 v5, v5, v7
	s_waitcnt vmcnt(2)
	v_lshlrev_b32_e32 v7, 16, v10
	v_add_f32_e32 v7, v5, v7
	v_and_b32_e32 v5, 0x7f800000, v7
	v_cmp_ne_u32_e64 s[10:11], s48, v5
                                        ; implicit-def: $vgpr5
	s_and_saveexec_b64 s[38:39], s[10:11]
	s_xor_b64 s[10:11], exec, s[38:39]
; %bb.45:                               ;   in Loop: Header=BB193_12 Depth=1
	v_bfe_u32 v5, v7, 16, 1
	v_add3_u32 v5, v7, v5, s49
                                        ; implicit-def: $vgpr7
; %bb.46:                               ;   in Loop: Header=BB193_12 Depth=1
	s_andn2_saveexec_b64 s[38:39], s[10:11]
; %bb.47:                               ;   in Loop: Header=BB193_12 Depth=1
	v_or_b32_e32 v5, 0x10000, v7
	v_cmp_eq_u32_sdwa s[10:11], v7, v53 src0_sel:WORD_0 src1_sel:DWORD
	s_nop 1
	v_cndmask_b32_e64 v5, v5, v7, s[10:11]
; %bb.48:                               ;   in Loop: Header=BB193_12 Depth=1
	s_or_b64 exec, exec, s[38:39]
	v_mov_b32_e32 v51, v53
	v_lshl_add_u64 v[8:9], v[50:51], 1, s[28:29]
	global_store_short_d16_hi v[8:9], v5, off
	s_or_b64 exec, exec, s[36:37]
	v_add_u32_e32 v52, s23, v50
	s_and_saveexec_b64 s[10:11], vcc
	s_cbranch_execz .LBB193_38
.LBB193_49:                             ;   in Loop: Header=BB193_12 Depth=1
	v_cvt_f32_i32_e32 v4, v4
	v_add_f32_e32 v2, v2, v4
	s_waitcnt vmcnt(1)
	v_lshlrev_b32_e32 v4, 16, v6
	v_add_f32_e32 v4, v2, v4
	v_and_b32_e32 v2, 0x7f800000, v4
	v_cmp_ne_u32_e32 vcc, s48, v2
                                        ; implicit-def: $vgpr2
	s_and_saveexec_b64 s[36:37], vcc
	s_xor_b64 s[36:37], exec, s[36:37]
; %bb.50:                               ;   in Loop: Header=BB193_12 Depth=1
	v_bfe_u32 v2, v4, 16, 1
	v_add3_u32 v2, v4, v2, s49
                                        ; implicit-def: $vgpr4
; %bb.51:                               ;   in Loop: Header=BB193_12 Depth=1
	s_andn2_saveexec_b64 s[36:37], s[36:37]
; %bb.52:                               ;   in Loop: Header=BB193_12 Depth=1
	v_or_b32_e32 v2, 0x10000, v4
	v_cmp_eq_u32_sdwa vcc, v4, v53 src0_sel:WORD_0 src1_sel:DWORD
	s_nop 1
	v_cndmask_b32_e32 v2, v2, v4, vcc
; %bb.53:                               ;   in Loop: Header=BB193_12 Depth=1
	s_or_b64 exec, exec, s[36:37]
	v_lshl_add_u64 v[4:5], v[52:53], 1, s[24:25]
	global_store_short_d16_hi v[4:5], v2, off
	s_or_b64 exec, exec, s[10:11]
	s_and_b64 exec, exec, s[8:9]
	s_cbranch_execz .LBB193_59
.LBB193_54:                             ;   in Loop: Header=BB193_12 Depth=1
	v_cvt_f32_i32_e32 v1, v1
	v_add_f32_e32 v0, v0, v1
	s_waitcnt vmcnt(0)
	v_lshlrev_b32_e32 v1, 16, v3
	v_add_f32_e32 v1, v0, v1
	v_and_b32_e32 v0, 0x7f800000, v1
	v_cmp_ne_u32_e32 vcc, s48, v0
                                        ; implicit-def: $vgpr0
	s_and_saveexec_b64 s[8:9], vcc
	s_xor_b64 s[8:9], exec, s[8:9]
; %bb.55:                               ;   in Loop: Header=BB193_12 Depth=1
	v_bfe_u32 v0, v1, 16, 1
	v_add3_u32 v0, v1, v0, s49
                                        ; implicit-def: $vgpr1
; %bb.56:                               ;   in Loop: Header=BB193_12 Depth=1
	s_andn2_saveexec_b64 s[8:9], s[8:9]
; %bb.57:                               ;   in Loop: Header=BB193_12 Depth=1
	v_or_b32_e32 v0, 0x10000, v1
	v_cmp_eq_u32_sdwa vcc, v1, v53 src0_sel:WORD_0 src1_sel:DWORD
	s_nop 1
	v_cndmask_b32_e32 v0, v0, v1, vcc
; %bb.58:                               ;   in Loop: Header=BB193_12 Depth=1
	s_or_b64 exec, exec, s[8:9]
	v_add_u32_e32 v52, 1, v52
	v_lshl_add_u64 v[2:3], v[52:53], 1, s[24:25]
	global_store_short_d16_hi v[2:3], v0, off
.LBB193_59:                             ;   in Loop: Header=BB193_12 Depth=1
	s_or_b64 exec, exec, s[34:35]
	v_add_u32_e32 v50, s44, v50
	v_add_u32_e32 v0, 2, v50
	v_cmp_gt_u32_e32 vcc, s23, v50
	v_cmp_le_u32_e64 s[8:9], s23, v0
	s_and_b64 s[8:9], vcc, s[8:9]
	s_and_saveexec_b64 s[10:11], s[8:9]
	s_cbranch_execz .LBB193_10
; %bb.60:                               ;   in Loop: Header=BB193_12 Depth=1
	v_cmp_ne_u32_e32 vcc, s45, v50
	s_and_saveexec_b64 s[34:35], vcc
	s_cbranch_execz .LBB193_9
; %bb.61:                               ;   in Loop: Header=BB193_12 Depth=1
	v_subrev_u32_e32 v0, s45, v50
	v_cmp_lt_u32_e32 vcc, 1, v0
	s_mov_b64 s[36:37], 0
	s_mov_b64 s[38:39], 0
	v_cndmask_b32_e32 v0, 1, v0, vcc
.LBB193_62:                             ;   Parent Loop BB193_12 Depth=1
                                        ; =>  This Inner Loop Header: Depth=2
	s_cmp_lg_u32 s38, 1
	s_cselect_b64 vcc, -1, 0
	s_cmp_lg_u32 s38, 0
	v_cndmask_b32_e32 v49, 0, v49, vcc
	s_cselect_b64 vcc, -1, 0
	s_add_u32 s38, s38, 1
	s_addc_u32 s39, s39, 0
	v_cmp_eq_u32_e64 s[8:9], s38, v0
	s_or_b64 s[36:37], s[8:9], s[36:37]
	v_cndmask_b32_e32 v48, 0, v48, vcc
	s_andn2_b64 exec, exec, s[36:37]
	s_cbranch_execnz .LBB193_62
; %bb.63:                               ;   in Loop: Header=BB193_12 Depth=1
	s_or_b64 exec, exec, s[36:37]
	s_branch .LBB193_9
.LBB193_64:
	s_endpgm
	.section	.rodata,"a",@progbits
	.p2align	6, 0x0
	.amdhsa_kernel _Z16wvSplitK_hf_big_I14__hip_bfloat16Li32ELi2ELi16ELi8ELi2ELi2EEviiiiiiPKT_S3_S3_PS1_ii
		.amdhsa_group_segment_fixed_size 65536
		.amdhsa_private_segment_fixed_size 0
		.amdhsa_kernarg_size 64
		.amdhsa_user_sgpr_count 2
		.amdhsa_user_sgpr_dispatch_ptr 0
		.amdhsa_user_sgpr_queue_ptr 0
		.amdhsa_user_sgpr_kernarg_segment_ptr 1
		.amdhsa_user_sgpr_dispatch_id 0
		.amdhsa_user_sgpr_kernarg_preload_length 0
		.amdhsa_user_sgpr_kernarg_preload_offset 0
		.amdhsa_user_sgpr_private_segment_size 0
		.amdhsa_uses_dynamic_stack 0
		.amdhsa_enable_private_segment 0
		.amdhsa_system_sgpr_workgroup_id_x 1
		.amdhsa_system_sgpr_workgroup_id_y 0
		.amdhsa_system_sgpr_workgroup_id_z 0
		.amdhsa_system_sgpr_workgroup_info 0
		.amdhsa_system_vgpr_workitem_id 1
		.amdhsa_next_free_vgpr 64
		.amdhsa_next_free_sgpr 52
		.amdhsa_accum_offset 64
		.amdhsa_reserve_vcc 1
		.amdhsa_float_round_mode_32 0
		.amdhsa_float_round_mode_16_64 0
		.amdhsa_float_denorm_mode_32 3
		.amdhsa_float_denorm_mode_16_64 3
		.amdhsa_dx10_clamp 1
		.amdhsa_ieee_mode 1
		.amdhsa_fp16_overflow 0
		.amdhsa_tg_split 0
		.amdhsa_exception_fp_ieee_invalid_op 0
		.amdhsa_exception_fp_denorm_src 0
		.amdhsa_exception_fp_ieee_div_zero 0
		.amdhsa_exception_fp_ieee_overflow 0
		.amdhsa_exception_fp_ieee_underflow 0
		.amdhsa_exception_fp_ieee_inexact 0
		.amdhsa_exception_int_div_zero 0
	.end_amdhsa_kernel
	.section	.text._Z16wvSplitK_hf_big_I14__hip_bfloat16Li32ELi2ELi16ELi8ELi2ELi2EEviiiiiiPKT_S3_S3_PS1_ii,"axG",@progbits,_Z16wvSplitK_hf_big_I14__hip_bfloat16Li32ELi2ELi16ELi8ELi2ELi2EEviiiiiiPKT_S3_S3_PS1_ii,comdat
.Lfunc_end193:
	.size	_Z16wvSplitK_hf_big_I14__hip_bfloat16Li32ELi2ELi16ELi8ELi2ELi2EEviiiiiiPKT_S3_S3_PS1_ii, .Lfunc_end193-_Z16wvSplitK_hf_big_I14__hip_bfloat16Li32ELi2ELi16ELi8ELi2ELi2EEviiiiiiPKT_S3_S3_PS1_ii
                                        ; -- End function
	.section	.AMDGPU.csdata,"",@progbits
; Kernel info:
; codeLenInByte = 2972
; NumSgprs: 58
; NumVgprs: 64
; NumAgprs: 0
; TotalNumVgprs: 64
; ScratchSize: 0
; MemoryBound: 0
; FloatMode: 240
; IeeeMode: 1
; LDSByteSize: 65536 bytes/workgroup (compile time only)
; SGPRBlocks: 7
; VGPRBlocks: 7
; NumSGPRsForWavesPerEU: 58
; NumVGPRsForWavesPerEU: 64
; AccumOffset: 64
; Occupancy: 2
; WaveLimiterHint : 0
; COMPUTE_PGM_RSRC2:SCRATCH_EN: 0
; COMPUTE_PGM_RSRC2:USER_SGPR: 2
; COMPUTE_PGM_RSRC2:TRAP_HANDLER: 0
; COMPUTE_PGM_RSRC2:TGID_X_EN: 1
; COMPUTE_PGM_RSRC2:TGID_Y_EN: 0
; COMPUTE_PGM_RSRC2:TGID_Z_EN: 0
; COMPUTE_PGM_RSRC2:TIDIG_COMP_CNT: 1
; COMPUTE_PGM_RSRC3_GFX90A:ACCUM_OFFSET: 15
; COMPUTE_PGM_RSRC3_GFX90A:TG_SPLIT: 0
	.section	.text._Z16wvSplitK_hf_sml_I14__hip_bfloat16Li32ELi3ELi16ELi8ELi2ELi2EEviiiiiiPKT_S3_S3_PS1_ii,"axG",@progbits,_Z16wvSplitK_hf_sml_I14__hip_bfloat16Li32ELi3ELi16ELi8ELi2ELi2EEviiiiiiPKT_S3_S3_PS1_ii,comdat
	.protected	_Z16wvSplitK_hf_sml_I14__hip_bfloat16Li32ELi3ELi16ELi8ELi2ELi2EEviiiiiiPKT_S3_S3_PS1_ii ; -- Begin function _Z16wvSplitK_hf_sml_I14__hip_bfloat16Li32ELi3ELi16ELi8ELi2ELi2EEviiiiiiPKT_S3_S3_PS1_ii
	.globl	_Z16wvSplitK_hf_sml_I14__hip_bfloat16Li32ELi3ELi16ELi8ELi2ELi2EEviiiiiiPKT_S3_S3_PS1_ii
	.p2align	8
	.type	_Z16wvSplitK_hf_sml_I14__hip_bfloat16Li32ELi3ELi16ELi8ELi2ELi2EEviiiiiiPKT_S3_S3_PS1_ii,@function
_Z16wvSplitK_hf_sml_I14__hip_bfloat16Li32ELi3ELi16ELi8ELi2ELi2EEviiiiiiPKT_S3_S3_PS1_ii: ; @_Z16wvSplitK_hf_sml_I14__hip_bfloat16Li32ELi3ELi16ELi8ELi2ELi2EEviiiiiiPKT_S3_S3_PS1_ii
; %bb.0:
	s_load_dwordx4 s[4:7], s[0:1], 0x0
	v_and_b32_e32 v4, 0x3ff, v0
	v_bfe_u32 v5, v0, 10, 10
	v_lshlrev_b32_e32 v76, 3, v4
	v_lshl_add_u32 v6, v5, 8, v76
	s_waitcnt lgkmcnt(0)
	s_lshl_b32 s6, s6, 1
	s_min_u32 s3, s6, 0x8000
	v_cmp_gt_u32_e32 vcc, s3, v6
	s_and_saveexec_b64 s[8:9], vcc
	s_cbranch_execz .LBB194_9
; %bb.1:
	s_load_dwordx2 s[10:11], s[0:1], 0x20
	v_lshlrev_b32_e32 v0, 1, v6
	v_add_u32_e32 v1, 0x1000, v6
	v_cmp_gt_u32_e32 vcc, s3, v1
	s_waitcnt lgkmcnt(0)
	global_load_dwordx4 v[8:11], v0, s[10:11]
	s_waitcnt vmcnt(0)
	ds_write_b128 v0, v[8:11]
	s_and_saveexec_b64 s[12:13], vcc
	s_xor_b64 s[12:13], exec, s[12:13]
	s_cbranch_execz .LBB194_9
; %bb.2:
	v_mov_b32_e32 v1, 0
	v_lshl_add_u64 v[2:3], s[10:11], 0, v[0:1]
	v_add_co_u32_e32 v8, vcc, 0x2000, v2
	v_add_u32_e32 v1, 0x2000, v6
	s_nop 0
	v_addc_co_u32_e32 v9, vcc, 0, v3, vcc
	global_load_dwordx4 v[8:11], v[8:9], off
	v_cmp_gt_u32_e32 vcc, s3, v1
	s_waitcnt vmcnt(0)
	ds_write_b128 v0, v[8:11] offset:8192
	s_and_saveexec_b64 s[10:11], vcc
	s_xor_b64 s[10:11], exec, s[10:11]
	s_cbranch_execz .LBB194_9
; %bb.3:
	v_add_co_u32_e32 v8, vcc, 0x4000, v2
	v_add_u32_e32 v1, 0x3000, v6
	s_nop 0
	v_addc_co_u32_e32 v9, vcc, 0, v3, vcc
	global_load_dwordx4 v[8:11], v[8:9], off
	v_cmp_gt_u32_e32 vcc, s3, v1
	s_waitcnt vmcnt(0)
	ds_write_b128 v0, v[8:11] offset:16384
	s_and_saveexec_b64 s[10:11], vcc
	s_xor_b64 s[10:11], exec, s[10:11]
	s_cbranch_execz .LBB194_9
; %bb.4:
	;; [unrolled: 12-line block ×6, first 2 shown]
	v_add_co_u32_e32 v2, vcc, 0xe000, v2
	s_nop 1
	v_addc_co_u32_e32 v3, vcc, 0, v3, vcc
	global_load_dwordx4 v[6:9], v[2:3], off
	s_waitcnt vmcnt(0)
	ds_write_b128 v0, v[6:9] offset:57344
.LBB194_9:
	s_or_b64 exec, exec, s[8:9]
	s_load_dwordx2 s[16:17], s[0:1], 0x38
	s_waitcnt lgkmcnt(0)
	s_barrier
	v_cmp_gt_u32_e32 vcc, s16, v5
	s_and_saveexec_b64 s[8:9], vcc
	s_cbranch_execz .LBB194_48
; %bb.10:
	s_load_dwordx2 s[12:13], s[0:1], 0x10
	s_mul_i32 s2, s2, s16
	v_add_u32_e32 v0, s2, v5
	v_lshl_add_u32 v64, v0, 1, v0
	v_cmp_gt_u32_e32 vcc, s7, v64
	s_and_b64 exec, exec, vcc
	s_cbranch_execz .LBB194_48
; %bb.11:
	s_waitcnt lgkmcnt(0)
	v_cvt_f32_u32_e32 v0, s12
	s_load_dwordx4 s[8:11], s[0:1], 0x28
	s_load_dwordx2 s[14:15], s[0:1], 0x18
	s_cmp_lg_u32 s4, 0
	s_cselect_b64 s[2:3], -1, 0
	v_rcp_iflag_f32_e32 v0, v0
	s_add_i32 s24, s4, -8
	s_add_i32 s25, s7, -1
	s_waitcnt lgkmcnt(0)
	s_cmp_lg_u64 s[8:9], 0
	v_mul_f32_e32 v0, 0x4f7ffffe, v0
	v_cvt_u32_f32_e32 v0, v0
	s_cselect_b64 s[18:19], -1, 0
	s_sub_i32 s20, 0, s12
	s_abs_i32 s13, s13
	v_mul_lo_u32 v1, s20, v0
	s_sub_i32 s20, 1, s13
	s_cmp_lt_u32 s13, 2
	s_cselect_b32 s20, s20, 1
	s_sub_i32 s21, s20, s13
	v_mul_hi_u32 v1, v0, v1
	s_cmp_ge_u32 s20, s13
	s_mul_i32 s26, s16, s17
	v_add_u32_e32 v77, v0, v1
	s_cselect_b32 s13, s21, s20
	v_cndmask_b32_e64 v0, 0, 1, s[2:3]
	v_cmp_eq_u32_e64 s[0:1], 31, v4
	s_mov_b64 s[16:17], 0
	s_mul_i32 s26, s26, 3
	v_mov_b32_e32 v67, 0
	s_mul_i32 s13, s13, s12
	v_lshlrev_b32_e32 v78, 4, v4
	v_cmp_ne_u32_e64 s[2:3], 1, v0
	s_mov_b32 s27, 0x7f800000
	s_movk_i32 s28, 0x7fff
	s_branch .LBB194_14
.LBB194_12:                             ;   in Loop: Header=BB194_14 Depth=1
	s_or_b64 exec, exec, s[22:23]
	v_add_u32_e32 v66, 2, v66
	v_lshl_add_u64 v[2:3], v[66:67], 1, s[10:11]
	global_store_short_d16_hi v[2:3], v0, off
.LBB194_13:                             ;   in Loop: Header=BB194_14 Depth=1
	s_or_b64 exec, exec, s[20:21]
	v_add_u32_e32 v64, s26, v64
	v_cmp_le_u32_e32 vcc, s7, v64
	s_or_b64 s[16:17], vcc, s[16:17]
	s_andn2_b64 exec, exec, s[16:17]
	s_cbranch_execz .LBB194_48
.LBB194_14:                             ; =>This Loop Header: Depth=1
                                        ;     Child Loop BB194_18 Depth 2
	s_and_b64 vcc, exec, s[2:3]
	v_add_u32_e32 v68, 2, v64
	v_mov_b32_e32 v7, v67
	v_mov_b32_e32 v6, v67
	;; [unrolled: 1-line block ×24, first 2 shown]
	s_cbranch_vccnz .LBB194_21
; %bb.15:                               ;   in Loop: Header=BB194_14 Depth=1
	v_min_u32_e32 v0, s25, v64
	v_mul_lo_u32 v66, v0, s5
	v_add_u32_e32 v0, 1, v64
	v_min_u32_e32 v0, s25, v0
	v_min_u32_e32 v2, s25, v68
	v_mul_lo_u32 v0, v0, s5
	v_mov_b32_e32 v1, v67
	v_mul_lo_u32 v2, v2, s5
	v_mov_b32_e32 v3, v67
	v_mov_b32_e32 v20, 0
	s_mov_b32 s29, 0
	v_lshlrev_b64 v[70:71], 1, v[66:67]
	v_lshlrev_b64 v[72:73], 1, v[0:1]
	;; [unrolled: 1-line block ×3, first 2 shown]
	v_mov_b32_e32 v65, v78
	v_mov_b32_e32 v21, v20
	;; [unrolled: 1-line block ×24, first 2 shown]
	s_branch .LBB194_18
.LBB194_16:                             ;   in Loop: Header=BB194_18 Depth=2
	s_or_b64 exec, exec, s[22:23]
.LBB194_17:                             ;   in Loop: Header=BB194_18 Depth=2
	s_or_b64 exec, exec, s[20:21]
	s_waitcnt vmcnt(5) lgkmcnt(1)
	v_mfma_f32_4x4x4_16b_bf16 v[20:23], v[60:61], v[44:45], v[20:23]
	s_addk_i32 s29, 0x200
	s_waitcnt vmcnt(4)
	v_mfma_f32_4x4x4_16b_bf16 v[16:19], v[60:61], v[40:41], v[16:19]
	v_add_u32_e32 v65, 0x400, v65
	s_waitcnt vmcnt(3)
	v_mfma_f32_4x4x4_16b_bf16 v[12:15], v[60:61], v[52:53], v[12:15]
	s_cmp_ge_u32 s29, s4
	s_waitcnt lgkmcnt(0)
	v_mfma_f32_4x4x4_16b_bf16 v[8:11], v[56:57], v[44:45], v[8:11]
	v_mfma_f32_4x4x4_16b_bf16 v[0:3], v[56:57], v[40:41], v[0:3]
	;; [unrolled: 1-line block ×9, first 2 shown]
	s_waitcnt vmcnt(2)
	v_mfma_f32_4x4x4_16b_bf16 v[20:23], v[48:49], v[32:33], v[20:23]
	s_waitcnt vmcnt(1)
	v_mfma_f32_4x4x4_16b_bf16 v[16:19], v[48:49], v[36:37], v[16:19]
	;; [unrolled: 2-line block ×3, first 2 shown]
	v_mfma_f32_4x4x4_16b_bf16 v[8:11], v[28:29], v[32:33], v[8:11]
	v_mfma_f32_4x4x4_16b_bf16 v[0:3], v[28:29], v[36:37], v[0:3]
	;; [unrolled: 1-line block ×9, first 2 shown]
	s_cbranch_scc1 .LBB194_21
.LBB194_18:                             ;   Parent Loop BB194_14 Depth=1
                                        ; =>  This Inner Loop Header: Depth=2
	v_add_u32_e32 v48, s29, v76
	v_min_u32_e32 v66, s24, v48
	v_lshl_add_u64 v[24:25], v[66:67], 1, s[14:15]
	v_add_u32_e32 v69, 0x100, v48
	v_lshl_add_u64 v[26:27], v[24:25], 0, v[70:71]
	v_min_u32_e32 v66, s24, v69
	v_lshl_add_u64 v[28:29], v[24:25], 0, v[72:73]
	global_load_dwordx4 v[44:47], v[26:27], off nt
	global_load_dwordx4 v[40:43], v[28:29], off nt
	v_lshl_add_u64 v[26:27], v[66:67], 1, s[14:15]
	v_lshl_add_u64 v[24:25], v[24:25], 0, v[74:75]
	;; [unrolled: 1-line block ×3, first 2 shown]
	global_load_dwordx4 v[52:55], v[24:25], off nt
	global_load_dwordx4 v[32:35], v[28:29], off nt
	v_lshl_add_u64 v[28:29], v[26:27], 0, v[72:73]
	v_lshl_add_u64 v[30:31], v[26:27], 0, v[74:75]
	global_load_dwordx4 v[36:39], v[28:29], off nt
	global_load_dwordx4 v[24:27], v[30:31], off nt
	v_cmp_gt_u32_e32 vcc, s4, v48
	v_mov_b32_e32 v30, 0
	v_mov_b32_e32 v31, 0
	;; [unrolled: 1-line block ×16, first 2 shown]
	s_and_saveexec_b64 s[20:21], vcc
	s_cbranch_execz .LBB194_17
; %bb.19:                               ;   in Loop: Header=BB194_18 Depth=2
	v_add_u32_e32 v66, s6, v65
	ds_read_b128 v[60:63], v65
	ds_read_b128 v[56:59], v66
	v_cmp_gt_u32_e32 vcc, s4, v69
	v_mov_b32_e32 v49, 0
	v_mov_b32_e32 v48, 0
	;; [unrolled: 1-line block ×8, first 2 shown]
	s_and_saveexec_b64 s[22:23], vcc
	s_cbranch_execz .LBB194_16
; %bb.20:                               ;   in Loop: Header=BB194_18 Depth=2
	ds_read_b128 v[48:51], v65 offset:512
	ds_read_b128 v[28:31], v66 offset:512
	s_branch .LBB194_16
.LBB194_21:                             ;   in Loop: Header=BB194_14 Depth=1
	; sched_barrier mask(0x00000000)
	v_cvt_i32_f32_e32 v21, v21
	v_cvt_i32_f32_e32 v22, v22
	v_cvt_i32_f32_e32 v23, v23
	v_cvt_i32_f32_e32 v17, v17
	v_cvt_f32_i32_dpp v21, v21 row_shl:1 row_mask:0xf bank_mask:0xf bound_ctrl:1
	v_cvt_f32_i32_dpp v22, v22 row_shl:2 row_mask:0xf bank_mask:0xf bound_ctrl:1
	v_cvt_i32_f32_e32 v18, v18
	v_cvt_f32_i32_dpp v23, v23 row_shl:3 row_mask:0xf bank_mask:0xf bound_ctrl:1
	v_cvt_i32_f32_e32 v19, v19
	v_add_f32_e32 v20, v20, v21
	v_add_f32_e32 v20, v20, v22
	v_cvt_f32_i32_dpp v17, v17 row_shl:1 row_mask:0xf bank_mask:0xf bound_ctrl:1
	v_add_f32_e32 v20, v20, v23
	v_cvt_f32_i32_dpp v18, v18 row_shl:2 row_mask:0xf bank_mask:0xf bound_ctrl:1
	v_cvt_f32_i32_dpp v19, v19 row_shl:3 row_mask:0xf bank_mask:0xf bound_ctrl:1
	v_cvt_i32_f32_e32 v21, v20
	v_add_f32_e32 v16, v16, v17
	v_add_f32_e32 v16, v16, v18
	;; [unrolled: 1-line block ×3, first 2 shown]
	v_cvt_f32_i32_dpp v18, v21 row_shl:4 row_mask:0xf bank_mask:0xf bound_ctrl:1
	v_cvt_i32_f32_e32 v17, v16
	v_cvt_i32_f32_e32 v1, v1
	;; [unrolled: 1-line block ×3, first 2 shown]
	v_add_f32_e32 v18, v20, v18
	v_cvt_f32_i32_dpp v17, v17 row_shl:4 row_mask:0xf bank_mask:0xf bound_ctrl:1
	v_cvt_i32_f32_e32 v19, v18
	v_cvt_i32_f32_e32 v2, v2
	;; [unrolled: 1-line block ×3, first 2 shown]
	v_add_f32_e32 v16, v16, v17
	v_cvt_f32_i32_dpp v19, v19 row_shl:8 row_mask:0xf bank_mask:0xf bound_ctrl:1
	v_cvt_i32_f32_e32 v17, v16
	v_cvt_i32_f32_e32 v15, v15
	v_cvt_f32_i32_dpp v1, v1 row_shl:1 row_mask:0xf bank_mask:0xf bound_ctrl:1
	v_add_f32_e32 v18, v18, v19
	v_cvt_f32_i32_dpp v17, v17 row_shl:8 row_mask:0xf bank_mask:0xf bound_ctrl:1
	v_cvt_i32_f32_e32 v18, v18
	v_cvt_f32_i32_dpp v13, v13 row_shl:1 row_mask:0xf bank_mask:0xf bound_ctrl:1
	v_cvt_i32_f32_e32 v9, v9
	v_add_f32_e32 v16, v16, v17
	v_cvt_f32_i32_dpp v17, v18 row_shr:15 row_mask:0xf bank_mask:0xf bound_ctrl:1
	v_cvt_i32_f32_e32 v16, v16
	v_cvt_f32_i32_dpp v2, v2 row_shl:2 row_mask:0xf bank_mask:0xf bound_ctrl:1
	v_cvt_i32_f32_e32 v3, v3
	v_cvt_f32_i32_dpp v14, v14 row_shl:2 row_mask:0xf bank_mask:0xf bound_ctrl:1
	v_cvt_i32_f32_e32 v10, v10
	v_cvt_f32_i32_dpp v15, v15 row_shl:3 row_mask:0xf bank_mask:0xf bound_ctrl:1
	v_cvt_i32_f32_e32 v11, v11
	v_cvt_i32_f32_e32 v18, v17
	v_add_f32_e32 v0, v0, v1
	v_cvt_f32_i32_dpp v16, v16 row_shr:15 row_mask:0xf bank_mask:0xf bound_ctrl:1
	v_add_f32_e32 v12, v12, v13
	v_cvt_f32_i32_dpp v9, v9 row_shl:1 row_mask:0xf bank_mask:0xf bound_ctrl:1
	v_add_f32_e32 v0, v0, v2
	v_cvt_f32_i32_dpp v1, v3 row_shl:3 row_mask:0xf bank_mask:0xf bound_ctrl:1
	v_cvt_i32_f32_e32 v2, v5
	v_add_f32_e32 v12, v12, v14
	v_cvt_f32_i32_dpp v10, v10 row_shl:2 row_mask:0xf bank_mask:0xf bound_ctrl:1
	v_cvt_i32_f32_e32 v3, v6
	;; [unrolled: 3-line block ×3, first 2 shown]
	v_cvt_f32_i32_dpp v18, v18 row_bcast:15 row_mask:0xf bank_mask:0xf bound_ctrl:1
	v_cvt_i32_f32_e32 v12, v14
	v_cvt_i32_f32_e32 v19, v16
	v_add_f32_e32 v8, v8, v9
	v_add_f32_e32 v0, v0, v1
	v_cvt_f32_i32_dpp v1, v2 row_shl:1 row_mask:0xf bank_mask:0xf bound_ctrl:1
	v_add_f32_e32 v8, v8, v10
	v_cvt_f32_i32_dpp v2, v3 row_shl:2 row_mask:0xf bank_mask:0xf bound_ctrl:1
	;; [unrolled: 2-line block ×4, first 2 shown]
	v_cvt_i32_f32_e32 v10, v9
	v_cvt_f32_i32_dpp v15, v19 row_bcast:15 row_mask:0xf bank_mask:0xf bound_ctrl:1
	v_add_f32_e32 v1, v4, v1
	v_add_f32_e32 v1, v1, v2
	;; [unrolled: 1-line block ×4, first 2 shown]
	v_cvt_f32_i32_dpp v10, v10 row_shl:4 row_mask:0xf bank_mask:0xf bound_ctrl:1
	v_cvt_i32_f32_e32 v5, v0
	v_cvt_i32_f32_e32 v2, v1
	v_add_f32_e32 v12, v16, v15
	v_cvt_i32_f32_e32 v16, v14
	v_add_f32_e32 v9, v9, v10
	v_cvt_f32_i32_dpp v4, v5 row_shl:4 row_mask:0xf bank_mask:0xf bound_ctrl:1
	v_cvt_f32_i32_dpp v2, v2 row_shl:4 row_mask:0xf bank_mask:0xf bound_ctrl:1
	;; [unrolled: 1-line block ×3, first 2 shown]
	v_cvt_i32_f32_e32 v10, v9
	v_add_f32_e32 v0, v0, v4
	v_add_f32_e32 v1, v1, v2
	;; [unrolled: 1-line block ×3, first 2 shown]
	v_cvt_f32_i32_dpp v3, v10 row_shl:8 row_mask:0xf bank_mask:0xf bound_ctrl:1
	v_cvt_i32_f32_e32 v4, v0
	v_cvt_i32_f32_e32 v2, v1
	;; [unrolled: 1-line block ×3, first 2 shown]
	v_add_f32_e32 v3, v9, v3
	v_cvt_f32_i32_dpp v4, v4 row_shl:8 row_mask:0xf bank_mask:0xf bound_ctrl:1
	v_cvt_f32_i32_dpp v2, v2 row_shl:8 row_mask:0xf bank_mask:0xf bound_ctrl:1
	v_cvt_f32_i32_dpp v5, v14 row_shr:15 row_mask:0xf bank_mask:0xf bound_ctrl:1
	v_cvt_i32_f32_e32 v3, v3
	v_add_f32_e32 v0, v0, v4
	v_add_f32_e32 v1, v1, v2
	v_cvt_i32_f32_e32 v6, v5
	v_cvt_f32_i32_dpp v3, v3 row_shr:15 row_mask:0xf bank_mask:0xf bound_ctrl:1
	v_cvt_i32_f32_e32 v0, v0
	v_cvt_i32_f32_e32 v1, v1
	v_cvt_f32_i32_dpp v2, v6 row_bcast:15 row_mask:0xf bank_mask:0xf bound_ctrl:1
	v_cvt_i32_f32_e32 v4, v3
	v_cvt_f32_i32_dpp v0, v0 row_shr:15 row_mask:0xf bank_mask:0xf bound_ctrl:1
	v_cvt_f32_i32_dpp v1, v1 row_shr:15 row_mask:0xf bank_mask:0xf bound_ctrl:1
	v_add_f32_e32 v10, v5, v2
	v_cvt_f32_i32_dpp v4, v4 row_bcast:15 row_mask:0xf bank_mask:0xf bound_ctrl:1
	v_cvt_i32_f32_e32 v2, v0
	v_cvt_i32_f32_e32 v5, v1
	;; [unrolled: 1-line block ×3, first 2 shown]
	v_add_f32_e32 v6, v3, v4
	v_cvt_f32_i32_dpp v2, v2 row_bcast:15 row_mask:0xf bank_mask:0xf bound_ctrl:1
	v_cvt_f32_i32_dpp v3, v5 row_bcast:15 row_mask:0xf bank_mask:0xf bound_ctrl:1
	v_cvt_i32_f32_e32 v15, v12
	v_cvt_i32_f32_e32 v7, v10
	v_add_f32_e32 v4, v0, v2
	v_add_f32_e32 v2, v1, v3
	v_cvt_i32_f32_e32 v5, v6
	v_cvt_i32_f32_e32 v0, v4
	;; [unrolled: 1-line block ×3, first 2 shown]
	v_mov_b32_dpp v11, v18 row_bcast:31 row_mask:0xf bank_mask:0xf bound_ctrl:1
	v_mov_b32_dpp v8, v15 row_bcast:31 row_mask:0xf bank_mask:0xf bound_ctrl:1
	;; [unrolled: 1-line block ×6, first 2 shown]
	s_and_saveexec_b64 s[20:21], s[0:1]
	s_cbranch_execz .LBB194_13
; %bb.22:                               ;   in Loop: Header=BB194_14 Depth=1
	s_andn2_b64 vcc, exec, s[18:19]
	v_mov_b32_e32 v0, 0
	v_mov_b32_e32 v18, 0
	;; [unrolled: 1-line block ×6, first 2 shown]
	s_cbranch_vccnz .LBB194_24
; %bb.23:                               ;   in Loop: Header=BB194_14 Depth=1
	v_mul_hi_u32 v0, v64, v77
	v_mul_lo_u32 v0, v0, s12
	v_sub_u32_e32 v0, v64, v0
	v_subrev_u32_e32 v1, s12, v0
	v_cmp_le_u32_e32 vcc, s12, v0
	v_mov_b32_e32 v17, v67
	s_nop 0
	v_cndmask_b32_e32 v0, v0, v1, vcc
	v_subrev_u32_e32 v1, s12, v0
	v_cmp_le_u32_e32 vcc, s12, v0
	s_nop 1
	v_cndmask_b32_e32 v66, v0, v1, vcc
	v_add_u32_e32 v0, 1, v64
	v_mul_hi_u32 v1, v0, v77
	v_mul_lo_u32 v1, v1, s12
	v_sub_u32_e32 v0, v0, v1
	v_subrev_u32_e32 v1, s12, v0
	v_cmp_le_u32_e32 vcc, s12, v0
	v_lshl_add_u64 v[20:21], v[66:67], 1, s[8:9]
	v_add_u32_e32 v66, s13, v66
	v_cndmask_b32_e32 v0, v0, v1, vcc
	v_subrev_u32_e32 v1, s12, v0
	v_cmp_le_u32_e32 vcc, s12, v0
	v_lshl_add_u64 v[26:27], v[66:67], 1, s[8:9]
	s_nop 0
	v_cndmask_b32_e32 v0, v0, v1, vcc
	v_mov_b32_e32 v1, v67
	v_lshl_add_u64 v[22:23], v[0:1], 1, s[8:9]
	v_mul_hi_u32 v1, v68, v77
	v_mul_lo_u32 v1, v1, s12
	v_sub_u32_e32 v1, v68, v1
	v_subrev_u32_e32 v7, s12, v1
	v_cmp_le_u32_e32 vcc, s12, v1
	v_add_u32_e32 v66, s13, v0
	v_lshl_add_u64 v[28:29], v[66:67], 1, s[8:9]
	v_cndmask_b32_e32 v1, v1, v7, vcc
	v_subrev_u32_e32 v7, s12, v1
	v_cmp_le_u32_e32 vcc, s12, v1
	s_nop 1
	v_cndmask_b32_e32 v16, v1, v7, vcc
	v_add_u32_e32 v66, s13, v16
	v_lshl_add_u64 v[24:25], v[16:17], 1, s[8:9]
	v_lshl_add_u64 v[30:31], v[66:67], 1, s[8:9]
	global_load_ushort v0, v[20:21], off
	global_load_ushort v18, v[22:23], off
	;; [unrolled: 1-line block ×6, first 2 shown]
.LBB194_24:                             ;   in Loop: Header=BB194_14 Depth=1
	v_cvt_f32_i32_e32 v1, v11
	s_waitcnt vmcnt(5)
	v_lshlrev_b32_e32 v0, 16, v0
                                        ; implicit-def: $vgpr11
	v_add_f32_e32 v1, v13, v1
	v_add_f32_e32 v0, v1, v0
	v_and_b32_e32 v1, 0x7f800000, v0
	v_cmp_ne_u32_e32 vcc, s27, v1
	s_and_saveexec_b64 s[22:23], vcc
	s_xor_b64 s[22:23], exec, s[22:23]
; %bb.25:                               ;   in Loop: Header=BB194_14 Depth=1
	v_bfe_u32 v1, v0, 16, 1
	v_add3_u32 v11, v0, v1, s28
                                        ; implicit-def: $vgpr0
; %bb.26:                               ;   in Loop: Header=BB194_14 Depth=1
	s_andn2_saveexec_b64 s[22:23], s[22:23]
; %bb.27:                               ;   in Loop: Header=BB194_14 Depth=1
	v_or_b32_e32 v1, 0x10000, v0
	v_cmp_eq_u32_sdwa vcc, v0, v67 src0_sel:WORD_0 src1_sel:DWORD
	s_nop 1
	v_cndmask_b32_e32 v11, v1, v0, vcc
; %bb.28:                               ;   in Loop: Header=BB194_14 Depth=1
	s_or_b64 exec, exec, s[22:23]
	v_cvt_f32_i32_e32 v8, v8
	v_mov_b32_e32 v65, v67
	v_lshl_add_u64 v[0:1], v[64:65], 1, s[10:11]
	global_store_short_d16_hi v[0:1], v11, off
	v_add_f32_e32 v8, v12, v8
	s_waitcnt vmcnt(5)
	v_lshlrev_b32_e32 v11, 16, v18
	v_add_f32_e32 v8, v8, v11
	v_and_b32_e32 v11, 0x7f800000, v8
	v_cmp_ne_u32_e32 vcc, s27, v11
                                        ; implicit-def: $vgpr11
	s_and_saveexec_b64 s[22:23], vcc
	s_xor_b64 s[22:23], exec, s[22:23]
; %bb.29:                               ;   in Loop: Header=BB194_14 Depth=1
	v_bfe_u32 v11, v8, 16, 1
	v_add3_u32 v11, v8, v11, s28
                                        ; implicit-def: $vgpr8
; %bb.30:                               ;   in Loop: Header=BB194_14 Depth=1
	s_andn2_saveexec_b64 s[22:23], s[22:23]
; %bb.31:                               ;   in Loop: Header=BB194_14 Depth=1
	v_or_b32_e32 v11, 0x10000, v8
	v_cmp_eq_u32_sdwa vcc, v8, v67 src0_sel:WORD_0 src1_sel:DWORD
	s_nop 1
	v_cndmask_b32_e32 v11, v11, v8, vcc
; %bb.32:                               ;   in Loop: Header=BB194_14 Depth=1
	s_or_b64 exec, exec, s[22:23]
	v_cvt_f32_i32_e32 v8, v15
	global_store_short_d16_hi v[0:1], v11, off offset:2
	s_waitcnt vmcnt(5)
	v_lshlrev_b32_e32 v1, 16, v17
	v_add_f32_e32 v0, v10, v8
	v_add_f32_e32 v1, v0, v1
	v_and_b32_e32 v0, 0x7f800000, v1
	v_cmp_ne_u32_e32 vcc, s27, v0
                                        ; implicit-def: $vgpr0
	s_and_saveexec_b64 s[22:23], vcc
	s_xor_b64 s[22:23], exec, s[22:23]
; %bb.33:                               ;   in Loop: Header=BB194_14 Depth=1
	v_bfe_u32 v0, v1, 16, 1
	v_add3_u32 v0, v1, v0, s28
                                        ; implicit-def: $vgpr1
; %bb.34:                               ;   in Loop: Header=BB194_14 Depth=1
	s_andn2_saveexec_b64 s[22:23], s[22:23]
; %bb.35:                               ;   in Loop: Header=BB194_14 Depth=1
	v_or_b32_e32 v0, 0x10000, v1
	v_cmp_eq_u32_sdwa vcc, v1, v67 src0_sel:WORD_0 src1_sel:DWORD
	s_nop 1
	v_cndmask_b32_e32 v0, v0, v1, vcc
; %bb.36:                               ;   in Loop: Header=BB194_14 Depth=1
	s_or_b64 exec, exec, s[22:23]
	v_cvt_f32_i32_e32 v1, v9
	v_mov_b32_e32 v69, v67
	v_lshl_add_u64 v[8:9], v[68:69], 1, s[10:11]
	global_store_short_d16_hi v[8:9], v0, off
	v_add_f32_e32 v0, v6, v1
	s_waitcnt vmcnt(5)
	v_lshlrev_b32_e32 v1, 16, v16
	v_add_f32_e32 v1, v0, v1
	v_and_b32_e32 v0, 0x7f800000, v1
	v_cmp_ne_u32_e32 vcc, s27, v0
                                        ; implicit-def: $vgpr0
	s_and_saveexec_b64 s[22:23], vcc
	s_xor_b64 s[22:23], exec, s[22:23]
; %bb.37:                               ;   in Loop: Header=BB194_14 Depth=1
	v_bfe_u32 v0, v1, 16, 1
	v_add3_u32 v0, v1, v0, s28
                                        ; implicit-def: $vgpr1
; %bb.38:                               ;   in Loop: Header=BB194_14 Depth=1
	s_andn2_saveexec_b64 s[22:23], s[22:23]
; %bb.39:                               ;   in Loop: Header=BB194_14 Depth=1
	v_or_b32_e32 v0, 0x10000, v1
	v_cmp_eq_u32_sdwa vcc, v1, v67 src0_sel:WORD_0 src1_sel:DWORD
	s_nop 1
	v_cndmask_b32_e32 v0, v0, v1, vcc
; %bb.40:                               ;   in Loop: Header=BB194_14 Depth=1
	s_or_b64 exec, exec, s[22:23]
	v_cvt_f32_i32_e32 v1, v5
	v_add_u32_e32 v66, s7, v64
	v_lshl_add_u64 v[8:9], v[66:67], 1, s[10:11]
	global_store_short_d16_hi v[8:9], v0, off
	v_add_f32_e32 v0, v4, v1
	s_waitcnt vmcnt(5)
	v_lshlrev_b32_e32 v1, 16, v14
	v_add_f32_e32 v1, v0, v1
	v_and_b32_e32 v0, 0x7f800000, v1
	v_cmp_ne_u32_e32 vcc, s27, v0
                                        ; implicit-def: $vgpr0
	s_and_saveexec_b64 s[22:23], vcc
	s_xor_b64 s[22:23], exec, s[22:23]
; %bb.41:                               ;   in Loop: Header=BB194_14 Depth=1
	v_bfe_u32 v0, v1, 16, 1
	v_add3_u32 v0, v1, v0, s28
                                        ; implicit-def: $vgpr1
; %bb.42:                               ;   in Loop: Header=BB194_14 Depth=1
	s_andn2_saveexec_b64 s[22:23], s[22:23]
; %bb.43:                               ;   in Loop: Header=BB194_14 Depth=1
	v_or_b32_e32 v0, 0x10000, v1
	v_cmp_eq_u32_sdwa vcc, v1, v67 src0_sel:WORD_0 src1_sel:DWORD
	s_nop 1
	v_cndmask_b32_e32 v0, v0, v1, vcc
; %bb.44:                               ;   in Loop: Header=BB194_14 Depth=1
	s_or_b64 exec, exec, s[22:23]
	v_cvt_f32_i32_e32 v1, v3
	v_add_u32_e32 v4, 1, v66
	v_mov_b32_e32 v5, v67
	v_lshl_add_u64 v[4:5], v[4:5], 1, s[10:11]
	v_add_f32_e32 v1, v2, v1
	global_store_short_d16_hi v[4:5], v0, off
	s_waitcnt vmcnt(5)
	v_lshlrev_b32_e32 v0, 16, v7
	v_add_f32_e32 v1, v1, v0
	v_and_b32_e32 v0, 0x7f800000, v1
	v_cmp_ne_u32_e32 vcc, s27, v0
                                        ; implicit-def: $vgpr0
	s_and_saveexec_b64 s[22:23], vcc
	s_xor_b64 s[22:23], exec, s[22:23]
; %bb.45:                               ;   in Loop: Header=BB194_14 Depth=1
	v_bfe_u32 v0, v1, 16, 1
	v_add3_u32 v0, v1, v0, s28
                                        ; implicit-def: $vgpr1
; %bb.46:                               ;   in Loop: Header=BB194_14 Depth=1
	s_andn2_saveexec_b64 s[22:23], s[22:23]
	s_cbranch_execz .LBB194_12
; %bb.47:                               ;   in Loop: Header=BB194_14 Depth=1
	v_or_b32_e32 v0, 0x10000, v1
	v_cmp_eq_u32_sdwa vcc, v1, v67 src0_sel:WORD_0 src1_sel:DWORD
	s_nop 1
	v_cndmask_b32_e32 v0, v0, v1, vcc
	s_branch .LBB194_12
.LBB194_48:
	s_endpgm
	.section	.rodata,"a",@progbits
	.p2align	6, 0x0
	.amdhsa_kernel _Z16wvSplitK_hf_sml_I14__hip_bfloat16Li32ELi3ELi16ELi8ELi2ELi2EEviiiiiiPKT_S3_S3_PS1_ii
		.amdhsa_group_segment_fixed_size 65536
		.amdhsa_private_segment_fixed_size 0
		.amdhsa_kernarg_size 64
		.amdhsa_user_sgpr_count 2
		.amdhsa_user_sgpr_dispatch_ptr 0
		.amdhsa_user_sgpr_queue_ptr 0
		.amdhsa_user_sgpr_kernarg_segment_ptr 1
		.amdhsa_user_sgpr_dispatch_id 0
		.amdhsa_user_sgpr_kernarg_preload_length 0
		.amdhsa_user_sgpr_kernarg_preload_offset 0
		.amdhsa_user_sgpr_private_segment_size 0
		.amdhsa_uses_dynamic_stack 0
		.amdhsa_enable_private_segment 0
		.amdhsa_system_sgpr_workgroup_id_x 1
		.amdhsa_system_sgpr_workgroup_id_y 0
		.amdhsa_system_sgpr_workgroup_id_z 0
		.amdhsa_system_sgpr_workgroup_info 0
		.amdhsa_system_vgpr_workitem_id 1
		.amdhsa_next_free_vgpr 79
		.amdhsa_next_free_sgpr 30
		.amdhsa_accum_offset 80
		.amdhsa_reserve_vcc 1
		.amdhsa_float_round_mode_32 0
		.amdhsa_float_round_mode_16_64 0
		.amdhsa_float_denorm_mode_32 3
		.amdhsa_float_denorm_mode_16_64 3
		.amdhsa_dx10_clamp 1
		.amdhsa_ieee_mode 1
		.amdhsa_fp16_overflow 0
		.amdhsa_tg_split 0
		.amdhsa_exception_fp_ieee_invalid_op 0
		.amdhsa_exception_fp_denorm_src 0
		.amdhsa_exception_fp_ieee_div_zero 0
		.amdhsa_exception_fp_ieee_overflow 0
		.amdhsa_exception_fp_ieee_underflow 0
		.amdhsa_exception_fp_ieee_inexact 0
		.amdhsa_exception_int_div_zero 0
	.end_amdhsa_kernel
	.section	.text._Z16wvSplitK_hf_sml_I14__hip_bfloat16Li32ELi3ELi16ELi8ELi2ELi2EEviiiiiiPKT_S3_S3_PS1_ii,"axG",@progbits,_Z16wvSplitK_hf_sml_I14__hip_bfloat16Li32ELi3ELi16ELi8ELi2ELi2EEviiiiiiPKT_S3_S3_PS1_ii,comdat
.Lfunc_end194:
	.size	_Z16wvSplitK_hf_sml_I14__hip_bfloat16Li32ELi3ELi16ELi8ELi2ELi2EEviiiiiiPKT_S3_S3_PS1_ii, .Lfunc_end194-_Z16wvSplitK_hf_sml_I14__hip_bfloat16Li32ELi3ELi16ELi8ELi2ELi2EEviiiiiiPKT_S3_S3_PS1_ii
                                        ; -- End function
	.section	.AMDGPU.csdata,"",@progbits
; Kernel info:
; codeLenInByte = 3316
; NumSgprs: 36
; NumVgprs: 79
; NumAgprs: 0
; TotalNumVgprs: 79
; ScratchSize: 0
; MemoryBound: 0
; FloatMode: 240
; IeeeMode: 1
; LDSByteSize: 65536 bytes/workgroup (compile time only)
; SGPRBlocks: 4
; VGPRBlocks: 9
; NumSGPRsForWavesPerEU: 36
; NumVGPRsForWavesPerEU: 79
; AccumOffset: 80
; Occupancy: 2
; WaveLimiterHint : 0
; COMPUTE_PGM_RSRC2:SCRATCH_EN: 0
; COMPUTE_PGM_RSRC2:USER_SGPR: 2
; COMPUTE_PGM_RSRC2:TRAP_HANDLER: 0
; COMPUTE_PGM_RSRC2:TGID_X_EN: 1
; COMPUTE_PGM_RSRC2:TGID_Y_EN: 0
; COMPUTE_PGM_RSRC2:TGID_Z_EN: 0
; COMPUTE_PGM_RSRC2:TIDIG_COMP_CNT: 1
; COMPUTE_PGM_RSRC3_GFX90A:ACCUM_OFFSET: 19
; COMPUTE_PGM_RSRC3_GFX90A:TG_SPLIT: 0
	.section	.text._Z12wvSplitK_hf_I14__hip_bfloat16Li32ELi3ELi16ELi8ELi2ELi2EEviiiiiiPKT_S3_S3_PS1_ii,"axG",@progbits,_Z12wvSplitK_hf_I14__hip_bfloat16Li32ELi3ELi16ELi8ELi2ELi2EEviiiiiiPKT_S3_S3_PS1_ii,comdat
	.protected	_Z12wvSplitK_hf_I14__hip_bfloat16Li32ELi3ELi16ELi8ELi2ELi2EEviiiiiiPKT_S3_S3_PS1_ii ; -- Begin function _Z12wvSplitK_hf_I14__hip_bfloat16Li32ELi3ELi16ELi8ELi2ELi2EEviiiiiiPKT_S3_S3_PS1_ii
	.globl	_Z12wvSplitK_hf_I14__hip_bfloat16Li32ELi3ELi16ELi8ELi2ELi2EEviiiiiiPKT_S3_S3_PS1_ii
	.p2align	8
	.type	_Z12wvSplitK_hf_I14__hip_bfloat16Li32ELi3ELi16ELi8ELi2ELi2EEviiiiiiPKT_S3_S3_PS1_ii,@function
_Z12wvSplitK_hf_I14__hip_bfloat16Li32ELi3ELi16ELi8ELi2ELi2EEviiiiiiPKT_S3_S3_PS1_ii: ; @_Z12wvSplitK_hf_I14__hip_bfloat16Li32ELi3ELi16ELi8ELi2ELi2EEviiiiiiPKT_S3_S3_PS1_ii
; %bb.0:
	s_load_dwordx2 s[8:9], s[0:1], 0x38
	s_load_dwordx2 s[10:11], s[0:1], 0x20
	s_load_dwordx4 s[12:15], s[0:1], 0x0
	s_load_dwordx2 s[20:21], s[0:1], 0x10
	v_bfe_u32 v4, v0, 10, 10
	s_waitcnt lgkmcnt(0)
	s_mul_i32 s2, s2, s8
	v_add_u32_e32 v1, s2, v4
	v_lshl_add_u32 v68, v1, 1, v1
	s_mov_b32 s4, 1
	v_add_u32_e32 v1, 3, v68
	s_mov_b32 s6, s4
	v_cmp_gt_u32_e32 vcc, s15, v68
	v_cmp_le_u32_e64 s[2:3], s15, v1
	s_mov_b32 s5, s4
	v_mov_b32_e32 v66, s6
	s_and_b64 s[16:17], vcc, s[2:3]
	v_mov_b32_e32 v65, s5
	v_mov_b32_e32 v64, s4
	s_and_saveexec_b64 s[2:3], s[16:17]
	s_cbranch_execz .LBB195_6
; %bb.1:
	s_add_i32 s7, s15, -3
	v_mov_b32_e32 v66, s6
	v_cmp_ne_u32_e32 vcc, s7, v68
	v_mov_b32_e32 v65, s5
	v_mov_b32_e32 v64, s4
	s_and_saveexec_b64 s[16:17], vcc
	s_cbranch_execz .LBB195_5
; %bb.2:
	v_subrev_u32_e32 v1, s7, v68
	v_cmp_lt_u32_e32 vcc, 1, v1
	s_mov_b64 s[18:19], 0
	s_mov_b64 s[22:23], 0
	v_cndmask_b32_e32 v2, 1, v1, vcc
	s_mov_b32 s5, s4
	s_mov_b32 s6, s4
.LBB195_3:                              ; =>This Inner Loop Header: Depth=1
	s_cmp_lg_u32 s22, 2
	s_cselect_b32 s6, s6, 0
	s_cmp_lg_u32 s22, 1
	s_cselect_b32 s5, s5, 0
	;; [unrolled: 2-line block ×3, first 2 shown]
	s_add_u32 s22, s22, 1
	s_addc_u32 s23, s23, 0
	v_cmp_eq_u32_e32 vcc, s22, v2
	v_mov_b32_e32 v66, s6
	s_or_b64 s[18:19], vcc, s[18:19]
	v_mov_b32_e32 v65, s5
	v_mov_b32_e32 v64, s4
	s_andn2_b64 exec, exec, s[18:19]
	s_cbranch_execnz .LBB195_3
; %bb.4:
	s_or_b64 exec, exec, s[18:19]
	v_mov_b32_e32 v68, s7
.LBB195_5:
	s_or_b64 exec, exec, s[16:17]
.LBB195_6:
	s_or_b64 exec, exec, s[2:3]
	v_and_b32_e32 v5, 0x3ff, v0
	v_lshlrev_b32_e32 v67, 3, v5
	s_lshl_b32 s2, s14, 1
	v_lshl_add_u32 v6, v4, 8, v67
	s_min_u32 s4, s2, 0x8000
	v_cmp_gt_u32_e32 vcc, s4, v6
	s_and_saveexec_b64 s[2:3], vcc
	s_cbranch_execz .LBB195_15
; %bb.7:
	v_lshlrev_b32_e32 v0, 1, v6
	global_load_dwordx4 v[8:11], v0, s[10:11]
	v_add_u32_e32 v1, 0x1000, v6
	v_cmp_gt_u32_e32 vcc, s4, v1
	s_waitcnt vmcnt(0)
	ds_write_b128 v0, v[8:11]
	s_and_saveexec_b64 s[6:7], vcc
	s_xor_b64 s[6:7], exec, s[6:7]
	s_cbranch_execz .LBB195_15
; %bb.8:
	v_mov_b32_e32 v1, 0
	v_lshl_add_u64 v[2:3], s[10:11], 0, v[0:1]
	v_add_co_u32_e32 v8, vcc, 0x2000, v2
	v_add_u32_e32 v1, 0x2000, v6
	s_nop 0
	v_addc_co_u32_e32 v9, vcc, 0, v3, vcc
	global_load_dwordx4 v[8:11], v[8:9], off
	v_cmp_gt_u32_e32 vcc, s4, v1
	s_waitcnt vmcnt(0)
	ds_write_b128 v0, v[8:11] offset:8192
	s_and_saveexec_b64 s[6:7], vcc
	s_xor_b64 s[6:7], exec, s[6:7]
	s_cbranch_execz .LBB195_15
; %bb.9:
	v_add_co_u32_e32 v8, vcc, 0x4000, v2
	v_add_u32_e32 v1, 0x3000, v6
	s_nop 0
	v_addc_co_u32_e32 v9, vcc, 0, v3, vcc
	global_load_dwordx4 v[8:11], v[8:9], off
	v_cmp_gt_u32_e32 vcc, s4, v1
	s_waitcnt vmcnt(0)
	ds_write_b128 v0, v[8:11] offset:16384
	s_and_saveexec_b64 s[6:7], vcc
	s_xor_b64 s[6:7], exec, s[6:7]
	s_cbranch_execz .LBB195_15
; %bb.10:
	;; [unrolled: 12-line block ×6, first 2 shown]
	v_add_co_u32_e32 v2, vcc, 0xe000, v2
	s_nop 1
	v_addc_co_u32_e32 v3, vcc, 0, v3, vcc
	global_load_dwordx4 v[6:9], v[2:3], off
	s_waitcnt vmcnt(0)
	ds_write_b128 v0, v[6:9] offset:57344
.LBB195_15:
	s_or_b64 exec, exec, s[2:3]
	v_cmp_gt_u32_e32 vcc, s8, v4
	v_cmp_gt_u32_e64 s[2:3], s15, v68
	s_and_b64 s[2:3], vcc, s[2:3]
	s_waitcnt lgkmcnt(0)
	s_barrier
	s_and_saveexec_b64 s[4:5], s[2:3]
	s_cbranch_execz .LBB195_86
; %bb.16:
	v_cvt_f32_u32_e32 v0, s20
	s_load_dwordx4 s[16:19], s[0:1], 0x28
	s_load_dwordx2 s[22:23], s[0:1], 0x18
	s_cmp_lg_u32 s12, 0
	s_cselect_b64 s[2:3], -1, 0
	v_rcp_iflag_f32_e32 v0, v0
	s_add_i32 s33, s12, -8
	s_add_i32 s38, s15, -1
	s_waitcnt lgkmcnt(0)
	s_cmp_lg_u64 s[16:17], 0
	v_mul_f32_e32 v0, 0x4f7ffffe, v0
	v_cvt_u32_f32_e32 v0, v0
	s_cselect_b64 s[26:27], -1, 0
	s_sub_i32 s4, 0, s20
	s_add_i32 s40, s15, -3
	v_mul_lo_u32 v1, s4, v0
	s_abs_i32 s4, s21
	s_sub_i32 s5, 1, s4
	s_cmp_lt_u32 s4, 2
	s_cselect_b32 s5, s5, 1
	s_sub_i32 s6, s5, s4
	v_mul_hi_u32 v1, v0, v1
	s_cmp_ge_u32 s5, s4
	s_mul_i32 s39, s8, s9
	v_add_u32_e32 v86, v0, v1
	s_cselect_b32 s21, s6, s5
	v_cndmask_b32_e64 v0, 0, 1, s[2:3]
	v_cmp_eq_u32_e64 s[0:1], 31, v5
	s_mov_b64 s[24:25], 0
	s_mul_i32 s39, s39, 3
	v_mov_b32_e32 v71, 0
	s_mul_i32 s21, s21, s20
	v_cmp_ne_u32_e64 s[2:3], 1, v0
	s_movk_i32 s41, 0x7fff
	s_mov_b32 s42, 0x7f800000
	s_mov_b32 s28, 0
	s_branch .LBB195_19
.LBB195_17:                             ;   in Loop: Header=BB195_19 Depth=1
	s_or_b64 exec, exec, s[8:9]
	v_mov_b32_e32 v68, s40
.LBB195_18:                             ;   in Loop: Header=BB195_19 Depth=1
	s_or_b64 exec, exec, s[6:7]
	v_cmp_le_u32_e32 vcc, s15, v68
	s_or_b64 s[24:25], vcc, s[24:25]
	s_andn2_b64 exec, exec, s[24:25]
	s_cbranch_execz .LBB195_86
.LBB195_19:                             ; =>This Loop Header: Depth=1
                                        ;     Child Loop BB195_24 Depth 2
                                        ;     Child Loop BB195_84 Depth 2
	s_and_b64 vcc, exec, s[2:3]
	v_add_u32_e32 v74, 1, v68
	v_add_u32_e32 v72, 2, v68
	v_mov_b32_e32 v3, v71
	v_mov_b32_e32 v2, v71
	;; [unrolled: 1-line block ×4, first 2 shown]
	s_waitcnt vmcnt(1)
	v_mov_b32_e32 v7, v71
	v_mov_b32_e32 v6, v71
	;; [unrolled: 1-line block ×3, first 2 shown]
	s_waitcnt vmcnt(0)
	v_mov_b32_e32 v4, v71
	v_mov_b32_e32 v11, v71
	;; [unrolled: 1-line block ×17, first 2 shown]
	s_cbranch_vccnz .LBB195_42
; %bb.20:                               ;   in Loop: Header=BB195_19 Depth=1
	v_min_u32_e32 v0, s38, v68
	v_mul_lo_u32 v70, v0, s13
	v_min_u32_e32 v0, s38, v74
	v_min_u32_e32 v2, s38, v72
	v_mul_lo_u32 v0, v0, s13
	v_mov_b32_e32 v1, v71
	v_mul_lo_u32 v2, v2, s13
	v_mov_b32_e32 v3, v71
	v_mov_b32_e32 v20, 0
	s_mov_b32 s4, 0
	v_lshlrev_b64 v[76:77], 1, v[70:71]
	v_lshlrev_b64 v[78:79], 1, v[0:1]
	;; [unrolled: 1-line block ×3, first 2 shown]
	s_mov_b32 s34, 0
	v_mov_b32_e32 v21, v20
	v_mov_b32_e32 v22, v20
	;; [unrolled: 1-line block ×23, first 2 shown]
	s_branch .LBB195_24
.LBB195_21:                             ;   in Loop: Header=BB195_24 Depth=2
	s_or_b64 exec, exec, s[30:31]
.LBB195_22:                             ;   in Loop: Header=BB195_24 Depth=2
	s_or_b64 exec, exec, s[8:9]
.LBB195_23:                             ;   in Loop: Header=BB195_24 Depth=2
	s_or_b64 exec, exec, s[6:7]
	s_waitcnt vmcnt(0) lgkmcnt(0)
	v_mfma_f32_4x4x4_16b_bf16 v[20:23], v[48:49], v[32:33], v[20:23]
	s_addk_i32 s34, 0x200
	v_mfma_f32_4x4x4_16b_bf16 v[16:19], v[48:49], v[28:29], v[16:19]
	s_cmp_ge_u32 s34, s12
	v_mfma_f32_4x4x4_16b_bf16 v[12:15], v[48:49], v[40:41], v[12:15]
	v_mfma_f32_4x4x4_16b_bf16 v[8:11], v[52:53], v[32:33], v[8:11]
	;; [unrolled: 1-line block ×22, first 2 shown]
	s_cbranch_scc1 .LBB195_42
.LBB195_24:                             ;   Parent Loop BB195_19 Depth=1
                                        ; =>  This Inner Loop Header: Depth=2
	v_add_u32_e32 v84, s34, v67
	v_min_u32_e32 v70, s33, v84
	v_lshl_add_u64 v[24:25], v[70:71], 1, s[22:23]
	v_add_u32_e32 v82, 0x100, v84
	v_lshl_add_u64 v[26:27], v[24:25], 0, v[76:77]
	v_min_u32_e32 v70, s33, v82
	v_lshl_add_u64 v[36:37], v[24:25], 0, v[78:79]
	global_load_dwordx4 v[32:35], v[26:27], off nt
	global_load_dwordx4 v[28:31], v[36:37], off nt
	v_lshl_add_u64 v[26:27], v[70:71], 1, s[22:23]
	v_lshl_add_u64 v[24:25], v[24:25], 0, v[80:81]
	;; [unrolled: 1-line block ×4, first 2 shown]
	global_load_dwordx4 v[40:43], v[24:25], off nt
	global_load_dwordx4 v[36:39], v[44:45], off nt
	v_lshl_add_u64 v[50:51], v[26:27], 0, v[80:81]
	global_load_dwordx4 v[44:47], v[48:49], off nt
	global_load_dwordx4 v[24:27], v[50:51], off nt
	s_mov_b32 s5, s4
	v_cmp_gt_u32_e32 vcc, s12, v84
	v_mov_b64_e32 v[48:49], s[4:5]
	v_mov_b32_e32 v61, 0
	v_mov_b32_e32 v60, 0
	;; [unrolled: 1-line block ×4, first 2 shown]
	v_mov_b64_e32 v[50:51], s[4:5]
	v_mov_b64_e32 v[56:57], s[4:5]
	;; [unrolled: 1-line block ×5, first 2 shown]
	s_and_saveexec_b64 s[6:7], vcc
	s_cbranch_execz .LBB195_23
; %bb.25:                               ;   in Loop: Header=BB195_24 Depth=2
	v_cmp_lt_u32_e32 vcc, s41, v84
                                        ; implicit-def: $vgpr48_vgpr49
	s_and_saveexec_b64 s[8:9], vcc
	s_xor_b64 s[8:9], exec, s[8:9]
	s_cbranch_execz .LBB195_27
; %bb.26:                               ;   in Loop: Header=BB195_24 Depth=2
	v_mov_b32_e32 v85, v71
	v_lshl_add_u64 v[48:49], v[84:85], 1, s[10:11]
	global_load_dwordx4 v[48:51], v[48:49], off
.LBB195_27:                             ;   in Loop: Header=BB195_24 Depth=2
	s_andn2_saveexec_b64 s[8:9], s[8:9]
	s_cbranch_execz .LBB195_29
; %bb.28:                               ;   in Loop: Header=BB195_24 Depth=2
	s_waitcnt vmcnt(0)
	v_lshlrev_b32_e32 v48, 1, v84
	ds_read_b128 v[48:51], v48
.LBB195_29:                             ;   in Loop: Header=BB195_24 Depth=2
	s_or_b64 exec, exec, s[8:9]
	v_add_u32_e32 v70, s14, v84
	v_cmp_lt_u32_e32 vcc, s41, v70
                                        ; implicit-def: $vgpr52_vgpr53
	s_and_saveexec_b64 s[8:9], vcc
	s_xor_b64 s[8:9], exec, s[8:9]
	s_cbranch_execz .LBB195_31
; %bb.30:                               ;   in Loop: Header=BB195_24 Depth=2
	v_lshl_add_u64 v[52:53], v[70:71], 1, s[10:11]
	global_load_dwordx4 v[52:55], v[52:53], off
.LBB195_31:                             ;   in Loop: Header=BB195_24 Depth=2
	s_andn2_saveexec_b64 s[8:9], s[8:9]
	s_cbranch_execz .LBB195_33
; %bb.32:                               ;   in Loop: Header=BB195_24 Depth=2
	s_waitcnt vmcnt(0)
	v_lshlrev_b32_e32 v52, 1, v70
	ds_read_b128 v[52:55], v52
.LBB195_33:                             ;   in Loop: Header=BB195_24 Depth=2
	s_or_b64 exec, exec, s[8:9]
	s_mov_b32 s29, s28
	v_cmp_gt_u32_e32 vcc, s12, v82
	v_mov_b32_e32 v61, 0
	v_mov_b64_e32 v[56:57], s[28:29]
	v_mov_b32_e32 v60, 0
	v_mov_b32_e32 v63, 0
	;; [unrolled: 1-line block ×3, first 2 shown]
	v_mov_b64_e32 v[58:59], s[28:29]
	s_and_saveexec_b64 s[8:9], vcc
	s_cbranch_execz .LBB195_22
; %bb.34:                               ;   in Loop: Header=BB195_24 Depth=2
	v_cmp_lt_u32_e32 vcc, s41, v82
                                        ; implicit-def: $vgpr56_vgpr57
	s_and_saveexec_b64 s[30:31], vcc
	s_xor_b64 s[30:31], exec, s[30:31]
	s_cbranch_execz .LBB195_36
; %bb.35:                               ;   in Loop: Header=BB195_24 Depth=2
	v_mov_b32_e32 v83, v71
	v_lshl_add_u64 v[56:57], v[82:83], 1, s[10:11]
	global_load_dwordx4 v[56:59], v[56:57], off
                                        ; implicit-def: $vgpr84
.LBB195_36:                             ;   in Loop: Header=BB195_24 Depth=2
	s_andn2_saveexec_b64 s[30:31], s[30:31]
	s_cbranch_execz .LBB195_38
; %bb.37:                               ;   in Loop: Header=BB195_24 Depth=2
	s_waitcnt vmcnt(0)
	v_lshlrev_b32_e32 v56, 1, v84
	ds_read_b128 v[56:59], v56 offset:512
.LBB195_38:                             ;   in Loop: Header=BB195_24 Depth=2
	s_or_b64 exec, exec, s[30:31]
	v_add_u32_e32 v60, s14, v82
	v_cmp_lt_u32_e32 vcc, s41, v60
                                        ; implicit-def: $vgpr61
	s_and_saveexec_b64 s[30:31], vcc
	s_xor_b64 s[30:31], exec, s[30:31]
	s_cbranch_execz .LBB195_40
; %bb.39:                               ;   in Loop: Header=BB195_24 Depth=2
	v_mov_b32_e32 v61, v71
	v_lshl_add_u64 v[60:61], v[60:61], 1, s[10:11]
	global_load_dwordx4 v[60:63], v[60:61], off
.LBB195_40:                             ;   in Loop: Header=BB195_24 Depth=2
	s_andn2_saveexec_b64 s[30:31], s[30:31]
	s_cbranch_execz .LBB195_21
; %bb.41:                               ;   in Loop: Header=BB195_24 Depth=2
	s_waitcnt vmcnt(0)
	v_lshlrev_b32_e32 v60, 1, v70
	ds_read_b128 v[60:63], v60 offset:512
	s_branch .LBB195_21
.LBB195_42:                             ;   in Loop: Header=BB195_19 Depth=1
	v_cvt_i32_f32_e32 v21, v21
	v_cvt_i32_f32_e32 v22, v22
	v_cvt_i32_f32_e32 v23, v23
	v_cvt_i32_f32_e32 v17, v17
	v_cvt_f32_i32_dpp v21, v21 row_shl:1 row_mask:0xf bank_mask:0xf bound_ctrl:1
	v_cvt_f32_i32_dpp v22, v22 row_shl:2 row_mask:0xf bank_mask:0xf bound_ctrl:1
	v_cvt_i32_f32_e32 v18, v18
	v_cvt_f32_i32_dpp v23, v23 row_shl:3 row_mask:0xf bank_mask:0xf bound_ctrl:1
	v_cvt_i32_f32_e32 v19, v19
	v_add_f32_e32 v20, v20, v21
	v_add_f32_e32 v20, v20, v22
	v_cvt_f32_i32_dpp v17, v17 row_shl:1 row_mask:0xf bank_mask:0xf bound_ctrl:1
	v_add_f32_e32 v20, v20, v23
	v_cvt_f32_i32_dpp v18, v18 row_shl:2 row_mask:0xf bank_mask:0xf bound_ctrl:1
	v_cvt_f32_i32_dpp v19, v19 row_shl:3 row_mask:0xf bank_mask:0xf bound_ctrl:1
	v_cvt_i32_f32_e32 v21, v20
	v_add_f32_e32 v16, v16, v17
	v_add_f32_e32 v16, v16, v18
	;; [unrolled: 1-line block ×3, first 2 shown]
	v_cvt_f32_i32_dpp v18, v21 row_shl:4 row_mask:0xf bank_mask:0xf bound_ctrl:1
	v_cvt_i32_f32_e32 v17, v16
	v_cvt_i32_f32_e32 v13, v13
	;; [unrolled: 1-line block ×3, first 2 shown]
	v_add_f32_e32 v18, v20, v18
	v_cvt_f32_i32_dpp v17, v17 row_shl:4 row_mask:0xf bank_mask:0xf bound_ctrl:1
	v_cvt_i32_f32_e32 v19, v18
	v_cvt_i32_f32_e32 v15, v15
	v_cvt_f32_i32_dpp v13, v13 row_shl:1 row_mask:0xf bank_mask:0xf bound_ctrl:1
	v_add_f32_e32 v16, v16, v17
	v_cvt_f32_i32_dpp v19, v19 row_shl:8 row_mask:0xf bank_mask:0xf bound_ctrl:1
	v_cvt_i32_f32_e32 v17, v16
	v_cvt_i32_f32_e32 v9, v9
	v_cvt_f32_i32_dpp v14, v14 row_shl:2 row_mask:0xf bank_mask:0xf bound_ctrl:1
	;; [unrolled: 5-line block ×3, first 2 shown]
	v_add_f32_e32 v16, v16, v17
	v_cvt_f32_i32_dpp v17, v18 row_shr:15 row_mask:0xf bank_mask:0xf bound_ctrl:1
	v_cvt_i32_f32_e32 v16, v16
	v_cvt_i32_f32_e32 v11, v11
	;; [unrolled: 1-line block ×4, first 2 shown]
	v_cvt_f32_i32_dpp v16, v16 row_shr:15 row_mask:0xf bank_mask:0xf bound_ctrl:1
	v_add_f32_e32 v12, v12, v13
	v_cvt_f32_i32_dpp v9, v9 row_shl:1 row_mask:0xf bank_mask:0xf bound_ctrl:1
	v_cvt_i32_f32_e32 v1, v1
	v_add_f32_e32 v12, v12, v14
	v_cvt_f32_i32_dpp v10, v10 row_shl:2 row_mask:0xf bank_mask:0xf bound_ctrl:1
	v_cvt_i32_f32_e32 v6, v6
	v_cvt_i32_f32_e32 v2, v2
	v_add_f32_e32 v14, v12, v15
	v_cvt_f32_i32_dpp v11, v11 row_shl:3 row_mask:0xf bank_mask:0xf bound_ctrl:1
	v_cvt_f32_i32_dpp v5, v5 row_shl:1 row_mask:0xf bank_mask:0xf bound_ctrl:1
	v_cvt_i32_f32_e32 v7, v7
	v_cvt_i32_f32_e32 v3, v3
	v_cvt_f32_i32_dpp v18, v18 row_bcast:15 row_mask:0xf bank_mask:0xf bound_ctrl:1
	v_cvt_i32_f32_e32 v12, v14
	v_cvt_i32_f32_e32 v19, v16
	v_add_f32_e32 v8, v8, v9
	v_cvt_f32_i32_dpp v1, v1 row_shl:1 row_mask:0xf bank_mask:0xf bound_ctrl:1
	v_add_f32_e32 v8, v8, v10
	v_cvt_f32_i32_dpp v6, v6 row_shl:2 row_mask:0xf bank_mask:0xf bound_ctrl:1
	v_cvt_f32_i32_dpp v2, v2 row_shl:2 row_mask:0xf bank_mask:0xf bound_ctrl:1
	v_add_f32_e32 v9, v8, v11
	v_add_f32_e32 v4, v4, v5
	v_cvt_f32_i32_dpp v5, v7 row_shl:3 row_mask:0xf bank_mask:0xf bound_ctrl:1
	v_cvt_f32_i32_dpp v3, v3 row_shl:3 row_mask:0xf bank_mask:0xf bound_ctrl:1
	v_add_f32_e32 v13, v17, v18
	v_cvt_f32_i32_dpp v17, v12 row_shl:4 row_mask:0xf bank_mask:0xf bound_ctrl:1
	v_cvt_i32_f32_e32 v10, v9
	v_cvt_f32_i32_dpp v15, v19 row_bcast:15 row_mask:0xf bank_mask:0xf bound_ctrl:1
	v_add_f32_e32 v0, v0, v1
	v_add_f32_e32 v4, v4, v6
	;; [unrolled: 1-line block ×6, first 2 shown]
	v_cvt_f32_i32_dpp v10, v10 row_shl:4 row_mask:0xf bank_mask:0xf bound_ctrl:1
	v_cvt_i32_f32_e32 v5, v4
	v_cvt_i32_f32_e32 v1, v0
	v_add_f32_e32 v12, v16, v15
	v_cvt_i32_f32_e32 v16, v14
	v_add_f32_e32 v9, v9, v10
	v_cvt_f32_i32_dpp v3, v5 row_shl:4 row_mask:0xf bank_mask:0xf bound_ctrl:1
	v_cvt_f32_i32_dpp v1, v1 row_shl:4 row_mask:0xf bank_mask:0xf bound_ctrl:1
	;; [unrolled: 1-line block ×3, first 2 shown]
	v_cvt_i32_f32_e32 v10, v9
	v_add_f32_e32 v3, v4, v3
	v_add_f32_e32 v0, v0, v1
	;; [unrolled: 1-line block ×3, first 2 shown]
	v_cvt_f32_i32_dpp v2, v10 row_shl:8 row_mask:0xf bank_mask:0xf bound_ctrl:1
	v_cvt_i32_f32_e32 v4, v3
	v_cvt_i32_f32_e32 v1, v0
	;; [unrolled: 1-line block ×3, first 2 shown]
	v_add_f32_e32 v2, v9, v2
	v_cvt_f32_i32_dpp v4, v4 row_shl:8 row_mask:0xf bank_mask:0xf bound_ctrl:1
	v_cvt_f32_i32_dpp v1, v1 row_shl:8 row_mask:0xf bank_mask:0xf bound_ctrl:1
	v_cvt_f32_i32_dpp v5, v14 row_shr:15 row_mask:0xf bank_mask:0xf bound_ctrl:1
	v_cvt_i32_f32_e32 v2, v2
	v_add_f32_e32 v3, v3, v4
	v_add_f32_e32 v0, v0, v1
	v_cvt_i32_f32_e32 v6, v5
	v_cvt_f32_i32_dpp v2, v2 row_shr:15 row_mask:0xf bank_mask:0xf bound_ctrl:1
	v_cvt_i32_f32_e32 v3, v3
	v_cvt_i32_f32_e32 v0, v0
	v_cvt_f32_i32_dpp v1, v6 row_bcast:15 row_mask:0xf bank_mask:0xf bound_ctrl:1
	v_cvt_i32_f32_e32 v4, v2
	v_cvt_f32_i32_dpp v3, v3 row_shr:15 row_mask:0xf bank_mask:0xf bound_ctrl:1
	v_cvt_f32_i32_dpp v0, v0 row_shr:15 row_mask:0xf bank_mask:0xf bound_ctrl:1
	v_add_f32_e32 v9, v5, v1
	v_cvt_f32_i32_dpp v4, v4 row_bcast:15 row_mask:0xf bank_mask:0xf bound_ctrl:1
	v_cvt_i32_f32_e32 v1, v3
	v_cvt_i32_f32_e32 v6, v0
	;; [unrolled: 1-line block ×3, first 2 shown]
	v_add_f32_e32 v5, v2, v4
	v_cvt_f32_i32_dpp v1, v1 row_bcast:15 row_mask:0xf bank_mask:0xf bound_ctrl:1
	v_cvt_f32_i32_dpp v4, v6 row_bcast:15 row_mask:0xf bank_mask:0xf bound_ctrl:1
	v_cvt_i32_f32_e32 v15, v12
	v_cvt_i32_f32_e32 v7, v9
	v_add_f32_e32 v2, v3, v1
	v_add_f32_e32 v0, v0, v4
	v_cvt_i32_f32_e32 v6, v5
	v_cvt_i32_f32_e32 v1, v2
	;; [unrolled: 1-line block ×3, first 2 shown]
	v_mov_b32_dpp v11, v18 row_bcast:31 row_mask:0xf bank_mask:0xf bound_ctrl:1
	v_mov_b32_dpp v8, v15 row_bcast:31 row_mask:0xf bank_mask:0xf bound_ctrl:1
	;; [unrolled: 1-line block ×6, first 2 shown]
	s_and_saveexec_b64 s[30:31], s[0:1]
	s_cbranch_execz .LBB195_81
; %bb.43:                               ;   in Loop: Header=BB195_19 Depth=1
	s_andn2_b64 vcc, exec, s[26:27]
	v_mov_b32_e32 v17, 0
	v_mov_b32_e32 v16, 0
	;; [unrolled: 1-line block ×6, first 2 shown]
	s_cbranch_vccnz .LBB195_45
; %bb.44:                               ;   in Loop: Header=BB195_19 Depth=1
	v_mul_hi_u32 v4, v68, v86
	v_mul_lo_u32 v4, v4, s20
	v_sub_u32_e32 v4, v68, v4
	v_subrev_u32_e32 v7, s20, v4
	v_cmp_le_u32_e32 vcc, s20, v4
	v_mov_b32_e32 v15, v71
	v_mov_b32_e32 v17, v71
	v_cndmask_b32_e32 v4, v4, v7, vcc
	v_subrev_u32_e32 v7, s20, v4
	v_cmp_le_u32_e32 vcc, s20, v4
	s_nop 1
	v_cndmask_b32_e32 v70, v4, v7, vcc
	v_mul_hi_u32 v4, v74, v86
	v_mul_lo_u32 v4, v4, s20
	v_sub_u32_e32 v4, v74, v4
	v_subrev_u32_e32 v7, s20, v4
	v_cmp_le_u32_e32 vcc, s20, v4
	v_lshl_add_u64 v[18:19], v[70:71], 1, s[16:17]
	v_add_u32_e32 v70, s21, v70
	v_cndmask_b32_e32 v4, v4, v7, vcc
	v_subrev_u32_e32 v7, s20, v4
	v_cmp_le_u32_e32 vcc, s20, v4
	v_lshl_add_u64 v[24:25], v[70:71], 1, s[16:17]
	s_nop 0
	v_cndmask_b32_e32 v14, v4, v7, vcc
	v_mul_hi_u32 v4, v72, v86
	v_mul_lo_u32 v4, v4, s20
	v_sub_u32_e32 v4, v72, v4
	v_subrev_u32_e32 v7, s20, v4
	v_cmp_le_u32_e32 vcc, s20, v4
	v_add_u32_e32 v70, s21, v14
	v_lshl_add_u64 v[26:27], v[70:71], 1, s[16:17]
	v_cndmask_b32_e32 v4, v4, v7, vcc
	v_subrev_u32_e32 v7, s20, v4
	v_cmp_le_u32_e32 vcc, s20, v4
	v_lshl_add_u64 v[20:21], v[14:15], 1, s[16:17]
	s_nop 0
	v_cndmask_b32_e32 v16, v4, v7, vcc
	v_add_u32_e32 v70, s21, v16
	v_lshl_add_u64 v[22:23], v[16:17], 1, s[16:17]
	v_lshl_add_u64 v[28:29], v[70:71], 1, s[16:17]
	global_load_ushort v17, v[18:19], off
	global_load_ushort v16, v[20:21], off
	;; [unrolled: 1-line block ×6, first 2 shown]
.LBB195_45:                             ;   in Loop: Header=BB195_19 Depth=1
	v_cmp_ne_u32_e32 vcc, 0, v64
	s_and_saveexec_b64 s[6:7], vcc
	s_cbranch_execnz .LBB195_51
; %bb.46:                               ;   in Loop: Header=BB195_19 Depth=1
	s_or_b64 exec, exec, s[6:7]
	v_cmp_ne_u32_e64 s[4:5], 0, v65
	s_and_saveexec_b64 s[8:9], s[4:5]
	s_cbranch_execnz .LBB195_56
.LBB195_47:                             ;   in Loop: Header=BB195_19 Depth=1
	s_or_b64 exec, exec, s[8:9]
	v_cmp_ne_u32_e64 s[6:7], 0, v66
	s_and_saveexec_b64 s[34:35], s[6:7]
	s_cbranch_execnz .LBB195_61
.LBB195_48:                             ;   in Loop: Header=BB195_19 Depth=1
	s_or_b64 exec, exec, s[34:35]
	v_add_u32_e32 v70, s15, v68
	s_and_saveexec_b64 s[8:9], vcc
	s_cbranch_execnz .LBB195_66
.LBB195_49:                             ;   in Loop: Header=BB195_19 Depth=1
	s_or_b64 exec, exec, s[8:9]
	s_and_saveexec_b64 s[8:9], s[4:5]
	s_cbranch_execnz .LBB195_71
.LBB195_50:                             ;   in Loop: Header=BB195_19 Depth=1
	s_or_b64 exec, exec, s[8:9]
	s_and_b64 exec, exec, s[6:7]
	s_cbranch_execnz .LBB195_76
	s_branch .LBB195_81
.LBB195_51:                             ;   in Loop: Header=BB195_19 Depth=1
	v_cvt_f32_i32_e32 v11, v11
	v_add_f32_e32 v11, v13, v11
	s_waitcnt vmcnt(5)
	v_lshlrev_b32_e32 v13, 16, v17
	v_add_f32_e32 v13, v11, v13
	v_and_b32_e32 v11, 0x7f800000, v13
	v_cmp_ne_u32_e64 s[4:5], s42, v11
                                        ; implicit-def: $vgpr11
	s_and_saveexec_b64 s[8:9], s[4:5]
	s_xor_b64 s[4:5], exec, s[8:9]
; %bb.52:                               ;   in Loop: Header=BB195_19 Depth=1
	v_bfe_u32 v11, v13, 16, 1
	v_add3_u32 v11, v13, v11, s41
                                        ; implicit-def: $vgpr13
; %bb.53:                               ;   in Loop: Header=BB195_19 Depth=1
	s_andn2_saveexec_b64 s[8:9], s[4:5]
; %bb.54:                               ;   in Loop: Header=BB195_19 Depth=1
	v_or_b32_e32 v11, 0x10000, v13
	v_cmp_eq_u32_sdwa s[4:5], v13, v71 src0_sel:WORD_0 src1_sel:DWORD
	s_nop 1
	v_cndmask_b32_e64 v11, v11, v13, s[4:5]
; %bb.55:                               ;   in Loop: Header=BB195_19 Depth=1
	s_or_b64 exec, exec, s[8:9]
	v_mov_b32_e32 v69, v71
	v_lshl_add_u64 v[18:19], v[68:69], 1, s[18:19]
	global_store_short_d16_hi v[18:19], v11, off
	s_or_b64 exec, exec, s[6:7]
	v_cmp_ne_u32_e64 s[4:5], 0, v65
	s_and_saveexec_b64 s[8:9], s[4:5]
	s_cbranch_execz .LBB195_47
.LBB195_56:                             ;   in Loop: Header=BB195_19 Depth=1
	v_cvt_f32_i32_e32 v8, v8
	s_waitcnt vmcnt(4)
	v_lshlrev_b32_e32 v11, 16, v16
	v_add_f32_e32 v8, v12, v8
	v_add_f32_e32 v11, v8, v11
	v_and_b32_e32 v8, 0x7f800000, v11
	v_cmp_ne_u32_e64 s[6:7], s42, v8
                                        ; implicit-def: $vgpr8
	s_and_saveexec_b64 s[34:35], s[6:7]
	s_xor_b64 s[6:7], exec, s[34:35]
; %bb.57:                               ;   in Loop: Header=BB195_19 Depth=1
	v_bfe_u32 v8, v11, 16, 1
	v_add3_u32 v8, v11, v8, s41
                                        ; implicit-def: $vgpr11
; %bb.58:                               ;   in Loop: Header=BB195_19 Depth=1
	s_andn2_saveexec_b64 s[34:35], s[6:7]
; %bb.59:                               ;   in Loop: Header=BB195_19 Depth=1
	v_or_b32_e32 v8, 0x10000, v11
	v_cmp_eq_u32_sdwa s[6:7], v11, v71 src0_sel:WORD_0 src1_sel:DWORD
	s_nop 1
	v_cndmask_b32_e64 v8, v8, v11, s[6:7]
; %bb.60:                               ;   in Loop: Header=BB195_19 Depth=1
	s_or_b64 exec, exec, s[34:35]
	v_mov_b32_e32 v75, v71
	v_lshl_add_u64 v[12:13], v[74:75], 1, s[18:19]
	global_store_short_d16_hi v[12:13], v8, off
	s_or_b64 exec, exec, s[8:9]
	v_cmp_ne_u32_e64 s[6:7], 0, v66
	s_and_saveexec_b64 s[34:35], s[6:7]
	s_cbranch_execz .LBB195_48
.LBB195_61:                             ;   in Loop: Header=BB195_19 Depth=1
	v_cvt_f32_i32_e32 v8, v10
	v_add_f32_e32 v8, v9, v8
	s_waitcnt vmcnt(3)
	v_lshlrev_b32_e32 v9, 16, v15
	v_add_f32_e32 v9, v8, v9
	v_and_b32_e32 v8, 0x7f800000, v9
	v_cmp_ne_u32_e64 s[8:9], s42, v8
                                        ; implicit-def: $vgpr8
	s_and_saveexec_b64 s[36:37], s[8:9]
	s_xor_b64 s[8:9], exec, s[36:37]
; %bb.62:                               ;   in Loop: Header=BB195_19 Depth=1
	v_bfe_u32 v8, v9, 16, 1
	v_add3_u32 v8, v9, v8, s41
                                        ; implicit-def: $vgpr9
; %bb.63:                               ;   in Loop: Header=BB195_19 Depth=1
	s_andn2_saveexec_b64 s[36:37], s[8:9]
; %bb.64:                               ;   in Loop: Header=BB195_19 Depth=1
	v_or_b32_e32 v8, 0x10000, v9
	v_cmp_eq_u32_sdwa s[8:9], v9, v71 src0_sel:WORD_0 src1_sel:DWORD
	s_nop 1
	v_cndmask_b32_e64 v8, v8, v9, s[8:9]
; %bb.65:                               ;   in Loop: Header=BB195_19 Depth=1
	s_or_b64 exec, exec, s[36:37]
	v_mov_b32_e32 v73, v71
	v_lshl_add_u64 v[10:11], v[72:73], 1, s[18:19]
	global_store_short_d16_hi v[10:11], v8, off
	s_or_b64 exec, exec, s[34:35]
	v_add_u32_e32 v70, s15, v68
	s_and_saveexec_b64 s[8:9], vcc
	s_cbranch_execz .LBB195_49
.LBB195_66:                             ;   in Loop: Header=BB195_19 Depth=1
	v_cvt_f32_i32_e32 v6, v6
	v_add_f32_e32 v5, v5, v6
	s_waitcnt vmcnt(2)
	v_lshlrev_b32_e32 v6, 16, v14
	v_add_f32_e32 v6, v5, v6
	v_and_b32_e32 v5, 0x7f800000, v6
	v_cmp_ne_u32_e32 vcc, s42, v5
                                        ; implicit-def: $vgpr5
	s_and_saveexec_b64 s[34:35], vcc
	s_xor_b64 s[34:35], exec, s[34:35]
; %bb.67:                               ;   in Loop: Header=BB195_19 Depth=1
	v_bfe_u32 v5, v6, 16, 1
	v_add3_u32 v5, v6, v5, s41
                                        ; implicit-def: $vgpr6
; %bb.68:                               ;   in Loop: Header=BB195_19 Depth=1
	s_andn2_saveexec_b64 s[34:35], s[34:35]
; %bb.69:                               ;   in Loop: Header=BB195_19 Depth=1
	v_or_b32_e32 v5, 0x10000, v6
	v_cmp_eq_u32_sdwa vcc, v6, v71 src0_sel:WORD_0 src1_sel:DWORD
	s_nop 1
	v_cndmask_b32_e32 v5, v5, v6, vcc
; %bb.70:                               ;   in Loop: Header=BB195_19 Depth=1
	s_or_b64 exec, exec, s[34:35]
	v_lshl_add_u64 v[8:9], v[70:71], 1, s[18:19]
	global_store_short_d16_hi v[8:9], v5, off
	s_or_b64 exec, exec, s[8:9]
	s_and_saveexec_b64 s[8:9], s[4:5]
	s_cbranch_execz .LBB195_50
.LBB195_71:                             ;   in Loop: Header=BB195_19 Depth=1
	v_cvt_f32_i32_e32 v3, v3
	v_add_f32_e32 v2, v2, v3
	s_waitcnt vmcnt(1)
	v_lshlrev_b32_e32 v3, 16, v7
	v_add_f32_e32 v3, v2, v3
	v_and_b32_e32 v2, 0x7f800000, v3
	v_cmp_ne_u32_e32 vcc, s42, v2
                                        ; implicit-def: $vgpr2
	s_and_saveexec_b64 s[4:5], vcc
	s_xor_b64 s[4:5], exec, s[4:5]
; %bb.72:                               ;   in Loop: Header=BB195_19 Depth=1
	v_bfe_u32 v2, v3, 16, 1
	v_add3_u32 v2, v3, v2, s41
                                        ; implicit-def: $vgpr3
; %bb.73:                               ;   in Loop: Header=BB195_19 Depth=1
	s_andn2_saveexec_b64 s[4:5], s[4:5]
; %bb.74:                               ;   in Loop: Header=BB195_19 Depth=1
	v_or_b32_e32 v2, 0x10000, v3
	v_cmp_eq_u32_sdwa vcc, v3, v71 src0_sel:WORD_0 src1_sel:DWORD
	s_nop 1
	v_cndmask_b32_e32 v2, v2, v3, vcc
; %bb.75:                               ;   in Loop: Header=BB195_19 Depth=1
	s_or_b64 exec, exec, s[4:5]
	v_add_u32_e32 v6, 1, v70
	v_mov_b32_e32 v7, v71
	v_lshl_add_u64 v[6:7], v[6:7], 1, s[18:19]
	global_store_short_d16_hi v[6:7], v2, off
	s_or_b64 exec, exec, s[8:9]
	s_and_b64 exec, exec, s[6:7]
	s_cbranch_execz .LBB195_81
.LBB195_76:                             ;   in Loop: Header=BB195_19 Depth=1
	v_cvt_f32_i32_e32 v1, v1
	v_add_f32_e32 v0, v0, v1
	s_waitcnt vmcnt(0)
	v_lshlrev_b32_e32 v1, 16, v4
	v_add_f32_e32 v1, v0, v1
	v_and_b32_e32 v0, 0x7f800000, v1
	v_cmp_ne_u32_e32 vcc, s42, v0
                                        ; implicit-def: $vgpr0
	s_and_saveexec_b64 s[4:5], vcc
	s_xor_b64 s[4:5], exec, s[4:5]
; %bb.77:                               ;   in Loop: Header=BB195_19 Depth=1
	v_bfe_u32 v0, v1, 16, 1
	v_add3_u32 v0, v1, v0, s41
                                        ; implicit-def: $vgpr1
; %bb.78:                               ;   in Loop: Header=BB195_19 Depth=1
	s_andn2_saveexec_b64 s[4:5], s[4:5]
; %bb.79:                               ;   in Loop: Header=BB195_19 Depth=1
	v_or_b32_e32 v0, 0x10000, v1
	v_cmp_eq_u32_sdwa vcc, v1, v71 src0_sel:WORD_0 src1_sel:DWORD
	s_nop 1
	v_cndmask_b32_e32 v0, v0, v1, vcc
; %bb.80:                               ;   in Loop: Header=BB195_19 Depth=1
	s_or_b64 exec, exec, s[4:5]
	v_add_u32_e32 v70, 2, v70
	v_lshl_add_u64 v[2:3], v[70:71], 1, s[18:19]
	global_store_short_d16_hi v[2:3], v0, off
.LBB195_81:                             ;   in Loop: Header=BB195_19 Depth=1
	s_or_b64 exec, exec, s[30:31]
	v_add_u32_e32 v68, s39, v68
	v_add_u32_e32 v0, 3, v68
	v_cmp_gt_u32_e32 vcc, s15, v68
	v_cmp_le_u32_e64 s[4:5], s15, v0
	s_and_b64 s[4:5], vcc, s[4:5]
	s_and_saveexec_b64 s[6:7], s[4:5]
	s_cbranch_execz .LBB195_18
; %bb.82:                               ;   in Loop: Header=BB195_19 Depth=1
	v_cmp_ne_u32_e32 vcc, s40, v68
	s_and_saveexec_b64 s[8:9], vcc
	s_cbranch_execz .LBB195_17
; %bb.83:                               ;   in Loop: Header=BB195_19 Depth=1
	v_subrev_u32_e32 v0, s40, v68
	v_cmp_lt_u32_e32 vcc, 1, v0
	s_mov_b64 s[30:31], 0
	s_mov_b64 s[34:35], 0
	v_cndmask_b32_e32 v0, 1, v0, vcc
.LBB195_84:                             ;   Parent Loop BB195_19 Depth=1
                                        ; =>  This Inner Loop Header: Depth=2
	s_cmp_lg_u32 s34, 2
	s_cselect_b64 vcc, -1, 0
	s_cmp_lg_u32 s34, 1
	v_cndmask_b32_e32 v66, 0, v66, vcc
	s_cselect_b64 vcc, -1, 0
	s_cmp_lg_u32 s34, 0
	v_cndmask_b32_e32 v65, 0, v65, vcc
	s_cselect_b64 vcc, -1, 0
	s_add_u32 s34, s34, 1
	s_addc_u32 s35, s35, 0
	v_cmp_eq_u32_e64 s[4:5], s34, v0
	s_or_b64 s[30:31], s[4:5], s[30:31]
	v_cndmask_b32_e32 v64, 0, v64, vcc
	s_andn2_b64 exec, exec, s[30:31]
	s_cbranch_execnz .LBB195_84
; %bb.85:                               ;   in Loop: Header=BB195_19 Depth=1
	s_or_b64 exec, exec, s[30:31]
	s_branch .LBB195_17
.LBB195_86:
	s_endpgm
	.section	.rodata,"a",@progbits
	.p2align	6, 0x0
	.amdhsa_kernel _Z12wvSplitK_hf_I14__hip_bfloat16Li32ELi3ELi16ELi8ELi2ELi2EEviiiiiiPKT_S3_S3_PS1_ii
		.amdhsa_group_segment_fixed_size 65536
		.amdhsa_private_segment_fixed_size 0
		.amdhsa_kernarg_size 64
		.amdhsa_user_sgpr_count 2
		.amdhsa_user_sgpr_dispatch_ptr 0
		.amdhsa_user_sgpr_queue_ptr 0
		.amdhsa_user_sgpr_kernarg_segment_ptr 1
		.amdhsa_user_sgpr_dispatch_id 0
		.amdhsa_user_sgpr_kernarg_preload_length 0
		.amdhsa_user_sgpr_kernarg_preload_offset 0
		.amdhsa_user_sgpr_private_segment_size 0
		.amdhsa_uses_dynamic_stack 0
		.amdhsa_enable_private_segment 0
		.amdhsa_system_sgpr_workgroup_id_x 1
		.amdhsa_system_sgpr_workgroup_id_y 0
		.amdhsa_system_sgpr_workgroup_id_z 0
		.amdhsa_system_sgpr_workgroup_info 0
		.amdhsa_system_vgpr_workitem_id 1
		.amdhsa_next_free_vgpr 87
		.amdhsa_next_free_sgpr 43
		.amdhsa_accum_offset 88
		.amdhsa_reserve_vcc 1
		.amdhsa_float_round_mode_32 0
		.amdhsa_float_round_mode_16_64 0
		.amdhsa_float_denorm_mode_32 3
		.amdhsa_float_denorm_mode_16_64 3
		.amdhsa_dx10_clamp 1
		.amdhsa_ieee_mode 1
		.amdhsa_fp16_overflow 0
		.amdhsa_tg_split 0
		.amdhsa_exception_fp_ieee_invalid_op 0
		.amdhsa_exception_fp_denorm_src 0
		.amdhsa_exception_fp_ieee_div_zero 0
		.amdhsa_exception_fp_ieee_overflow 0
		.amdhsa_exception_fp_ieee_underflow 0
		.amdhsa_exception_fp_ieee_inexact 0
		.amdhsa_exception_int_div_zero 0
	.end_amdhsa_kernel
	.section	.text._Z12wvSplitK_hf_I14__hip_bfloat16Li32ELi3ELi16ELi8ELi2ELi2EEviiiiiiPKT_S3_S3_PS1_ii,"axG",@progbits,_Z12wvSplitK_hf_I14__hip_bfloat16Li32ELi3ELi16ELi8ELi2ELi2EEviiiiiiPKT_S3_S3_PS1_ii,comdat
.Lfunc_end195:
	.size	_Z12wvSplitK_hf_I14__hip_bfloat16Li32ELi3ELi16ELi8ELi2ELi2EEviiiiiiPKT_S3_S3_PS1_ii, .Lfunc_end195-_Z12wvSplitK_hf_I14__hip_bfloat16Li32ELi3ELi16ELi8ELi2ELi2EEviiiiiiPKT_S3_S3_PS1_ii
                                        ; -- End function
	.section	.AMDGPU.csdata,"",@progbits
; Kernel info:
; codeLenInByte = 4008
; NumSgprs: 49
; NumVgprs: 87
; NumAgprs: 0
; TotalNumVgprs: 87
; ScratchSize: 0
; MemoryBound: 1
; FloatMode: 240
; IeeeMode: 1
; LDSByteSize: 65536 bytes/workgroup (compile time only)
; SGPRBlocks: 6
; VGPRBlocks: 10
; NumSGPRsForWavesPerEU: 49
; NumVGPRsForWavesPerEU: 87
; AccumOffset: 88
; Occupancy: 2
; WaveLimiterHint : 0
; COMPUTE_PGM_RSRC2:SCRATCH_EN: 0
; COMPUTE_PGM_RSRC2:USER_SGPR: 2
; COMPUTE_PGM_RSRC2:TRAP_HANDLER: 0
; COMPUTE_PGM_RSRC2:TGID_X_EN: 1
; COMPUTE_PGM_RSRC2:TGID_Y_EN: 0
; COMPUTE_PGM_RSRC2:TGID_Z_EN: 0
; COMPUTE_PGM_RSRC2:TIDIG_COMP_CNT: 1
; COMPUTE_PGM_RSRC3_GFX90A:ACCUM_OFFSET: 21
; COMPUTE_PGM_RSRC3_GFX90A:TG_SPLIT: 0
	.section	.text._Z16wvSplitK_hf_big_I14__hip_bfloat16Li32ELi3ELi16ELi8ELi2ELi2EEviiiiiiPKT_S3_S3_PS1_ii,"axG",@progbits,_Z16wvSplitK_hf_big_I14__hip_bfloat16Li32ELi3ELi16ELi8ELi2ELi2EEviiiiiiPKT_S3_S3_PS1_ii,comdat
	.protected	_Z16wvSplitK_hf_big_I14__hip_bfloat16Li32ELi3ELi16ELi8ELi2ELi2EEviiiiiiPKT_S3_S3_PS1_ii ; -- Begin function _Z16wvSplitK_hf_big_I14__hip_bfloat16Li32ELi3ELi16ELi8ELi2ELi2EEviiiiiiPKT_S3_S3_PS1_ii
	.globl	_Z16wvSplitK_hf_big_I14__hip_bfloat16Li32ELi3ELi16ELi8ELi2ELi2EEviiiiiiPKT_S3_S3_PS1_ii
	.p2align	8
	.type	_Z16wvSplitK_hf_big_I14__hip_bfloat16Li32ELi3ELi16ELi8ELi2ELi2EEviiiiiiPKT_S3_S3_PS1_ii,@function
_Z16wvSplitK_hf_big_I14__hip_bfloat16Li32ELi3ELi16ELi8ELi2ELi2EEviiiiiiPKT_S3_S3_PS1_ii: ; @_Z16wvSplitK_hf_big_I14__hip_bfloat16Li32ELi3ELi16ELi8ELi2ELi2EEviiiiiiPKT_S3_S3_PS1_ii
; %bb.0:
	s_load_dwordx2 s[8:9], s[0:1], 0x38
	v_bfe_u32 v1, v0, 10, 10
	s_waitcnt lgkmcnt(0)
	v_cmp_gt_u32_e32 vcc, s8, v1
	s_and_saveexec_b64 s[4:5], vcc
	s_cbranch_execz .LBB196_76
; %bb.1:
	s_load_dwordx4 s[20:23], s[0:1], 0x0
	s_mul_i32 s2, s2, s8
	v_add_u32_e32 v2, s2, v1
	v_lshl_add_u32 v68, v2, 1, v2
	s_mov_b32 s4, 1
	v_add_u32_e32 v2, 3, v68
	s_mov_b32 s6, s4
	s_waitcnt lgkmcnt(0)
	v_cmp_gt_u32_e32 vcc, s23, v68
	v_cmp_le_u32_e64 s[2:3], s23, v2
	s_mov_b32 s5, s4
	v_mov_b32_e32 v66, s6
	s_and_b64 s[10:11], vcc, s[2:3]
	v_mov_b32_e32 v65, s5
	v_mov_b32_e32 v64, s4
	s_and_saveexec_b64 s[2:3], s[10:11]
	s_cbranch_execz .LBB196_7
; %bb.2:
	s_add_i32 s7, s23, -3
	v_mov_b32_e32 v66, s6
	v_cmp_ne_u32_e32 vcc, s7, v68
	v_mov_b32_e32 v65, s5
	v_mov_b32_e32 v64, s4
	s_and_saveexec_b64 s[10:11], vcc
	s_cbranch_execz .LBB196_6
; %bb.3:
	v_subrev_u32_e32 v2, s7, v68
	v_cmp_lt_u32_e32 vcc, 1, v2
	s_mov_b64 s[12:13], 0
	s_mov_b64 s[14:15], 0
	v_cndmask_b32_e32 v2, 1, v2, vcc
	s_mov_b32 s5, s4
	s_mov_b32 s6, s4
.LBB196_4:                              ; =>This Inner Loop Header: Depth=1
	s_cmp_lg_u32 s14, 2
	s_cselect_b32 s6, s6, 0
	s_cmp_lg_u32 s14, 1
	s_cselect_b32 s5, s5, 0
	;; [unrolled: 2-line block ×3, first 2 shown]
	s_add_u32 s14, s14, 1
	s_addc_u32 s15, s15, 0
	v_cmp_eq_u32_e32 vcc, s14, v2
	v_mov_b32_e32 v66, s6
	s_or_b64 s[12:13], vcc, s[12:13]
	v_mov_b32_e32 v65, s5
	v_mov_b32_e32 v64, s4
	s_andn2_b64 exec, exec, s[12:13]
	s_cbranch_execnz .LBB196_4
; %bb.5:
	s_or_b64 exec, exec, s[12:13]
	v_mov_b32_e32 v68, s7
.LBB196_6:
	s_or_b64 exec, exec, s[10:11]
.LBB196_7:
	s_or_b64 exec, exec, s[2:3]
	s_mul_i32 s46, s8, 3
	s_abs_i32 s2, s46
	v_cvt_f32_u32_e32 v2, s2
	s_sub_i32 s5, 0, s2
	s_abs_i32 s4, s23
	s_ashr_i32 s3, s23, 31
	v_rcp_iflag_f32_e32 v2, v2
	s_nop 0
	v_mul_f32_e32 v2, 0x4f7ffffe, v2
	v_cvt_u32_f32_e32 v2, v2
	s_nop 0
	v_readfirstlane_b32 s6, v2
	s_mul_i32 s5, s5, s6
	s_mul_hi_u32 s5, s6, s5
	s_add_i32 s6, s6, s5
	s_mul_hi_u32 s5, s4, s6
	s_mul_i32 s5, s5, s2
	s_sub_i32 s4, s4, s5
	s_sub_i32 s5, s4, s2
	s_cmp_ge_u32 s4, s2
	s_cselect_b32 s4, s5, s4
	s_sub_i32 s5, s4, s2
	s_cmp_ge_u32 s4, s2
	s_cselect_b32 s2, s5, s4
	s_xor_b32 s2, s2, s3
	s_sub_i32 s2, s2, s3
	s_add_i32 s3, s46, s23
	s_sub_i32 s3, s3, s2
	s_cmp_eq_u32 s2, 0
	s_cselect_b32 s33, s23, s3
	v_cmp_gt_u32_e32 vcc, s33, v68
	s_and_b64 exec, exec, vcc
	s_cbranch_execz .LBB196_76
; %bb.8:
	s_load_dwordx8 s[12:19], s[0:1], 0x10
	s_min_u32 s42, s22, 0x4000
	s_cmp_lg_u32 s20, 0
	s_cselect_b64 s[2:3], -1, 0
	s_cmp_lg_u32 s22, 0
	s_waitcnt lgkmcnt(0)
	v_cvt_f32_u32_e32 v2, s12
	s_cselect_b64 s[4:5], -1, 0
	s_lshl_b32 s43, s8, 8
	s_add_i32 s44, s20, -8
	v_rcp_iflag_f32_e32 v2, v2
	s_add_i32 s45, s23, -1
	s_cmp_lg_u64 s[18:19], 0
	s_cselect_b64 s[28:29], -1, 0
	v_mul_f32_e32 v2, 0x4f7ffffe, v2
	v_cvt_u32_f32_e32 v2, v2
	s_sub_i32 s6, 0, s12
	s_load_dwordx2 s[24:25], s[0:1], 0x30
	s_add_i32 s47, s23, -3
	v_mul_lo_u32 v3, s6, v2
	s_abs_i32 s6, s13
	s_sub_i32 s7, 1, s6
	s_cmp_lt_u32 s6, 2
	v_and_b32_e32 v0, 0x3ff, v0
	s_cselect_b32 s7, s7, 1
	v_lshlrev_b32_e32 v67, 3, v0
	s_mul_i32 s46, s46, s9
	v_cmp_eq_u32_e64 s[0:1], 31, v0
	s_sub_i32 s9, s7, s6
	v_lshlrev_b32_e32 v0, 4, v0
	s_cmp_ge_u32 s7, s6
	v_lshl_add_u32 v79, v1, 9, v0
	v_cndmask_b32_e64 v0, 0, 1, s[2:3]
	v_mul_hi_u32 v3, v2, v3
	s_cselect_b32 s13, s9, s7
	s_waitcnt lgkmcnt(0)
	s_add_u32 s30, s24, 2
	v_lshl_add_u32 v80, v1, 8, v67
	v_cmp_ne_u32_e64 s[2:3], 1, v0
	v_cndmask_b32_e64 v0, 0, 1, s[4:5]
	s_mov_b64 s[26:27], 0
	v_add_u32_e32 v78, v2, v3
	v_mov_b32_e32 v71, 0
	s_mul_i32 s13, s13, s12
	s_addc_u32 s31, s25, 0
	s_lshl_b32 s48, s42, 1
	s_lshl_b32 s49, s8, 9
	v_add_u32_e32 v81, s22, v80
	v_cmp_ne_u32_e64 s[4:5], 1, v0
	s_mov_b32 s50, 0x7f800000
	s_movk_i32 s51, 0x7fff
	s_branch .LBB196_12
.LBB196_9:                              ;   in Loop: Header=BB196_12 Depth=1
	s_or_b64 exec, exec, s[10:11]
	v_mov_b32_e32 v68, s47
.LBB196_10:                             ;   in Loop: Header=BB196_12 Depth=1
	s_or_b64 exec, exec, s[8:9]
.LBB196_11:                             ;   in Loop: Header=BB196_12 Depth=1
	s_or_b64 exec, exec, s[34:35]
	v_cmp_le_u32_e32 vcc, s33, v68
	s_or_b64 s[26:27], vcc, s[26:27]
	s_andn2_b64 exec, exec, s[26:27]
	s_cbranch_execz .LBB196_76
.LBB196_12:                             ; =>This Loop Header: Depth=1
                                        ;     Child Loop BB196_17 Depth 2
                                        ;       Child Loop BB196_22 Depth 3
                                        ;     Child Loop BB196_74 Depth 2
	s_and_b64 vcc, exec, s[2:3]
	v_mov_b32_e32 v3, v71
	v_mov_b32_e32 v2, v71
	;; [unrolled: 1-line block ×4, first 2 shown]
	s_waitcnt vmcnt(1)
	v_mov_b32_e32 v7, v71
	v_mov_b32_e32 v6, v71
	;; [unrolled: 1-line block ×3, first 2 shown]
	s_waitcnt vmcnt(0)
	v_mov_b32_e32 v4, v71
	v_mov_b32_e32 v11, v71
	;; [unrolled: 1-line block ×17, first 2 shown]
	s_cbranch_vccnz .LBB196_29
; %bb.13:                               ;   in Loop: Header=BB196_12 Depth=1
	v_min_u32_e32 v0, s45, v68
	v_mul_lo_u32 v70, v0, s21
	v_add_u32_e32 v0, 1, v68
	v_add_u32_e32 v2, 2, v68
	v_min_u32_e32 v0, s45, v0
	v_min_u32_e32 v2, s45, v2
	v_mul_lo_u32 v0, v0, s21
	v_mov_b32_e32 v1, v71
	v_mul_lo_u32 v2, v2, s21
	v_mov_b32_e32 v3, v71
	v_mov_b32_e32 v20, 0
	v_cmp_gt_u32_e64 s[6:7], s23, v68
	s_mov_b32 s36, 0
	v_lshlrev_b64 v[72:73], 1, v[70:71]
	v_lshlrev_b64 v[74:75], 1, v[0:1]
	;; [unrolled: 1-line block ×3, first 2 shown]
	s_mov_b32 s37, 0
	v_mov_b32_e32 v21, v20
	v_mov_b32_e32 v22, v20
	;; [unrolled: 1-line block ×23, first 2 shown]
	s_branch .LBB196_17
.LBB196_14:                             ;   in Loop: Header=BB196_17 Depth=2
	s_or_b64 exec, exec, s[34:35]
.LBB196_15:                             ;   in Loop: Header=BB196_17 Depth=2
	s_or_b64 exec, exec, s[10:11]
	s_waitcnt vmcnt(5) lgkmcnt(1)
	v_mfma_f32_4x4x4_16b_bf16 v[20:23], v[60:61], v[40:41], v[20:23]
	s_waitcnt vmcnt(4)
	v_mfma_f32_4x4x4_16b_bf16 v[16:19], v[60:61], v[36:37], v[16:19]
	s_waitcnt vmcnt(3)
	v_mfma_f32_4x4x4_16b_bf16 v[12:15], v[60:61], v[48:49], v[12:15]
	s_waitcnt lgkmcnt(0)
	v_mfma_f32_4x4x4_16b_bf16 v[8:11], v[56:57], v[40:41], v[8:11]
	v_mfma_f32_4x4x4_16b_bf16 v[4:7], v[56:57], v[36:37], v[4:7]
	v_mfma_f32_4x4x4_16b_bf16 v[0:3], v[56:57], v[48:49], v[0:3]
	v_mfma_f32_4x4x4_16b_bf16 v[20:23], v[62:63], v[42:43], v[20:23]
	v_mfma_f32_4x4x4_16b_bf16 v[16:19], v[62:63], v[38:39], v[16:19]
	v_mfma_f32_4x4x4_16b_bf16 v[12:15], v[62:63], v[50:51], v[12:15]
	v_mfma_f32_4x4x4_16b_bf16 v[8:11], v[58:59], v[42:43], v[8:11]
	v_mfma_f32_4x4x4_16b_bf16 v[4:7], v[58:59], v[38:39], v[4:7]
	v_mfma_f32_4x4x4_16b_bf16 v[0:3], v[58:59], v[50:51], v[0:3]
	s_waitcnt vmcnt(2)
	v_mfma_f32_4x4x4_16b_bf16 v[20:23], v[52:53], v[24:25], v[20:23]
	s_waitcnt vmcnt(1)
	v_mfma_f32_4x4x4_16b_bf16 v[16:19], v[52:53], v[32:33], v[16:19]
	;; [unrolled: 2-line block ×3, first 2 shown]
	v_mfma_f32_4x4x4_16b_bf16 v[8:11], v[44:45], v[24:25], v[8:11]
	v_mfma_f32_4x4x4_16b_bf16 v[4:7], v[44:45], v[32:33], v[4:7]
	v_mfma_f32_4x4x4_16b_bf16 v[0:3], v[44:45], v[28:29], v[0:3]
	v_mfma_f32_4x4x4_16b_bf16 v[20:23], v[54:55], v[26:27], v[20:23]
	v_mfma_f32_4x4x4_16b_bf16 v[16:19], v[54:55], v[34:35], v[16:19]
	v_mfma_f32_4x4x4_16b_bf16 v[12:15], v[54:55], v[30:31], v[12:15]
	v_mfma_f32_4x4x4_16b_bf16 v[8:11], v[46:47], v[26:27], v[8:11]
	v_mfma_f32_4x4x4_16b_bf16 v[4:7], v[46:47], v[34:35], v[4:7]
	v_mfma_f32_4x4x4_16b_bf16 v[0:3], v[46:47], v[30:31], v[0:3]
.LBB196_16:                             ;   in Loop: Header=BB196_17 Depth=2
	s_or_b64 exec, exec, s[8:9]
	s_addk_i32 s37, 0x200
	s_cmp_ge_u32 s37, s20
	s_cbranch_scc1 .LBB196_29
.LBB196_17:                             ;   Parent Loop BB196_12 Depth=1
                                        ; =>  This Loop Header: Depth=2
                                        ;       Child Loop BB196_22 Depth 3
	s_cmp_eq_u32 s37, 0
	s_cselect_b64 s[8:9], -1, 0
	s_add_i32 s10, s36, s42
	s_cmp_eq_u32 s37, s10
	s_cselect_b64 s[34:35], -1, 0
	s_or_b64 s[34:35], s[8:9], s[34:35]
	s_andn2_b64 vcc, exec, s[34:35]
	s_cbranch_vccz .LBB196_19
; %bb.18:                               ;   in Loop: Header=BB196_17 Depth=2
	s_and_saveexec_b64 s[8:9], s[6:7]
	s_cbranch_execz .LBB196_16
	s_branch .LBB196_26
.LBB196_19:                             ;   in Loop: Header=BB196_17 Depth=2
	s_and_b64 s[8:9], s[8:9], exec
	s_cselect_b32 s36, s36, s10
	s_and_b64 vcc, exec, s[4:5]
	s_barrier
	s_cbranch_vccnz .LBB196_25
; %bb.20:                               ;   in Loop: Header=BB196_17 Depth=2
	v_add_u32_e32 v24, s36, v81
	v_add_u32_e32 v25, s36, v80
	s_mov_b32 s38, 0
	s_mov_b64 s[10:11], 0
	v_mov_b32_e32 v26, v79
                                        ; implicit-def: $sgpr34_sgpr35
	s_branch .LBB196_22
.LBB196_21:                             ;   in Loop: Header=BB196_22 Depth=3
	s_or_b64 exec, exec, s[8:9]
	s_and_b64 s[8:9], exec, s[34:35]
	s_or_b64 s[10:11], s[8:9], s[10:11]
	s_andn2_b64 exec, exec, s[10:11]
	s_cbranch_execz .LBB196_24
.LBB196_22:                             ;   Parent Loop BB196_12 Depth=1
                                        ;     Parent Loop BB196_17 Depth=2
                                        ; =>    This Inner Loop Header: Depth=3
	v_add_u32_e32 v27, s38, v80
	v_add_u32_e32 v70, s38, v25
	v_cmp_gt_u32_e32 vcc, s22, v70
	v_cmp_gt_u32_e64 s[8:9], s42, v27
	s_and_b64 s[40:41], s[8:9], vcc
	s_or_b64 s[34:35], s[34:35], exec
	s_and_saveexec_b64 s[8:9], s[40:41]
	s_cbranch_execz .LBB196_21
; %bb.23:                               ;   in Loop: Header=BB196_22 Depth=3
	v_lshl_add_u64 v[28:29], v[70:71], 1, s[16:17]
	v_add_u32_e32 v70, s38, v24
	global_load_dwordx4 v[28:31], v[28:29], off
	v_lshl_add_u64 v[32:33], v[70:71], 1, s[16:17]
	global_load_dwordx4 v[32:35], v[32:33], off
	s_add_i32 s38, s38, s43
	s_cmp_ge_u32 s38, s42
	s_cselect_b64 s[40:41], -1, 0
	s_andn2_b64 s[34:35], s[34:35], exec
	s_and_b64 s[40:41], s[40:41], exec
	v_add_u32_e32 v27, s48, v26
	s_or_b64 s[34:35], s[34:35], s[40:41]
	s_waitcnt vmcnt(1)
	ds_write_b128 v26, v[28:31]
	v_add_u32_e32 v26, s49, v26
	s_waitcnt vmcnt(0)
	ds_write2_b64 v27, v[32:33], v[34:35] offset1:1
	s_branch .LBB196_21
.LBB196_24:                             ;   in Loop: Header=BB196_17 Depth=2
	s_or_b64 exec, exec, s[10:11]
.LBB196_25:                             ;   in Loop: Header=BB196_17 Depth=2
	s_waitcnt lgkmcnt(0)
	s_barrier
	s_and_saveexec_b64 s[8:9], s[6:7]
	s_cbranch_execz .LBB196_16
.LBB196_26:                             ;   in Loop: Header=BB196_17 Depth=2
	v_add_u32_e32 v69, s37, v67
	v_min_u32_e32 v70, s44, v69
	v_add_u32_e32 v82, 0x100, v69
	v_lshl_add_u64 v[24:25], v[70:71], 1, s[14:15]
	v_min_u32_e32 v70, s44, v82
	v_lshl_add_u64 v[26:27], v[24:25], 0, v[72:73]
	v_lshl_add_u64 v[28:29], v[24:25], 0, v[74:75]
	;; [unrolled: 1-line block ×3, first 2 shown]
	global_load_dwordx4 v[40:43], v[26:27], off nt
	global_load_dwordx4 v[36:39], v[28:29], off nt
	v_lshl_add_u64 v[28:29], v[24:25], 0, v[76:77]
	v_lshl_add_u64 v[32:33], v[30:31], 0, v[72:73]
	;; [unrolled: 1-line block ×3, first 2 shown]
	global_load_dwordx4 v[48:51], v[28:29], off nt
	global_load_dwordx4 v[24:27], v[32:33], off nt
	v_lshl_add_u64 v[46:47], v[30:31], 0, v[76:77]
	global_load_dwordx4 v[32:35], v[44:45], off nt
	global_load_dwordx4 v[28:31], v[46:47], off nt
	v_cmp_gt_u32_e32 vcc, s20, v69
	v_mov_b32_e32 v46, 0
	v_mov_b32_e32 v47, 0
	;; [unrolled: 1-line block ×16, first 2 shown]
	s_and_saveexec_b64 s[10:11], vcc
	s_cbranch_execz .LBB196_15
; %bb.27:                               ;   in Loop: Header=BB196_17 Depth=2
	v_subrev_u32_e32 v44, s36, v69
	v_lshlrev_b32_e32 v70, 1, v44
	v_lshl_add_u32 v69, s42, 1, v70
	ds_read_b128 v[60:63], v70
	ds_read_b128 v[56:59], v69
	v_cmp_gt_u32_e32 vcc, s20, v82
	v_mov_b32_e32 v53, 0
	v_mov_b32_e32 v52, 0
	;; [unrolled: 1-line block ×8, first 2 shown]
	s_and_saveexec_b64 s[34:35], vcc
	s_cbranch_execz .LBB196_14
; %bb.28:                               ;   in Loop: Header=BB196_17 Depth=2
	ds_read_b128 v[52:55], v70 offset:512
	ds_read_b128 v[44:47], v69 offset:512
	s_branch .LBB196_14
.LBB196_29:                             ;   in Loop: Header=BB196_12 Depth=1
	v_cmp_le_u32_e32 vcc, s23, v68
	s_and_saveexec_b64 s[6:7], vcc
	s_xor_b64 s[6:7], exec, s[6:7]
; %bb.30:                               ;   in Loop: Header=BB196_12 Depth=1
	v_add_u32_e32 v68, s46, v68
                                        ; implicit-def: $vgpr3
                                        ; implicit-def: $vgpr7
                                        ; implicit-def: $vgpr11
                                        ; implicit-def: $vgpr15
                                        ; implicit-def: $vgpr19
                                        ; implicit-def: $vgpr23
; %bb.31:                               ;   in Loop: Header=BB196_12 Depth=1
	s_andn2_saveexec_b64 s[34:35], s[6:7]
	s_cbranch_execz .LBB196_11
; %bb.32:                               ;   in Loop: Header=BB196_12 Depth=1
	v_cvt_i32_f32_e32 v21, v21
	v_cvt_i32_f32_e32 v22, v22
	;; [unrolled: 1-line block ×4, first 2 shown]
	v_cvt_f32_i32_dpp v21, v21 row_shl:1 row_mask:0xf bank_mask:0xf bound_ctrl:1
	v_cvt_f32_i32_dpp v22, v22 row_shl:2 row_mask:0xf bank_mask:0xf bound_ctrl:1
	v_cvt_i32_f32_e32 v18, v18
	v_cvt_f32_i32_dpp v23, v23 row_shl:3 row_mask:0xf bank_mask:0xf bound_ctrl:1
	v_cvt_i32_f32_e32 v19, v19
	v_add_f32_e32 v20, v20, v21
	v_add_f32_e32 v20, v20, v22
	v_cvt_f32_i32_dpp v17, v17 row_shl:1 row_mask:0xf bank_mask:0xf bound_ctrl:1
	v_add_f32_e32 v20, v20, v23
	v_cvt_f32_i32_dpp v18, v18 row_shl:2 row_mask:0xf bank_mask:0xf bound_ctrl:1
	v_cvt_f32_i32_dpp v19, v19 row_shl:3 row_mask:0xf bank_mask:0xf bound_ctrl:1
	v_cvt_i32_f32_e32 v21, v20
	v_add_f32_e32 v16, v16, v17
	v_add_f32_e32 v16, v16, v18
	;; [unrolled: 1-line block ×3, first 2 shown]
	v_cvt_f32_i32_dpp v18, v21 row_shl:4 row_mask:0xf bank_mask:0xf bound_ctrl:1
	v_cvt_i32_f32_e32 v17, v16
	v_cvt_i32_f32_e32 v13, v13
	;; [unrolled: 1-line block ×3, first 2 shown]
	v_add_f32_e32 v18, v20, v18
	v_cvt_f32_i32_dpp v17, v17 row_shl:4 row_mask:0xf bank_mask:0xf bound_ctrl:1
	v_cvt_i32_f32_e32 v19, v18
	v_cvt_i32_f32_e32 v15, v15
	v_cvt_f32_i32_dpp v13, v13 row_shl:1 row_mask:0xf bank_mask:0xf bound_ctrl:1
	v_add_f32_e32 v16, v16, v17
	v_cvt_f32_i32_dpp v19, v19 row_shl:8 row_mask:0xf bank_mask:0xf bound_ctrl:1
	v_cvt_i32_f32_e32 v17, v16
	v_cvt_i32_f32_e32 v9, v9
	v_cvt_f32_i32_dpp v14, v14 row_shl:2 row_mask:0xf bank_mask:0xf bound_ctrl:1
	;; [unrolled: 5-line block ×3, first 2 shown]
	v_add_f32_e32 v16, v16, v17
	v_cvt_f32_i32_dpp v17, v18 row_shr:15 row_mask:0xf bank_mask:0xf bound_ctrl:1
	v_cvt_i32_f32_e32 v16, v16
	v_cvt_i32_f32_e32 v11, v11
	;; [unrolled: 1-line block ×4, first 2 shown]
	v_cvt_f32_i32_dpp v16, v16 row_shr:15 row_mask:0xf bank_mask:0xf bound_ctrl:1
	v_add_f32_e32 v12, v12, v13
	v_cvt_f32_i32_dpp v9, v9 row_shl:1 row_mask:0xf bank_mask:0xf bound_ctrl:1
	v_cvt_i32_f32_e32 v1, v1
	v_add_f32_e32 v12, v12, v14
	v_cvt_f32_i32_dpp v10, v10 row_shl:2 row_mask:0xf bank_mask:0xf bound_ctrl:1
	v_cvt_i32_f32_e32 v6, v6
	v_cvt_i32_f32_e32 v2, v2
	v_add_f32_e32 v14, v12, v15
	v_cvt_f32_i32_dpp v11, v11 row_shl:3 row_mask:0xf bank_mask:0xf bound_ctrl:1
	v_cvt_f32_i32_dpp v5, v5 row_shl:1 row_mask:0xf bank_mask:0xf bound_ctrl:1
	v_cvt_i32_f32_e32 v7, v7
	v_cvt_i32_f32_e32 v3, v3
	v_cvt_f32_i32_dpp v18, v18 row_bcast:15 row_mask:0xf bank_mask:0xf bound_ctrl:1
	v_cvt_i32_f32_e32 v12, v14
	v_cvt_i32_f32_e32 v19, v16
	v_add_f32_e32 v8, v8, v9
	v_cvt_f32_i32_dpp v1, v1 row_shl:1 row_mask:0xf bank_mask:0xf bound_ctrl:1
	v_add_f32_e32 v8, v8, v10
	v_cvt_f32_i32_dpp v6, v6 row_shl:2 row_mask:0xf bank_mask:0xf bound_ctrl:1
	v_cvt_f32_i32_dpp v2, v2 row_shl:2 row_mask:0xf bank_mask:0xf bound_ctrl:1
	v_add_f32_e32 v9, v8, v11
	v_add_f32_e32 v4, v4, v5
	v_cvt_f32_i32_dpp v5, v7 row_shl:3 row_mask:0xf bank_mask:0xf bound_ctrl:1
	v_cvt_f32_i32_dpp v3, v3 row_shl:3 row_mask:0xf bank_mask:0xf bound_ctrl:1
	v_add_f32_e32 v13, v17, v18
	v_cvt_f32_i32_dpp v17, v12 row_shl:4 row_mask:0xf bank_mask:0xf bound_ctrl:1
	v_cvt_i32_f32_e32 v10, v9
	v_cvt_f32_i32_dpp v15, v19 row_bcast:15 row_mask:0xf bank_mask:0xf bound_ctrl:1
	v_add_f32_e32 v0, v0, v1
	v_add_f32_e32 v4, v4, v6
	;; [unrolled: 1-line block ×6, first 2 shown]
	v_cvt_f32_i32_dpp v10, v10 row_shl:4 row_mask:0xf bank_mask:0xf bound_ctrl:1
	v_cvt_i32_f32_e32 v5, v4
	v_cvt_i32_f32_e32 v1, v0
	v_add_f32_e32 v12, v16, v15
	v_cvt_i32_f32_e32 v16, v14
	v_add_f32_e32 v9, v9, v10
	v_cvt_f32_i32_dpp v3, v5 row_shl:4 row_mask:0xf bank_mask:0xf bound_ctrl:1
	v_cvt_f32_i32_dpp v1, v1 row_shl:4 row_mask:0xf bank_mask:0xf bound_ctrl:1
	;; [unrolled: 1-line block ×3, first 2 shown]
	v_cvt_i32_f32_e32 v10, v9
	v_add_f32_e32 v3, v4, v3
	v_add_f32_e32 v0, v0, v1
	;; [unrolled: 1-line block ×3, first 2 shown]
	v_cvt_f32_i32_dpp v2, v10 row_shl:8 row_mask:0xf bank_mask:0xf bound_ctrl:1
	v_cvt_i32_f32_e32 v4, v3
	v_cvt_i32_f32_e32 v1, v0
	;; [unrolled: 1-line block ×3, first 2 shown]
	v_add_f32_e32 v2, v9, v2
	v_cvt_f32_i32_dpp v4, v4 row_shl:8 row_mask:0xf bank_mask:0xf bound_ctrl:1
	v_cvt_f32_i32_dpp v1, v1 row_shl:8 row_mask:0xf bank_mask:0xf bound_ctrl:1
	v_cvt_f32_i32_dpp v5, v14 row_shr:15 row_mask:0xf bank_mask:0xf bound_ctrl:1
	v_cvt_i32_f32_e32 v2, v2
	v_add_f32_e32 v3, v3, v4
	v_add_f32_e32 v0, v0, v1
	v_cvt_i32_f32_e32 v6, v5
	v_cvt_f32_i32_dpp v2, v2 row_shr:15 row_mask:0xf bank_mask:0xf bound_ctrl:1
	v_cvt_i32_f32_e32 v3, v3
	v_cvt_i32_f32_e32 v0, v0
	v_cvt_f32_i32_dpp v1, v6 row_bcast:15 row_mask:0xf bank_mask:0xf bound_ctrl:1
	v_cvt_i32_f32_e32 v4, v2
	v_cvt_f32_i32_dpp v3, v3 row_shr:15 row_mask:0xf bank_mask:0xf bound_ctrl:1
	v_cvt_f32_i32_dpp v0, v0 row_shr:15 row_mask:0xf bank_mask:0xf bound_ctrl:1
	v_add_f32_e32 v9, v5, v1
	v_cvt_f32_i32_dpp v4, v4 row_bcast:15 row_mask:0xf bank_mask:0xf bound_ctrl:1
	v_cvt_i32_f32_e32 v1, v3
	v_cvt_i32_f32_e32 v6, v0
	;; [unrolled: 1-line block ×3, first 2 shown]
	v_add_f32_e32 v5, v2, v4
	v_cvt_f32_i32_dpp v1, v1 row_bcast:15 row_mask:0xf bank_mask:0xf bound_ctrl:1
	v_cvt_f32_i32_dpp v4, v6 row_bcast:15 row_mask:0xf bank_mask:0xf bound_ctrl:1
	v_cvt_i32_f32_e32 v15, v12
	v_cvt_i32_f32_e32 v7, v9
	v_add_f32_e32 v2, v3, v1
	v_add_f32_e32 v0, v0, v4
	v_cvt_i32_f32_e32 v6, v5
	v_cvt_i32_f32_e32 v1, v2
	v_cvt_i32_f32_e32 v4, v0
	v_mov_b32_dpp v11, v18 row_bcast:31 row_mask:0xf bank_mask:0xf bound_ctrl:1
	v_mov_b32_dpp v8, v15 row_bcast:31 row_mask:0xf bank_mask:0xf bound_ctrl:1
	;; [unrolled: 1-line block ×6, first 2 shown]
	s_and_saveexec_b64 s[36:37], s[0:1]
	s_cbranch_execz .LBB196_71
; %bb.33:                               ;   in Loop: Header=BB196_12 Depth=1
	s_andn2_b64 vcc, exec, s[28:29]
	v_mov_b32_e32 v17, 0
	v_add_u32_e32 v70, 2, v68
	v_mov_b32_e32 v16, 0
	v_mov_b32_e32 v15, 0
	;; [unrolled: 1-line block ×5, first 2 shown]
	s_cbranch_vccnz .LBB196_35
; %bb.34:                               ;   in Loop: Header=BB196_12 Depth=1
	v_mul_hi_u32 v4, v68, v78
	v_mul_lo_u32 v4, v4, s12
	v_sub_u32_e32 v4, v68, v4
	v_subrev_u32_e32 v7, s12, v4
	v_cmp_le_u32_e32 vcc, s12, v4
	v_mov_b32_e32 v15, v71
	v_mov_b32_e32 v17, v71
	v_cndmask_b32_e32 v4, v4, v7, vcc
	v_subrev_u32_e32 v7, s12, v4
	v_cmp_le_u32_e32 vcc, s12, v4
	v_mov_b32_e32 v23, v71
	s_nop 0
	v_cndmask_b32_e32 v14, v4, v7, vcc
	v_add_u32_e32 v4, 1, v68
	v_mul_hi_u32 v7, v4, v78
	v_mul_lo_u32 v7, v7, s12
	v_sub_u32_e32 v4, v4, v7
	v_subrev_u32_e32 v7, s12, v4
	v_cmp_le_u32_e32 vcc, s12, v4
	v_lshl_add_u64 v[18:19], v[14:15], 1, s[18:19]
	v_add_u32_e32 v14, s13, v14
	v_cndmask_b32_e32 v4, v4, v7, vcc
	v_subrev_u32_e32 v7, s12, v4
	v_cmp_le_u32_e32 vcc, s12, v4
	v_lshl_add_u64 v[26:27], v[14:15], 1, s[18:19]
	s_nop 0
	v_cndmask_b32_e32 v16, v4, v7, vcc
	v_mul_hi_u32 v4, v70, v78
	v_mul_lo_u32 v4, v4, s12
	v_sub_u32_e32 v4, v70, v4
	v_subrev_u32_e32 v7, s12, v4
	v_cmp_le_u32_e32 vcc, s12, v4
	v_add_u32_e32 v14, s13, v16
	v_lshl_add_u64 v[28:29], v[14:15], 1, s[18:19]
	v_cndmask_b32_e32 v4, v4, v7, vcc
	v_subrev_u32_e32 v7, s12, v4
	v_cmp_le_u32_e32 vcc, s12, v4
	v_lshl_add_u64 v[20:21], v[16:17], 1, s[18:19]
	s_nop 0
	v_cndmask_b32_e32 v22, v4, v7, vcc
	v_add_u32_e32 v14, s13, v22
	v_lshl_add_u64 v[24:25], v[22:23], 1, s[18:19]
	v_lshl_add_u64 v[22:23], v[14:15], 1, s[18:19]
	global_load_ushort v17, v[18:19], off
	global_load_ushort v16, v[20:21], off
	global_load_ushort v15, v[24:25], off
	global_load_ushort v14, v[26:27], off
	global_load_ushort v7, v[28:29], off
	global_load_ushort v4, v[22:23], off
.LBB196_35:                             ;   in Loop: Header=BB196_12 Depth=1
	v_cmp_ne_u32_e32 vcc, 0, v64
	s_and_saveexec_b64 s[8:9], vcc
	s_cbranch_execnz .LBB196_41
; %bb.36:                               ;   in Loop: Header=BB196_12 Depth=1
	s_or_b64 exec, exec, s[8:9]
	v_cmp_ne_u32_e64 s[6:7], 0, v65
	s_and_saveexec_b64 s[10:11], s[6:7]
	s_cbranch_execnz .LBB196_46
.LBB196_37:                             ;   in Loop: Header=BB196_12 Depth=1
	s_or_b64 exec, exec, s[10:11]
	v_cmp_ne_u32_e64 s[8:9], 0, v66
	s_and_saveexec_b64 s[38:39], s[8:9]
	s_cbranch_execnz .LBB196_51
.LBB196_38:                             ;   in Loop: Header=BB196_12 Depth=1
	s_or_b64 exec, exec, s[38:39]
	v_add_u32_e32 v70, s23, v68
	s_and_saveexec_b64 s[10:11], vcc
	s_cbranch_execnz .LBB196_56
.LBB196_39:                             ;   in Loop: Header=BB196_12 Depth=1
	s_or_b64 exec, exec, s[10:11]
	s_and_saveexec_b64 s[10:11], s[6:7]
	s_cbranch_execnz .LBB196_61
.LBB196_40:                             ;   in Loop: Header=BB196_12 Depth=1
	s_or_b64 exec, exec, s[10:11]
	s_and_b64 exec, exec, s[8:9]
	s_cbranch_execnz .LBB196_66
	s_branch .LBB196_71
.LBB196_41:                             ;   in Loop: Header=BB196_12 Depth=1
	v_cvt_f32_i32_e32 v11, v11
	v_add_f32_e32 v11, v13, v11
	s_waitcnt vmcnt(5)
	v_lshlrev_b32_e32 v13, 16, v17
	v_add_f32_e32 v13, v11, v13
	v_and_b32_e32 v11, 0x7f800000, v13
	v_cmp_ne_u32_e64 s[6:7], s50, v11
                                        ; implicit-def: $vgpr11
	s_and_saveexec_b64 s[10:11], s[6:7]
	s_xor_b64 s[6:7], exec, s[10:11]
; %bb.42:                               ;   in Loop: Header=BB196_12 Depth=1
	v_bfe_u32 v11, v13, 16, 1
	v_add3_u32 v11, v13, v11, s51
                                        ; implicit-def: $vgpr13
; %bb.43:                               ;   in Loop: Header=BB196_12 Depth=1
	s_andn2_saveexec_b64 s[10:11], s[6:7]
; %bb.44:                               ;   in Loop: Header=BB196_12 Depth=1
	v_or_b32_e32 v11, 0x10000, v13
	v_cmp_eq_u32_sdwa s[6:7], v13, v71 src0_sel:WORD_0 src1_sel:DWORD
	s_nop 1
	v_cndmask_b32_e64 v11, v11, v13, s[6:7]
; %bb.45:                               ;   in Loop: Header=BB196_12 Depth=1
	s_or_b64 exec, exec, s[10:11]
	v_mov_b32_e32 v69, v71
	v_lshl_add_u64 v[18:19], v[68:69], 1, s[24:25]
	global_store_short_d16_hi v[18:19], v11, off
	s_or_b64 exec, exec, s[8:9]
	v_cmp_ne_u32_e64 s[6:7], 0, v65
	s_and_saveexec_b64 s[10:11], s[6:7]
	s_cbranch_execz .LBB196_37
.LBB196_46:                             ;   in Loop: Header=BB196_12 Depth=1
	v_cvt_f32_i32_e32 v8, v8
	s_waitcnt vmcnt(4)
	v_lshlrev_b32_e32 v11, 16, v16
	v_add_f32_e32 v8, v12, v8
	v_add_f32_e32 v11, v8, v11
	v_and_b32_e32 v8, 0x7f800000, v11
	v_cmp_ne_u32_e64 s[8:9], s50, v8
                                        ; implicit-def: $vgpr8
	s_and_saveexec_b64 s[38:39], s[8:9]
	s_xor_b64 s[8:9], exec, s[38:39]
; %bb.47:                               ;   in Loop: Header=BB196_12 Depth=1
	v_bfe_u32 v8, v11, 16, 1
	v_add3_u32 v8, v11, v8, s51
                                        ; implicit-def: $vgpr11
; %bb.48:                               ;   in Loop: Header=BB196_12 Depth=1
	s_andn2_saveexec_b64 s[38:39], s[8:9]
; %bb.49:                               ;   in Loop: Header=BB196_12 Depth=1
	v_or_b32_e32 v8, 0x10000, v11
	v_cmp_eq_u32_sdwa s[8:9], v11, v71 src0_sel:WORD_0 src1_sel:DWORD
	s_nop 1
	v_cndmask_b32_e64 v8, v8, v11, s[8:9]
; %bb.50:                               ;   in Loop: Header=BB196_12 Depth=1
	s_or_b64 exec, exec, s[38:39]
	v_mov_b32_e32 v69, v71
	v_lshl_add_u64 v[12:13], v[68:69], 1, s[30:31]
	global_store_short_d16_hi v[12:13], v8, off
	s_or_b64 exec, exec, s[10:11]
	v_cmp_ne_u32_e64 s[8:9], 0, v66
	s_and_saveexec_b64 s[38:39], s[8:9]
	s_cbranch_execz .LBB196_38
.LBB196_51:                             ;   in Loop: Header=BB196_12 Depth=1
	v_cvt_f32_i32_e32 v8, v10
	v_add_f32_e32 v8, v9, v8
	s_waitcnt vmcnt(3)
	v_lshlrev_b32_e32 v9, 16, v15
	v_add_f32_e32 v9, v8, v9
	v_and_b32_e32 v8, 0x7f800000, v9
	v_cmp_ne_u32_e64 s[10:11], s50, v8
                                        ; implicit-def: $vgpr8
	s_and_saveexec_b64 s[40:41], s[10:11]
	s_xor_b64 s[10:11], exec, s[40:41]
; %bb.52:                               ;   in Loop: Header=BB196_12 Depth=1
	v_bfe_u32 v8, v9, 16, 1
	v_add3_u32 v8, v9, v8, s51
                                        ; implicit-def: $vgpr9
; %bb.53:                               ;   in Loop: Header=BB196_12 Depth=1
	s_andn2_saveexec_b64 s[40:41], s[10:11]
; %bb.54:                               ;   in Loop: Header=BB196_12 Depth=1
	v_or_b32_e32 v8, 0x10000, v9
	v_cmp_eq_u32_sdwa s[10:11], v9, v71 src0_sel:WORD_0 src1_sel:DWORD
	s_nop 1
	v_cndmask_b32_e64 v8, v8, v9, s[10:11]
; %bb.55:                               ;   in Loop: Header=BB196_12 Depth=1
	s_or_b64 exec, exec, s[40:41]
	v_lshl_add_u64 v[10:11], v[70:71], 1, s[24:25]
	global_store_short_d16_hi v[10:11], v8, off
	s_or_b64 exec, exec, s[38:39]
	v_add_u32_e32 v70, s23, v68
	s_and_saveexec_b64 s[10:11], vcc
	s_cbranch_execz .LBB196_39
.LBB196_56:                             ;   in Loop: Header=BB196_12 Depth=1
	v_cvt_f32_i32_e32 v6, v6
	v_add_f32_e32 v5, v5, v6
	s_waitcnt vmcnt(2)
	v_lshlrev_b32_e32 v6, 16, v14
	v_add_f32_e32 v6, v5, v6
	v_and_b32_e32 v5, 0x7f800000, v6
	v_cmp_ne_u32_e32 vcc, s50, v5
                                        ; implicit-def: $vgpr5
	s_and_saveexec_b64 s[38:39], vcc
	s_xor_b64 s[38:39], exec, s[38:39]
; %bb.57:                               ;   in Loop: Header=BB196_12 Depth=1
	v_bfe_u32 v5, v6, 16, 1
	v_add3_u32 v5, v6, v5, s51
                                        ; implicit-def: $vgpr6
; %bb.58:                               ;   in Loop: Header=BB196_12 Depth=1
	s_andn2_saveexec_b64 s[38:39], s[38:39]
; %bb.59:                               ;   in Loop: Header=BB196_12 Depth=1
	v_or_b32_e32 v5, 0x10000, v6
	v_cmp_eq_u32_sdwa vcc, v6, v71 src0_sel:WORD_0 src1_sel:DWORD
	s_nop 1
	v_cndmask_b32_e32 v5, v5, v6, vcc
; %bb.60:                               ;   in Loop: Header=BB196_12 Depth=1
	s_or_b64 exec, exec, s[38:39]
	v_lshl_add_u64 v[8:9], v[70:71], 1, s[24:25]
	global_store_short_d16_hi v[8:9], v5, off
	s_or_b64 exec, exec, s[10:11]
	s_and_saveexec_b64 s[10:11], s[6:7]
	s_cbranch_execz .LBB196_40
.LBB196_61:                             ;   in Loop: Header=BB196_12 Depth=1
	v_cvt_f32_i32_e32 v3, v3
	v_add_f32_e32 v2, v2, v3
	s_waitcnt vmcnt(1)
	v_lshlrev_b32_e32 v3, 16, v7
	v_add_f32_e32 v3, v2, v3
	v_and_b32_e32 v2, 0x7f800000, v3
	v_cmp_ne_u32_e32 vcc, s50, v2
                                        ; implicit-def: $vgpr2
	s_and_saveexec_b64 s[6:7], vcc
	s_xor_b64 s[6:7], exec, s[6:7]
; %bb.62:                               ;   in Loop: Header=BB196_12 Depth=1
	v_bfe_u32 v2, v3, 16, 1
	v_add3_u32 v2, v3, v2, s51
                                        ; implicit-def: $vgpr3
; %bb.63:                               ;   in Loop: Header=BB196_12 Depth=1
	s_andn2_saveexec_b64 s[6:7], s[6:7]
; %bb.64:                               ;   in Loop: Header=BB196_12 Depth=1
	v_or_b32_e32 v2, 0x10000, v3
	v_cmp_eq_u32_sdwa vcc, v3, v71 src0_sel:WORD_0 src1_sel:DWORD
	s_nop 1
	v_cndmask_b32_e32 v2, v2, v3, vcc
; %bb.65:                               ;   in Loop: Header=BB196_12 Depth=1
	s_or_b64 exec, exec, s[6:7]
	v_add_u32_e32 v6, 1, v70
	v_mov_b32_e32 v7, v71
	v_lshl_add_u64 v[6:7], v[6:7], 1, s[24:25]
	global_store_short_d16_hi v[6:7], v2, off
	s_or_b64 exec, exec, s[10:11]
	s_and_b64 exec, exec, s[8:9]
	s_cbranch_execz .LBB196_71
.LBB196_66:                             ;   in Loop: Header=BB196_12 Depth=1
	v_cvt_f32_i32_e32 v1, v1
	v_add_f32_e32 v0, v0, v1
	s_waitcnt vmcnt(0)
	v_lshlrev_b32_e32 v1, 16, v4
	v_add_f32_e32 v1, v0, v1
	v_and_b32_e32 v0, 0x7f800000, v1
	v_cmp_ne_u32_e32 vcc, s50, v0
                                        ; implicit-def: $vgpr0
	s_and_saveexec_b64 s[6:7], vcc
	s_xor_b64 s[6:7], exec, s[6:7]
; %bb.67:                               ;   in Loop: Header=BB196_12 Depth=1
	v_bfe_u32 v0, v1, 16, 1
	v_add3_u32 v0, v1, v0, s51
                                        ; implicit-def: $vgpr1
; %bb.68:                               ;   in Loop: Header=BB196_12 Depth=1
	s_andn2_saveexec_b64 s[6:7], s[6:7]
; %bb.69:                               ;   in Loop: Header=BB196_12 Depth=1
	v_or_b32_e32 v0, 0x10000, v1
	v_cmp_eq_u32_sdwa vcc, v1, v71 src0_sel:WORD_0 src1_sel:DWORD
	s_nop 1
	v_cndmask_b32_e32 v0, v0, v1, vcc
; %bb.70:                               ;   in Loop: Header=BB196_12 Depth=1
	s_or_b64 exec, exec, s[6:7]
	v_add_u32_e32 v70, 2, v70
	v_lshl_add_u64 v[2:3], v[70:71], 1, s[24:25]
	global_store_short_d16_hi v[2:3], v0, off
.LBB196_71:                             ;   in Loop: Header=BB196_12 Depth=1
	s_or_b64 exec, exec, s[36:37]
	v_add_u32_e32 v68, s46, v68
	v_add_u32_e32 v0, 3, v68
	v_cmp_gt_u32_e32 vcc, s23, v68
	v_cmp_le_u32_e64 s[6:7], s23, v0
	s_and_b64 s[6:7], vcc, s[6:7]
	s_and_saveexec_b64 s[8:9], s[6:7]
	s_cbranch_execz .LBB196_10
; %bb.72:                               ;   in Loop: Header=BB196_12 Depth=1
	v_cmp_ne_u32_e32 vcc, s47, v68
	s_and_saveexec_b64 s[10:11], vcc
	s_cbranch_execz .LBB196_9
; %bb.73:                               ;   in Loop: Header=BB196_12 Depth=1
	v_subrev_u32_e32 v0, s47, v68
	v_cmp_lt_u32_e32 vcc, 1, v0
	s_mov_b64 s[36:37], 0
	s_mov_b64 s[38:39], 0
	v_cndmask_b32_e32 v0, 1, v0, vcc
.LBB196_74:                             ;   Parent Loop BB196_12 Depth=1
                                        ; =>  This Inner Loop Header: Depth=2
	s_cmp_lg_u32 s38, 2
	s_cselect_b64 vcc, -1, 0
	s_cmp_lg_u32 s38, 1
	v_cndmask_b32_e32 v66, 0, v66, vcc
	s_cselect_b64 vcc, -1, 0
	s_cmp_lg_u32 s38, 0
	v_cndmask_b32_e32 v65, 0, v65, vcc
	s_cselect_b64 vcc, -1, 0
	s_add_u32 s38, s38, 1
	s_addc_u32 s39, s39, 0
	v_cmp_eq_u32_e64 s[6:7], s38, v0
	s_or_b64 s[36:37], s[6:7], s[36:37]
	v_cndmask_b32_e32 v64, 0, v64, vcc
	s_andn2_b64 exec, exec, s[36:37]
	s_cbranch_execnz .LBB196_74
; %bb.75:                               ;   in Loop: Header=BB196_12 Depth=1
	s_or_b64 exec, exec, s[36:37]
	s_branch .LBB196_9
.LBB196_76:
	s_endpgm
	.section	.rodata,"a",@progbits
	.p2align	6, 0x0
	.amdhsa_kernel _Z16wvSplitK_hf_big_I14__hip_bfloat16Li32ELi3ELi16ELi8ELi2ELi2EEviiiiiiPKT_S3_S3_PS1_ii
		.amdhsa_group_segment_fixed_size 65536
		.amdhsa_private_segment_fixed_size 0
		.amdhsa_kernarg_size 64
		.amdhsa_user_sgpr_count 2
		.amdhsa_user_sgpr_dispatch_ptr 0
		.amdhsa_user_sgpr_queue_ptr 0
		.amdhsa_user_sgpr_kernarg_segment_ptr 1
		.amdhsa_user_sgpr_dispatch_id 0
		.amdhsa_user_sgpr_kernarg_preload_length 0
		.amdhsa_user_sgpr_kernarg_preload_offset 0
		.amdhsa_user_sgpr_private_segment_size 0
		.amdhsa_uses_dynamic_stack 0
		.amdhsa_enable_private_segment 0
		.amdhsa_system_sgpr_workgroup_id_x 1
		.amdhsa_system_sgpr_workgroup_id_y 0
		.amdhsa_system_sgpr_workgroup_id_z 0
		.amdhsa_system_sgpr_workgroup_info 0
		.amdhsa_system_vgpr_workitem_id 1
		.amdhsa_next_free_vgpr 83
		.amdhsa_next_free_sgpr 52
		.amdhsa_accum_offset 84
		.amdhsa_reserve_vcc 1
		.amdhsa_float_round_mode_32 0
		.amdhsa_float_round_mode_16_64 0
		.amdhsa_float_denorm_mode_32 3
		.amdhsa_float_denorm_mode_16_64 3
		.amdhsa_dx10_clamp 1
		.amdhsa_ieee_mode 1
		.amdhsa_fp16_overflow 0
		.amdhsa_tg_split 0
		.amdhsa_exception_fp_ieee_invalid_op 0
		.amdhsa_exception_fp_denorm_src 0
		.amdhsa_exception_fp_ieee_div_zero 0
		.amdhsa_exception_fp_ieee_overflow 0
		.amdhsa_exception_fp_ieee_underflow 0
		.amdhsa_exception_fp_ieee_inexact 0
		.amdhsa_exception_int_div_zero 0
	.end_amdhsa_kernel
	.section	.text._Z16wvSplitK_hf_big_I14__hip_bfloat16Li32ELi3ELi16ELi8ELi2ELi2EEviiiiiiPKT_S3_S3_PS1_ii,"axG",@progbits,_Z16wvSplitK_hf_big_I14__hip_bfloat16Li32ELi3ELi16ELi8ELi2ELi2EEviiiiiiPKT_S3_S3_PS1_ii,comdat
.Lfunc_end196:
	.size	_Z16wvSplitK_hf_big_I14__hip_bfloat16Li32ELi3ELi16ELi8ELi2ELi2EEviiiiiiPKT_S3_S3_PS1_ii, .Lfunc_end196-_Z16wvSplitK_hf_big_I14__hip_bfloat16Li32ELi3ELi16ELi8ELi2ELi2EEviiiiiiPKT_S3_S3_PS1_ii
                                        ; -- End function
	.section	.AMDGPU.csdata,"",@progbits
; Kernel info:
; codeLenInByte = 3836
; NumSgprs: 58
; NumVgprs: 83
; NumAgprs: 0
; TotalNumVgprs: 83
; ScratchSize: 0
; MemoryBound: 0
; FloatMode: 240
; IeeeMode: 1
; LDSByteSize: 65536 bytes/workgroup (compile time only)
; SGPRBlocks: 7
; VGPRBlocks: 10
; NumSGPRsForWavesPerEU: 58
; NumVGPRsForWavesPerEU: 83
; AccumOffset: 84
; Occupancy: 2
; WaveLimiterHint : 0
; COMPUTE_PGM_RSRC2:SCRATCH_EN: 0
; COMPUTE_PGM_RSRC2:USER_SGPR: 2
; COMPUTE_PGM_RSRC2:TRAP_HANDLER: 0
; COMPUTE_PGM_RSRC2:TGID_X_EN: 1
; COMPUTE_PGM_RSRC2:TGID_Y_EN: 0
; COMPUTE_PGM_RSRC2:TGID_Z_EN: 0
; COMPUTE_PGM_RSRC2:TIDIG_COMP_CNT: 1
; COMPUTE_PGM_RSRC3_GFX90A:ACCUM_OFFSET: 20
; COMPUTE_PGM_RSRC3_GFX90A:TG_SPLIT: 0
	.section	.text._Z16wvSplitK_hf_sml_I14__hip_bfloat16Li32ELi4ELi16ELi8ELi1ELi2EEviiiiiiPKT_S3_S3_PS1_ii,"axG",@progbits,_Z16wvSplitK_hf_sml_I14__hip_bfloat16Li32ELi4ELi16ELi8ELi1ELi2EEviiiiiiPKT_S3_S3_PS1_ii,comdat
	.protected	_Z16wvSplitK_hf_sml_I14__hip_bfloat16Li32ELi4ELi16ELi8ELi1ELi2EEviiiiiiPKT_S3_S3_PS1_ii ; -- Begin function _Z16wvSplitK_hf_sml_I14__hip_bfloat16Li32ELi4ELi16ELi8ELi1ELi2EEviiiiiiPKT_S3_S3_PS1_ii
	.globl	_Z16wvSplitK_hf_sml_I14__hip_bfloat16Li32ELi4ELi16ELi8ELi1ELi2EEviiiiiiPKT_S3_S3_PS1_ii
	.p2align	8
	.type	_Z16wvSplitK_hf_sml_I14__hip_bfloat16Li32ELi4ELi16ELi8ELi1ELi2EEviiiiiiPKT_S3_S3_PS1_ii,@function
_Z16wvSplitK_hf_sml_I14__hip_bfloat16Li32ELi4ELi16ELi8ELi1ELi2EEviiiiiiPKT_S3_S3_PS1_ii: ; @_Z16wvSplitK_hf_sml_I14__hip_bfloat16Li32ELi4ELi16ELi8ELi1ELi2EEviiiiiiPKT_S3_S3_PS1_ii
; %bb.0:
	s_load_dwordx4 s[4:7], s[0:1], 0x0
	v_and_b32_e32 v4, 0x3ff, v0
	v_bfe_u32 v5, v0, 10, 10
	v_lshlrev_b32_e32 v68, 3, v4
	v_lshl_add_u32 v6, v5, 8, v68
	s_waitcnt lgkmcnt(0)
	s_lshl_b32 s6, s6, 1
	s_min_u32 s3, s6, 0x8000
	v_cmp_gt_u32_e32 vcc, s3, v6
	s_and_saveexec_b64 s[8:9], vcc
	s_cbranch_execz .LBB197_9
; %bb.1:
	s_load_dwordx2 s[10:11], s[0:1], 0x20
	v_lshlrev_b32_e32 v0, 1, v6
	v_add_u32_e32 v1, 0x1000, v6
	v_cmp_gt_u32_e32 vcc, s3, v1
	s_waitcnt lgkmcnt(0)
	global_load_dwordx4 v[8:11], v0, s[10:11]
	s_waitcnt vmcnt(0)
	ds_write_b128 v0, v[8:11]
	s_and_saveexec_b64 s[12:13], vcc
	s_xor_b64 s[12:13], exec, s[12:13]
	s_cbranch_execz .LBB197_9
; %bb.2:
	v_mov_b32_e32 v1, 0
	v_lshl_add_u64 v[2:3], s[10:11], 0, v[0:1]
	v_add_co_u32_e32 v8, vcc, 0x2000, v2
	v_add_u32_e32 v1, 0x2000, v6
	s_nop 0
	v_addc_co_u32_e32 v9, vcc, 0, v3, vcc
	global_load_dwordx4 v[8:11], v[8:9], off
	v_cmp_gt_u32_e32 vcc, s3, v1
	s_waitcnt vmcnt(0)
	ds_write_b128 v0, v[8:11] offset:8192
	s_and_saveexec_b64 s[10:11], vcc
	s_xor_b64 s[10:11], exec, s[10:11]
	s_cbranch_execz .LBB197_9
; %bb.3:
	v_add_co_u32_e32 v8, vcc, 0x4000, v2
	v_add_u32_e32 v1, 0x3000, v6
	s_nop 0
	v_addc_co_u32_e32 v9, vcc, 0, v3, vcc
	global_load_dwordx4 v[8:11], v[8:9], off
	v_cmp_gt_u32_e32 vcc, s3, v1
	s_waitcnt vmcnt(0)
	ds_write_b128 v0, v[8:11] offset:16384
	s_and_saveexec_b64 s[10:11], vcc
	s_xor_b64 s[10:11], exec, s[10:11]
	s_cbranch_execz .LBB197_9
; %bb.4:
	;; [unrolled: 12-line block ×6, first 2 shown]
	v_add_co_u32_e32 v2, vcc, 0xe000, v2
	s_nop 1
	v_addc_co_u32_e32 v3, vcc, 0, v3, vcc
	global_load_dwordx4 v[6:9], v[2:3], off
	s_waitcnt vmcnt(0)
	ds_write_b128 v0, v[6:9] offset:57344
.LBB197_9:
	s_or_b64 exec, exec, s[8:9]
	s_load_dwordx2 s[16:17], s[0:1], 0x38
	s_waitcnt lgkmcnt(0)
	s_barrier
	v_cmp_gt_u32_e32 vcc, s16, v5
	s_and_saveexec_b64 s[8:9], vcc
	s_cbranch_execz .LBB197_54
; %bb.10:
	s_load_dwordx2 s[12:13], s[0:1], 0x10
	s_mul_i32 s2, s2, s16
	v_add_lshl_u32 v56, s2, v5, 2
	v_cmp_gt_u32_e32 vcc, s7, v56
	s_and_b64 exec, exec, vcc
	s_cbranch_execz .LBB197_54
; %bb.11:
	s_waitcnt lgkmcnt(0)
	v_cvt_f32_u32_e32 v0, s12
	s_load_dwordx4 s[8:11], s[0:1], 0x28
	s_load_dwordx2 s[14:15], s[0:1], 0x18
	s_cmp_lg_u32 s4, 0
	s_cselect_b64 s[2:3], -1, 0
	v_rcp_iflag_f32_e32 v0, v0
	s_add_i32 s24, s4, -8
	s_add_i32 s25, s7, -1
	s_mul_i32 s20, s16, s17
	v_mul_f32_e32 v0, 0x4f7ffffe, v0
	v_cvt_u32_f32_e32 v0, v0
	s_waitcnt lgkmcnt(0)
	s_cmp_lg_u64 s[8:9], 0
	s_cselect_b64 s[18:19], -1, 0
	s_lshl_b32 s26, s20, 2
	s_sub_i32 s20, 0, s12
	s_abs_i32 s13, s13
	v_mul_lo_u32 v1, s20, v0
	s_sub_i32 s20, 1, s13
	s_cmp_lt_u32 s13, 2
	s_cselect_b32 s20, s20, 1
	s_sub_i32 s21, s20, s13
	v_mul_hi_u32 v1, v0, v1
	s_cmp_ge_u32 s20, s13
	v_add_u32_e32 v69, v0, v1
	s_cselect_b32 s13, s21, s20
	v_cndmask_b32_e64 v0, 0, 1, s[2:3]
	v_cmp_eq_u32_e64 s[0:1], 31, v4
	s_mov_b64 s[16:17], 0
	v_mov_b32_e32 v59, 0
	s_mul_i32 s13, s13, s12
	v_lshlrev_b32_e32 v70, 4, v4
	v_cmp_ne_u32_e64 s[2:3], 1, v0
	s_mov_b32 s27, 0x7f800000
	s_movk_i32 s28, 0x7fff
	s_branch .LBB197_14
.LBB197_12:                             ;   in Loop: Header=BB197_14 Depth=1
	s_or_b64 exec, exec, s[22:23]
	v_add_u32_e32 v58, 3, v58
	v_lshl_add_u64 v[2:3], v[58:59], 1, s[10:11]
	global_store_short_d16_hi v[2:3], v0, off
.LBB197_13:                             ;   in Loop: Header=BB197_14 Depth=1
	s_or_b64 exec, exec, s[20:21]
	v_add_u32_e32 v56, s26, v56
	v_cmp_le_u32_e32 vcc, s7, v56
	s_or_b64 s[16:17], vcc, s[16:17]
	s_andn2_b64 exec, exec, s[16:17]
	s_cbranch_execz .LBB197_54
.LBB197_14:                             ; =>This Loop Header: Depth=1
                                        ;     Child Loop BB197_17 Depth 2
	s_and_b64 vcc, exec, s[2:3]
	v_mov_b32_e32 v7, v59
	v_mov_b32_e32 v6, v59
	;; [unrolled: 1-line block ×32, first 2 shown]
	s_cbranch_vccnz .LBB197_19
; %bb.15:                               ;   in Loop: Header=BB197_14 Depth=1
	v_min_u32_e32 v0, s25, v56
	v_mul_lo_u32 v60, v0, s5
	v_or_b32_e32 v0, 1, v56
	v_min_u32_e32 v0, s25, v0
	v_mul_lo_u32 v62, v0, s5
	v_or_b32_e32 v0, 2, v56
	;; [unrolled: 3-line block ×3, first 2 shown]
	v_min_u32_e32 v0, s25, v0
	v_mov_b32_e32 v16, 0
	v_mov_b32_e32 v61, v59
	;; [unrolled: 1-line block ×4, first 2 shown]
	v_mul_lo_u32 v66, v0, s5
	v_mov_b32_e32 v67, v59
	s_mov_b32 s22, 0
	v_mov_b32_e32 v57, v70
	v_mov_b32_e32 v17, v16
	v_mov_b32_e32 v18, v16
	v_mov_b32_e32 v19, v16
	v_mov_b32_e32 v20, v16
	v_mov_b32_e32 v21, v16
	v_mov_b32_e32 v22, v16
	v_mov_b32_e32 v23, v16
	v_mov_b32_e32 v24, v16
	v_mov_b32_e32 v25, v16
	v_mov_b32_e32 v26, v16
	v_mov_b32_e32 v27, v16
	v_mov_b32_e32 v28, v16
	v_mov_b32_e32 v29, v16
	v_mov_b32_e32 v30, v16
	v_mov_b32_e32 v31, v16
	v_mov_b32_e32 v12, v16
	v_mov_b32_e32 v13, v16
	v_mov_b32_e32 v14, v16
	v_mov_b32_e32 v15, v16
	v_mov_b32_e32 v8, v16
	v_mov_b32_e32 v9, v16
	v_mov_b32_e32 v10, v16
	v_mov_b32_e32 v11, v16
	v_mov_b32_e32 v0, v16
	v_mov_b32_e32 v1, v16
	v_mov_b32_e32 v2, v16
	v_mov_b32_e32 v3, v16
	v_mov_b32_e32 v4, v16
	v_mov_b32_e32 v5, v16
	v_mov_b32_e32 v6, v16
	v_mov_b32_e32 v7, v16
	s_branch .LBB197_17
.LBB197_16:                             ;   in Loop: Header=BB197_17 Depth=2
	s_or_b64 exec, exec, s[20:21]
	s_waitcnt vmcnt(3) lgkmcnt(1)
	v_mfma_f32_4x4x4_16b_bf16 v[28:31], v[52:53], v[44:45], v[28:31]
	s_addk_i32 s22, 0x100
	s_waitcnt vmcnt(2)
	v_mfma_f32_4x4x4_16b_bf16 v[24:27], v[52:53], v[40:41], v[24:27]
	v_add_u32_e32 v57, 0x200, v57
	s_waitcnt vmcnt(1)
	v_mfma_f32_4x4x4_16b_bf16 v[20:23], v[52:53], v[48:49], v[20:23]
	s_cmp_ge_u32 s22, s4
	s_waitcnt vmcnt(0)
	v_mfma_f32_4x4x4_16b_bf16 v[16:19], v[52:53], v[32:33], v[16:19]
	s_waitcnt lgkmcnt(0)
	v_mfma_f32_4x4x4_16b_bf16 v[12:15], v[36:37], v[44:45], v[12:15]
	v_mfma_f32_4x4x4_16b_bf16 v[8:11], v[36:37], v[40:41], v[8:11]
	;; [unrolled: 1-line block ×12, first 2 shown]
	s_cbranch_scc1 .LBB197_19
.LBB197_17:                             ;   Parent Loop BB197_14 Depth=1
                                        ; =>  This Inner Loop Header: Depth=2
	v_add_u32_e32 v52, s22, v68
	v_min_u32_e32 v58, s24, v52
	v_lshl_add_u64 v[32:33], v[58:59], 1, s[14:15]
	v_lshl_add_u64 v[34:35], v[60:61], 1, v[32:33]
	;; [unrolled: 1-line block ×3, first 2 shown]
	global_load_dwordx4 v[44:47], v[34:35], off nt
	global_load_dwordx4 v[40:43], v[36:37], off nt
	v_lshl_add_u64 v[36:37], v[64:65], 1, v[32:33]
	v_lshl_add_u64 v[38:39], v[66:67], 1, v[32:33]
	global_load_dwordx4 v[48:51], v[36:37], off nt
	global_load_dwordx4 v[32:35], v[38:39], off nt
	v_cmp_gt_u32_e32 vcc, s4, v52
	v_mov_b32_e32 v38, 0
	v_mov_b32_e32 v39, 0
	;; [unrolled: 1-line block ×8, first 2 shown]
	s_and_saveexec_b64 s[20:21], vcc
	s_cbranch_execz .LBB197_16
; %bb.18:                               ;   in Loop: Header=BB197_17 Depth=2
	v_add_u32_e32 v36, s6, v57
	ds_read_b128 v[52:55], v57
	ds_read_b128 v[36:39], v36
	s_branch .LBB197_16
.LBB197_19:                             ;   in Loop: Header=BB197_14 Depth=1
	; sched_barrier mask(0x00000000)
	v_cvt_i32_f32_e32 v29, v29
	v_cvt_i32_f32_e32 v30, v30
	;; [unrolled: 1-line block ×4, first 2 shown]
	v_cvt_f32_i32_dpp v29, v29 row_shl:1 row_mask:0xf bank_mask:0xf bound_ctrl:1
	v_cvt_f32_i32_dpp v30, v30 row_shl:2 row_mask:0xf bank_mask:0xf bound_ctrl:1
	v_cvt_f32_i32_dpp v31, v31 row_shl:3 row_mask:0xf bank_mask:0xf bound_ctrl:1
	v_cvt_i32_f32_e32 v26, v26
	v_add_f32_e32 v28, v28, v29
	v_add_f32_e32 v28, v28, v30
	v_add_f32_e32 v28, v28, v31
	v_cvt_i32_f32_e32 v29, v28
	v_cvt_i32_f32_e32 v27, v27
	v_cvt_f32_i32_dpp v25, v25 row_shl:1 row_mask:0xf bank_mask:0xf bound_ctrl:1
	v_cvt_f32_i32_dpp v26, v26 row_shl:2 row_mask:0xf bank_mask:0xf bound_ctrl:1
	;; [unrolled: 1-line block ×4, first 2 shown]
	v_add_f32_e32 v24, v24, v25
	v_cvt_i32_f32_e32 v21, v21
	v_add_f32_e32 v28, v28, v29
	v_cvt_i32_f32_e32 v29, v28
	;; [unrolled: 2-line block ×3, first 2 shown]
	v_add_f32_e32 v24, v24, v27
	v_cvt_f32_i32_dpp v25, v29 row_shl:8 row_mask:0xf bank_mask:0xf bound_ctrl:1
	v_cvt_i32_f32_e32 v23, v23
	v_cvt_i32_f32_e32 v26, v24
	v_cvt_f32_i32_dpp v21, v21 row_shl:1 row_mask:0xf bank_mask:0xf bound_ctrl:1
	v_add_f32_e32 v25, v28, v25
	v_cvt_i32_f32_e32 v25, v25
	v_cvt_f32_i32_dpp v22, v22 row_shl:2 row_mask:0xf bank_mask:0xf bound_ctrl:1
	v_cvt_f32_i32_dpp v26, v26 row_shl:4 row_mask:0xf bank_mask:0xf bound_ctrl:1
	;; [unrolled: 1-line block ×3, first 2 shown]
	v_cvt_f32_i32_dpp v25, v25 row_shr:15 row_mask:0xf bank_mask:0xf bound_ctrl:1
	v_add_f32_e32 v20, v20, v21
	v_add_f32_e32 v20, v20, v22
	;; [unrolled: 1-line block ×4, first 2 shown]
	v_cvt_i32_f32_e32 v24, v21
	v_cvt_i32_f32_e32 v26, v25
	;; [unrolled: 1-line block ×4, first 2 shown]
	v_cvt_f32_i32_dpp v23, v24 row_shl:8 row_mask:0xf bank_mask:0xf bound_ctrl:1
	v_cvt_f32_i32_dpp v24, v26 row_bcast:15 row_mask:0xf bank_mask:0xf bound_ctrl:1
	v_cvt_f32_i32_dpp v26, v20 row_shl:4 row_mask:0xf bank_mask:0xf bound_ctrl:1
	v_cvt_i32_f32_e32 v18, v18
	v_add_f32_e32 v21, v21, v23
	v_cvt_i32_f32_e32 v19, v19
	v_add_f32_e32 v22, v22, v26
	v_cvt_i32_f32_e32 v23, v22
	v_cvt_f32_i32_dpp v17, v17 row_shl:1 row_mask:0xf bank_mask:0xf bound_ctrl:1
	v_cvt_f32_i32_dpp v18, v18 row_shl:2 row_mask:0xf bank_mask:0xf bound_ctrl:1
	;; [unrolled: 1-line block ×4, first 2 shown]
	v_add_f32_e32 v16, v16, v17
	v_add_f32_e32 v16, v16, v18
	;; [unrolled: 1-line block ×4, first 2 shown]
	v_cvt_i32_f32_e32 v21, v21
	v_cvt_i32_f32_e32 v17, v16
	;; [unrolled: 1-line block ×7, first 2 shown]
	v_add_f32_e32 v20, v25, v24
	v_cvt_i32_f32_e32 v15, v15
	v_cvt_f32_i32_dpp v18, v21 row_shr:15 row_mask:0xf bank_mask:0xf bound_ctrl:1
	v_cvt_f32_i32_dpp v17, v17 row_shl:4 row_mask:0xf bank_mask:0xf bound_ctrl:1
	v_cvt_i32_f32_e32 v21, v20
	v_cvt_f32_i32_dpp v19, v19 row_shr:15 row_mask:0xf bank_mask:0xf bound_ctrl:1
	v_cvt_f32_i32_dpp v1, v1 row_shl:1 row_mask:0xf bank_mask:0xf bound_ctrl:1
	v_cvt_f32_i32_dpp v13, v13 row_shl:1 row_mask:0xf bank_mask:0xf bound_ctrl:1
	v_cvt_i32_f32_e32 v9, v9
	v_cvt_f32_i32_dpp v2, v2 row_shl:2 row_mask:0xf bank_mask:0xf bound_ctrl:1
	v_cvt_i32_f32_e32 v3, v3
	;; [unrolled: 2-line block ×4, first 2 shown]
	v_add_f32_e32 v23, v16, v17
	v_mov_b32_dpp v17, v21 row_bcast:31 row_mask:0xf bank_mask:0xf bound_ctrl:1
	v_cvt_i32_f32_e32 v21, v19
	v_add_f32_e32 v0, v0, v1
	v_add_f32_e32 v12, v12, v13
	v_cvt_f32_i32_dpp v9, v9 row_shl:1 row_mask:0xf bank_mask:0xf bound_ctrl:1
	v_add_f32_e32 v0, v0, v2
	v_cvt_f32_i32_dpp v1, v3 row_shl:3 row_mask:0xf bank_mask:0xf bound_ctrl:1
	v_cvt_i32_f32_e32 v2, v5
	v_add_f32_e32 v12, v12, v14
	v_cvt_f32_i32_dpp v10, v10 row_shl:2 row_mask:0xf bank_mask:0xf bound_ctrl:1
	v_cvt_i32_f32_e32 v3, v6
	;; [unrolled: 3-line block ×3, first 2 shown]
	v_cvt_f32_i32_dpp v21, v21 row_bcast:15 row_mask:0xf bank_mask:0xf bound_ctrl:1
	v_cvt_i32_f32_e32 v12, v15
	v_add_f32_e32 v8, v8, v9
	v_add_f32_e32 v0, v0, v1
	v_cvt_f32_i32_dpp v1, v2 row_shl:1 row_mask:0xf bank_mask:0xf bound_ctrl:1
	v_add_f32_e32 v8, v8, v10
	v_cvt_f32_i32_dpp v2, v3 row_shl:2 row_mask:0xf bank_mask:0xf bound_ctrl:1
	;; [unrolled: 2-line block ×4, first 2 shown]
	v_cvt_i32_f32_e32 v11, v9
	v_add_f32_e32 v1, v4, v1
	v_add_f32_e32 v1, v1, v2
	;; [unrolled: 1-line block ×4, first 2 shown]
	v_cvt_f32_i32_dpp v11, v11 row_shl:4 row_mask:0xf bank_mask:0xf bound_ctrl:1
	v_cvt_i32_f32_e32 v5, v0
	v_cvt_i32_f32_e32 v2, v1
	v_cvt_i32_f32_e32 v19, v15
	v_add_f32_e32 v9, v9, v11
	v_cvt_f32_i32_dpp v4, v5 row_shl:4 row_mask:0xf bank_mask:0xf bound_ctrl:1
	v_cvt_f32_i32_dpp v2, v2 row_shl:4 row_mask:0xf bank_mask:0xf bound_ctrl:1
	v_cvt_f32_i32_dpp v19, v19 row_shl:8 row_mask:0xf bank_mask:0xf bound_ctrl:1
	v_cvt_i32_f32_e32 v11, v9
	v_add_f32_e32 v0, v0, v4
	v_add_f32_e32 v1, v1, v2
	v_cvt_i32_f32_e32 v22, v18
	v_cvt_i32_f32_e32 v16, v23
	v_add_f32_e32 v15, v15, v19
	v_cvt_f32_i32_dpp v3, v11 row_shl:8 row_mask:0xf bank_mask:0xf bound_ctrl:1
	v_cvt_i32_f32_e32 v4, v0
	v_cvt_i32_f32_e32 v2, v1
	;; [unrolled: 1-line block ×3, first 2 shown]
	v_cvt_f32_i32_dpp v22, v22 row_bcast:15 row_mask:0xf bank_mask:0xf bound_ctrl:1
	v_cvt_f32_i32_dpp v24, v16 row_shl:8 row_mask:0xf bank_mask:0xf bound_ctrl:1
	v_add_f32_e32 v3, v9, v3
	v_cvt_f32_i32_dpp v4, v4 row_shl:8 row_mask:0xf bank_mask:0xf bound_ctrl:1
	v_cvt_f32_i32_dpp v2, v2 row_shl:8 row_mask:0xf bank_mask:0xf bound_ctrl:1
	v_cvt_f32_i32_dpp v5, v15 row_shr:15 row_mask:0xf bank_mask:0xf bound_ctrl:1
	v_cvt_i32_f32_e32 v3, v3
	v_add_f32_e32 v16, v18, v22
	v_add_f32_e32 v22, v23, v24
	v_add_f32_e32 v0, v0, v4
	v_add_f32_e32 v1, v1, v2
	v_cvt_i32_f32_e32 v22, v22
	v_cvt_i32_f32_e32 v6, v5
	v_cvt_f32_i32_dpp v3, v3 row_shr:15 row_mask:0xf bank_mask:0xf bound_ctrl:1
	v_cvt_i32_f32_e32 v0, v0
	v_cvt_i32_f32_e32 v1, v1
	v_cvt_f32_i32_dpp v22, v22 row_shr:15 row_mask:0xf bank_mask:0xf bound_ctrl:1
	v_cvt_f32_i32_dpp v2, v6 row_bcast:15 row_mask:0xf bank_mask:0xf bound_ctrl:1
	v_cvt_f32_i32_dpp v0, v0 row_shr:15 row_mask:0xf bank_mask:0xf bound_ctrl:1
	v_cvt_i32_f32_e32 v4, v3
	v_cvt_f32_i32_dpp v1, v1 row_shr:15 row_mask:0xf bank_mask:0xf bound_ctrl:1
	v_cvt_i32_f32_e32 v18, v16
	v_cvt_i32_f32_e32 v23, v22
	v_add_f32_e32 v11, v5, v2
	v_cvt_i32_f32_e32 v2, v0
	v_cvt_f32_i32_dpp v4, v4 row_bcast:15 row_mask:0xf bank_mask:0xf bound_ctrl:1
	v_cvt_i32_f32_e32 v5, v1
	v_mov_b32_dpp v14, v18 row_bcast:31 row_mask:0xf bank_mask:0xf bound_ctrl:1
	v_cvt_f32_i32_dpp v18, v23 row_bcast:15 row_mask:0xf bank_mask:0xf bound_ctrl:1
	v_cvt_f32_i32_dpp v2, v2 row_bcast:15 row_mask:0xf bank_mask:0xf bound_ctrl:1
	v_add_f32_e32 v6, v3, v4
	v_cvt_f32_i32_dpp v3, v5 row_bcast:15 row_mask:0xf bank_mask:0xf bound_ctrl:1
	v_add_f32_e32 v12, v22, v18
	v_add_f32_e32 v4, v0, v2
	v_cvt_i32_f32_e32 v21, v13
	v_add_f32_e32 v2, v1, v3
	v_cvt_i32_f32_e32 v18, v12
	v_cvt_i32_f32_e32 v7, v11
	;; [unrolled: 1-line block ×5, first 2 shown]
	v_mov_b32_dpp v10, v21 row_bcast:31 row_mask:0xf bank_mask:0xf bound_ctrl:1
	v_mov_b32_dpp v8, v18 row_bcast:31 row_mask:0xf bank_mask:0xf bound_ctrl:1
	v_mov_b32_dpp v15, v7 row_bcast:31 row_mask:0xf bank_mask:0xf bound_ctrl:1
	v_mov_b32_dpp v7, v5 row_bcast:31 row_mask:0xf bank_mask:0xf bound_ctrl:1
	v_mov_b32_dpp v5, v0 row_bcast:31 row_mask:0xf bank_mask:0xf bound_ctrl:1
	v_mov_b32_dpp v3, v1 row_bcast:31 row_mask:0xf bank_mask:0xf bound_ctrl:1
	s_and_saveexec_b64 s[20:21], s[0:1]
	s_cbranch_execz .LBB197_13
; %bb.20:                               ;   in Loop: Header=BB197_14 Depth=1
	s_andn2_b64 vcc, exec, s[18:19]
	v_mov_b32_e32 v0, 0
	v_mov_b32_e32 v24, 0
	;; [unrolled: 1-line block ×8, first 2 shown]
	s_cbranch_vccnz .LBB197_22
; %bb.21:                               ;   in Loop: Header=BB197_14 Depth=1
	v_mul_hi_u32 v0, v56, v69
	v_mul_lo_u32 v0, v0, s12
	v_sub_u32_e32 v0, v56, v0
	v_subrev_u32_e32 v1, s12, v0
	v_cmp_le_u32_e32 vcc, s12, v0
	v_mov_b32_e32 v19, v59
	v_mov_b32_e32 v23, v59
	v_cndmask_b32_e32 v0, v0, v1, vcc
	v_subrev_u32_e32 v1, s12, v0
	v_cmp_le_u32_e32 vcc, s12, v0
	s_nop 1
	v_cndmask_b32_e32 v58, v0, v1, vcc
	v_or_b32_e32 v0, 1, v56
	v_mul_hi_u32 v1, v0, v69
	v_mul_lo_u32 v1, v1, s12
	v_sub_u32_e32 v0, v0, v1
	v_subrev_u32_e32 v1, s12, v0
	v_cmp_le_u32_e32 vcc, s12, v0
	v_lshl_add_u64 v[26:27], v[58:59], 1, s[8:9]
	v_add_u32_e32 v58, s13, v58
	v_cndmask_b32_e32 v0, v0, v1, vcc
	v_subrev_u32_e32 v1, s12, v0
	v_cmp_le_u32_e32 vcc, s12, v0
	v_lshl_add_u64 v[34:35], v[58:59], 1, s[8:9]
	s_nop 0
	v_cndmask_b32_e32 v0, v0, v1, vcc
	v_mov_b32_e32 v1, v59
	v_lshl_add_u64 v[28:29], v[0:1], 1, s[8:9]
	v_or_b32_e32 v1, 2, v56
	v_mul_hi_u32 v9, v1, v69
	v_mul_lo_u32 v9, v9, s12
	v_sub_u32_e32 v1, v1, v9
	v_subrev_u32_e32 v9, s12, v1
	v_cmp_le_u32_e32 vcc, s12, v1
	v_add_u32_e32 v58, s13, v0
	v_lshl_add_u64 v[36:37], v[58:59], 1, s[8:9]
	v_cndmask_b32_e32 v1, v1, v9, vcc
	v_subrev_u32_e32 v9, s12, v1
	v_cmp_le_u32_e32 vcc, s12, v1
	s_nop 1
	v_cndmask_b32_e32 v18, v1, v9, vcc
	v_or_b32_e32 v1, 3, v56
	v_mul_hi_u32 v9, v1, v69
	v_mul_lo_u32 v9, v9, s12
	v_sub_u32_e32 v1, v1, v9
	v_subrev_u32_e32 v9, s12, v1
	v_cmp_le_u32_e32 vcc, s12, v1
	v_add_u32_e32 v58, s13, v18
	v_lshl_add_u64 v[38:39], v[58:59], 1, s[8:9]
	v_cndmask_b32_e32 v1, v1, v9, vcc
	v_subrev_u32_e32 v9, s12, v1
	v_cmp_le_u32_e32 vcc, s12, v1
	v_lshl_add_u64 v[30:31], v[18:19], 1, s[8:9]
	s_nop 0
	v_cndmask_b32_e32 v22, v1, v9, vcc
	v_add_u32_e32 v58, s13, v22
	v_lshl_add_u64 v[32:33], v[22:23], 1, s[8:9]
	v_lshl_add_u64 v[40:41], v[58:59], 1, s[8:9]
	global_load_ushort v0, v[26:27], off
	global_load_ushort v24, v[28:29], off
	;; [unrolled: 1-line block ×8, first 2 shown]
.LBB197_22:                             ;   in Loop: Header=BB197_14 Depth=1
	v_cvt_f32_i32_e32 v1, v17
	s_waitcnt vmcnt(7)
	v_lshlrev_b32_e32 v0, 16, v0
                                        ; implicit-def: $vgpr17
	v_add_f32_e32 v1, v20, v1
	v_add_f32_e32 v0, v1, v0
	v_and_b32_e32 v1, 0x7f800000, v0
	v_cmp_ne_u32_e32 vcc, s27, v1
	s_and_saveexec_b64 s[22:23], vcc
	s_xor_b64 s[22:23], exec, s[22:23]
; %bb.23:                               ;   in Loop: Header=BB197_14 Depth=1
	v_bfe_u32 v1, v0, 16, 1
	v_add3_u32 v17, v0, v1, s28
                                        ; implicit-def: $vgpr0
; %bb.24:                               ;   in Loop: Header=BB197_14 Depth=1
	s_andn2_saveexec_b64 s[22:23], s[22:23]
; %bb.25:                               ;   in Loop: Header=BB197_14 Depth=1
	v_or_b32_e32 v1, 0x10000, v0
	v_cmp_eq_u32_sdwa vcc, v0, v59 src0_sel:WORD_0 src1_sel:DWORD
	s_nop 1
	v_cndmask_b32_e32 v17, v1, v0, vcc
; %bb.26:                               ;   in Loop: Header=BB197_14 Depth=1
	s_or_b64 exec, exec, s[22:23]
	v_cvt_f32_i32_e32 v14, v14
	v_mov_b32_e32 v57, v59
	v_lshl_add_u64 v[0:1], v[56:57], 1, s[10:11]
	global_store_short_d16_hi v[0:1], v17, off
	v_add_f32_e32 v14, v16, v14
	s_waitcnt vmcnt(7)
	v_lshlrev_b32_e32 v16, 16, v24
	v_add_f32_e32 v14, v14, v16
	v_and_b32_e32 v16, 0x7f800000, v14
	v_cmp_ne_u32_e32 vcc, s27, v16
                                        ; implicit-def: $vgpr16
	s_and_saveexec_b64 s[22:23], vcc
	s_xor_b64 s[22:23], exec, s[22:23]
; %bb.27:                               ;   in Loop: Header=BB197_14 Depth=1
	v_bfe_u32 v16, v14, 16, 1
	v_add3_u32 v16, v14, v16, s28
                                        ; implicit-def: $vgpr14
; %bb.28:                               ;   in Loop: Header=BB197_14 Depth=1
	s_andn2_saveexec_b64 s[22:23], s[22:23]
; %bb.29:                               ;   in Loop: Header=BB197_14 Depth=1
	v_or_b32_e32 v16, 0x10000, v14
	v_cmp_eq_u32_sdwa vcc, v14, v59 src0_sel:WORD_0 src1_sel:DWORD
	s_nop 1
	v_cndmask_b32_e32 v16, v16, v14, vcc
; %bb.30:                               ;   in Loop: Header=BB197_14 Depth=1
	s_or_b64 exec, exec, s[22:23]
	v_cvt_f32_i32_e32 v10, v10
	global_store_short_d16_hi v[0:1], v16, off offset:2
	v_add_f32_e32 v10, v13, v10
	s_waitcnt vmcnt(7)
	v_lshlrev_b32_e32 v13, 16, v23
	v_add_f32_e32 v10, v10, v13
	v_and_b32_e32 v13, 0x7f800000, v10
	v_cmp_ne_u32_e32 vcc, s27, v13
                                        ; implicit-def: $vgpr13
	s_and_saveexec_b64 s[22:23], vcc
	s_xor_b64 s[22:23], exec, s[22:23]
; %bb.31:                               ;   in Loop: Header=BB197_14 Depth=1
	v_bfe_u32 v13, v10, 16, 1
	v_add3_u32 v13, v10, v13, s28
                                        ; implicit-def: $vgpr10
; %bb.32:                               ;   in Loop: Header=BB197_14 Depth=1
	s_andn2_saveexec_b64 s[22:23], s[22:23]
; %bb.33:                               ;   in Loop: Header=BB197_14 Depth=1
	v_or_b32_e32 v13, 0x10000, v10
	v_cmp_eq_u32_sdwa vcc, v10, v59 src0_sel:WORD_0 src1_sel:DWORD
	s_nop 1
	v_cndmask_b32_e32 v13, v13, v10, vcc
; %bb.34:                               ;   in Loop: Header=BB197_14 Depth=1
	s_or_b64 exec, exec, s[22:23]
	v_cvt_f32_i32_e32 v8, v8
	s_waitcnt vmcnt(6)
	v_lshlrev_b32_e32 v10, 16, v22
	global_store_short_d16_hi v[0:1], v13, off offset:4
	v_add_f32_e32 v8, v12, v8
	v_add_f32_e32 v8, v8, v10
	v_and_b32_e32 v10, 0x7f800000, v8
	v_cmp_ne_u32_e32 vcc, s27, v10
                                        ; implicit-def: $vgpr10
	s_and_saveexec_b64 s[22:23], vcc
	s_xor_b64 s[22:23], exec, s[22:23]
; %bb.35:                               ;   in Loop: Header=BB197_14 Depth=1
	v_bfe_u32 v10, v8, 16, 1
	v_add3_u32 v10, v8, v10, s28
                                        ; implicit-def: $vgpr8
; %bb.36:                               ;   in Loop: Header=BB197_14 Depth=1
	s_andn2_saveexec_b64 s[22:23], s[22:23]
; %bb.37:                               ;   in Loop: Header=BB197_14 Depth=1
	v_or_b32_e32 v10, 0x10000, v8
	v_cmp_eq_u32_sdwa vcc, v8, v59 src0_sel:WORD_0 src1_sel:DWORD
	s_nop 1
	v_cndmask_b32_e32 v10, v10, v8, vcc
; %bb.38:                               ;   in Loop: Header=BB197_14 Depth=1
	s_or_b64 exec, exec, s[22:23]
	v_cvt_f32_i32_e32 v8, v15
	global_store_short_d16_hi v[0:1], v10, off offset:6
	s_waitcnt vmcnt(7)
	v_lshlrev_b32_e32 v1, 16, v21
	v_add_f32_e32 v0, v11, v8
	v_add_f32_e32 v1, v0, v1
	v_and_b32_e32 v0, 0x7f800000, v1
	v_cmp_ne_u32_e32 vcc, s27, v0
                                        ; implicit-def: $vgpr0
	s_and_saveexec_b64 s[22:23], vcc
	s_xor_b64 s[22:23], exec, s[22:23]
; %bb.39:                               ;   in Loop: Header=BB197_14 Depth=1
	v_bfe_u32 v0, v1, 16, 1
	v_add3_u32 v0, v1, v0, s28
                                        ; implicit-def: $vgpr1
; %bb.40:                               ;   in Loop: Header=BB197_14 Depth=1
	s_andn2_saveexec_b64 s[22:23], s[22:23]
; %bb.41:                               ;   in Loop: Header=BB197_14 Depth=1
	v_or_b32_e32 v0, 0x10000, v1
	v_cmp_eq_u32_sdwa vcc, v1, v59 src0_sel:WORD_0 src1_sel:DWORD
	s_nop 1
	v_cndmask_b32_e32 v0, v0, v1, vcc
; %bb.42:                               ;   in Loop: Header=BB197_14 Depth=1
	s_or_b64 exec, exec, s[22:23]
	v_cvt_f32_i32_e32 v1, v7
	v_add_u32_e32 v58, s7, v56
	v_lshl_add_u64 v[10:11], v[58:59], 1, s[10:11]
	global_store_short_d16_hi v[10:11], v0, off
	v_add_f32_e32 v0, v6, v1
	s_waitcnt vmcnt(7)
	v_lshlrev_b32_e32 v1, 16, v19
	v_add_f32_e32 v1, v0, v1
	v_and_b32_e32 v0, 0x7f800000, v1
	v_cmp_ne_u32_e32 vcc, s27, v0
                                        ; implicit-def: $vgpr0
	s_and_saveexec_b64 s[22:23], vcc
	s_xor_b64 s[22:23], exec, s[22:23]
; %bb.43:                               ;   in Loop: Header=BB197_14 Depth=1
	v_bfe_u32 v0, v1, 16, 1
	v_add3_u32 v0, v1, v0, s28
                                        ; implicit-def: $vgpr1
; %bb.44:                               ;   in Loop: Header=BB197_14 Depth=1
	s_andn2_saveexec_b64 s[22:23], s[22:23]
; %bb.45:                               ;   in Loop: Header=BB197_14 Depth=1
	v_or_b32_e32 v0, 0x10000, v1
	v_cmp_eq_u32_sdwa vcc, v1, v59 src0_sel:WORD_0 src1_sel:DWORD
	s_nop 1
	v_cndmask_b32_e32 v0, v0, v1, vcc
; %bb.46:                               ;   in Loop: Header=BB197_14 Depth=1
	s_or_b64 exec, exec, s[22:23]
	v_cvt_f32_i32_e32 v1, v5
	v_add_u32_e32 v6, 1, v58
	v_mov_b32_e32 v7, v59
	v_lshl_add_u64 v[6:7], v[6:7], 1, s[10:11]
	v_add_f32_e32 v1, v4, v1
	global_store_short_d16_hi v[6:7], v0, off
	s_waitcnt vmcnt(7)
	v_lshlrev_b32_e32 v0, 16, v18
	v_add_f32_e32 v1, v1, v0
	v_and_b32_e32 v0, 0x7f800000, v1
	v_cmp_ne_u32_e32 vcc, s27, v0
                                        ; implicit-def: $vgpr0
	s_and_saveexec_b64 s[22:23], vcc
	s_xor_b64 s[22:23], exec, s[22:23]
; %bb.47:                               ;   in Loop: Header=BB197_14 Depth=1
	v_bfe_u32 v0, v1, 16, 1
	v_add3_u32 v0, v1, v0, s28
                                        ; implicit-def: $vgpr1
; %bb.48:                               ;   in Loop: Header=BB197_14 Depth=1
	s_andn2_saveexec_b64 s[22:23], s[22:23]
; %bb.49:                               ;   in Loop: Header=BB197_14 Depth=1
	v_or_b32_e32 v0, 0x10000, v1
	v_cmp_eq_u32_sdwa vcc, v1, v59 src0_sel:WORD_0 src1_sel:DWORD
	s_nop 1
	v_cndmask_b32_e32 v0, v0, v1, vcc
; %bb.50:                               ;   in Loop: Header=BB197_14 Depth=1
	s_or_b64 exec, exec, s[22:23]
	v_cvt_f32_i32_e32 v1, v3
	v_add_u32_e32 v4, 2, v58
	v_mov_b32_e32 v5, v59
	v_lshl_add_u64 v[4:5], v[4:5], 1, s[10:11]
	v_add_f32_e32 v1, v2, v1
	global_store_short_d16_hi v[4:5], v0, off
	s_waitcnt vmcnt(7)
	v_lshlrev_b32_e32 v0, 16, v9
	v_add_f32_e32 v1, v1, v0
	v_and_b32_e32 v0, 0x7f800000, v1
	v_cmp_ne_u32_e32 vcc, s27, v0
                                        ; implicit-def: $vgpr0
	s_and_saveexec_b64 s[22:23], vcc
	s_xor_b64 s[22:23], exec, s[22:23]
; %bb.51:                               ;   in Loop: Header=BB197_14 Depth=1
	v_bfe_u32 v0, v1, 16, 1
	v_add3_u32 v0, v1, v0, s28
                                        ; implicit-def: $vgpr1
; %bb.52:                               ;   in Loop: Header=BB197_14 Depth=1
	s_andn2_saveexec_b64 s[22:23], s[22:23]
	s_cbranch_execz .LBB197_12
; %bb.53:                               ;   in Loop: Header=BB197_14 Depth=1
	v_or_b32_e32 v0, 0x10000, v1
	v_cmp_eq_u32_sdwa vcc, v1, v59 src0_sel:WORD_0 src1_sel:DWORD
	s_nop 1
	v_cndmask_b32_e32 v0, v0, v1, vcc
	s_branch .LBB197_12
.LBB197_54:
	s_endpgm
	.section	.rodata,"a",@progbits
	.p2align	6, 0x0
	.amdhsa_kernel _Z16wvSplitK_hf_sml_I14__hip_bfloat16Li32ELi4ELi16ELi8ELi1ELi2EEviiiiiiPKT_S3_S3_PS1_ii
		.amdhsa_group_segment_fixed_size 65536
		.amdhsa_private_segment_fixed_size 0
		.amdhsa_kernarg_size 64
		.amdhsa_user_sgpr_count 2
		.amdhsa_user_sgpr_dispatch_ptr 0
		.amdhsa_user_sgpr_queue_ptr 0
		.amdhsa_user_sgpr_kernarg_segment_ptr 1
		.amdhsa_user_sgpr_dispatch_id 0
		.amdhsa_user_sgpr_kernarg_preload_length 0
		.amdhsa_user_sgpr_kernarg_preload_offset 0
		.amdhsa_user_sgpr_private_segment_size 0
		.amdhsa_uses_dynamic_stack 0
		.amdhsa_enable_private_segment 0
		.amdhsa_system_sgpr_workgroup_id_x 1
		.amdhsa_system_sgpr_workgroup_id_y 0
		.amdhsa_system_sgpr_workgroup_id_z 0
		.amdhsa_system_sgpr_workgroup_info 0
		.amdhsa_system_vgpr_workitem_id 1
		.amdhsa_next_free_vgpr 71
		.amdhsa_next_free_sgpr 29
		.amdhsa_accum_offset 72
		.amdhsa_reserve_vcc 1
		.amdhsa_float_round_mode_32 0
		.amdhsa_float_round_mode_16_64 0
		.amdhsa_float_denorm_mode_32 3
		.amdhsa_float_denorm_mode_16_64 3
		.amdhsa_dx10_clamp 1
		.amdhsa_ieee_mode 1
		.amdhsa_fp16_overflow 0
		.amdhsa_tg_split 0
		.amdhsa_exception_fp_ieee_invalid_op 0
		.amdhsa_exception_fp_denorm_src 0
		.amdhsa_exception_fp_ieee_div_zero 0
		.amdhsa_exception_fp_ieee_overflow 0
		.amdhsa_exception_fp_ieee_underflow 0
		.amdhsa_exception_fp_ieee_inexact 0
		.amdhsa_exception_int_div_zero 0
	.end_amdhsa_kernel
	.section	.text._Z16wvSplitK_hf_sml_I14__hip_bfloat16Li32ELi4ELi16ELi8ELi1ELi2EEviiiiiiPKT_S3_S3_PS1_ii,"axG",@progbits,_Z16wvSplitK_hf_sml_I14__hip_bfloat16Li32ELi4ELi16ELi8ELi1ELi2EEviiiiiiPKT_S3_S3_PS1_ii,comdat
.Lfunc_end197:
	.size	_Z16wvSplitK_hf_sml_I14__hip_bfloat16Li32ELi4ELi16ELi8ELi1ELi2EEviiiiiiPKT_S3_S3_PS1_ii, .Lfunc_end197-_Z16wvSplitK_hf_sml_I14__hip_bfloat16Li32ELi4ELi16ELi8ELi1ELi2EEviiiiiiPKT_S3_S3_PS1_ii
                                        ; -- End function
	.section	.AMDGPU.csdata,"",@progbits
; Kernel info:
; codeLenInByte = 3692
; NumSgprs: 35
; NumVgprs: 71
; NumAgprs: 0
; TotalNumVgprs: 71
; ScratchSize: 0
; MemoryBound: 0
; FloatMode: 240
; IeeeMode: 1
; LDSByteSize: 65536 bytes/workgroup (compile time only)
; SGPRBlocks: 4
; VGPRBlocks: 8
; NumSGPRsForWavesPerEU: 35
; NumVGPRsForWavesPerEU: 71
; AccumOffset: 72
; Occupancy: 2
; WaveLimiterHint : 0
; COMPUTE_PGM_RSRC2:SCRATCH_EN: 0
; COMPUTE_PGM_RSRC2:USER_SGPR: 2
; COMPUTE_PGM_RSRC2:TRAP_HANDLER: 0
; COMPUTE_PGM_RSRC2:TGID_X_EN: 1
; COMPUTE_PGM_RSRC2:TGID_Y_EN: 0
; COMPUTE_PGM_RSRC2:TGID_Z_EN: 0
; COMPUTE_PGM_RSRC2:TIDIG_COMP_CNT: 1
; COMPUTE_PGM_RSRC3_GFX90A:ACCUM_OFFSET: 17
; COMPUTE_PGM_RSRC3_GFX90A:TG_SPLIT: 0
	.section	.text._Z12wvSplitK_hf_I14__hip_bfloat16Li32ELi4ELi16ELi8ELi1ELi2EEviiiiiiPKT_S3_S3_PS1_ii,"axG",@progbits,_Z12wvSplitK_hf_I14__hip_bfloat16Li32ELi4ELi16ELi8ELi1ELi2EEviiiiiiPKT_S3_S3_PS1_ii,comdat
	.protected	_Z12wvSplitK_hf_I14__hip_bfloat16Li32ELi4ELi16ELi8ELi1ELi2EEviiiiiiPKT_S3_S3_PS1_ii ; -- Begin function _Z12wvSplitK_hf_I14__hip_bfloat16Li32ELi4ELi16ELi8ELi1ELi2EEviiiiiiPKT_S3_S3_PS1_ii
	.globl	_Z12wvSplitK_hf_I14__hip_bfloat16Li32ELi4ELi16ELi8ELi1ELi2EEviiiiiiPKT_S3_S3_PS1_ii
	.p2align	8
	.type	_Z12wvSplitK_hf_I14__hip_bfloat16Li32ELi4ELi16ELi8ELi1ELi2EEviiiiiiPKT_S3_S3_PS1_ii,@function
_Z12wvSplitK_hf_I14__hip_bfloat16Li32ELi4ELi16ELi8ELi1ELi2EEviiiiiiPKT_S3_S3_PS1_ii: ; @_Z12wvSplitK_hf_I14__hip_bfloat16Li32ELi4ELi16ELi8ELi1ELi2EEviiiiiiPKT_S3_S3_PS1_ii
; %bb.0:
	s_load_dwordx2 s[8:9], s[0:1], 0x38
	s_load_dwordx2 s[20:21], s[0:1], 0x20
	s_load_dwordx4 s[12:15], s[0:1], 0x0
	s_load_dwordx2 s[22:23], s[0:1], 0x10
	v_bfe_u32 v8, v0, 10, 10
	s_waitcnt lgkmcnt(0)
	s_mul_i32 s2, s2, s8
	v_add_lshl_u32 v62, s2, v8, 2
	s_mov_b32 s4, 1
	v_add_u32_e32 v1, 4, v62
	s_mov_b32 s5, s4
	v_cmp_gt_u32_e32 vcc, s15, v62
	v_cmp_le_u32_e64 s[2:3], s15, v1
	s_mov_b32 s6, s4
	s_mov_b32 s7, s4
	v_mov_b64_e32 v[2:3], s[4:5]
	s_and_b64 s[10:11], vcc, s[2:3]
	v_mov_b64_e32 v[4:5], s[6:7]
	s_and_saveexec_b64 s[2:3], s[10:11]
	s_cbranch_execz .LBB198_6
; %bb.1:
	s_add_i32 s24, s15, -4
	v_mov_b64_e32 v[2:3], s[4:5]
	v_cmp_ne_u32_e32 vcc, s24, v62
	v_mov_b64_e32 v[4:5], s[6:7]
	s_and_saveexec_b64 s[10:11], vcc
	s_cbranch_execz .LBB198_5
; %bb.2:
	v_subrev_u32_e32 v1, s24, v62
	v_cmp_lt_u32_e32 vcc, 1, v1
	s_mov_b64 s[16:17], 0
	s_mov_b64 s[18:19], 0
	v_cndmask_b32_e32 v6, 1, v1, vcc
	s_mov_b32 s5, s4
	s_mov_b32 s6, s4
	;; [unrolled: 1-line block ×3, first 2 shown]
.LBB198_3:                              ; =>This Inner Loop Header: Depth=1
	s_cmp_lg_u32 s18, 3
	s_cselect_b32 s7, s7, 0
	s_cmp_lg_u32 s18, 2
	s_cselect_b32 s6, s6, 0
	;; [unrolled: 2-line block ×4, first 2 shown]
	s_add_u32 s18, s18, 1
	s_addc_u32 s19, s19, 0
	v_cmp_eq_u32_e32 vcc, s18, v6
	v_mov_b64_e32 v[2:3], s[4:5]
	s_or_b64 s[16:17], vcc, s[16:17]
	v_mov_b64_e32 v[4:5], s[6:7]
	s_andn2_b64 exec, exec, s[16:17]
	s_cbranch_execnz .LBB198_3
; %bb.4:
	s_or_b64 exec, exec, s[16:17]
	v_mov_b32_e32 v62, s24
.LBB198_5:
	s_or_b64 exec, exec, s[10:11]
.LBB198_6:
	s_or_b64 exec, exec, s[2:3]
	v_and_b32_e32 v9, 0x3ff, v0
	v_lshlrev_b32_e32 v80, 3, v9
	s_lshl_b32 s33, s14, 1
	v_lshl_add_u32 v10, v8, 8, v80
	s_min_u32 s4, s33, 0x8000
	v_cmp_gt_u32_e32 vcc, s4, v10
	s_and_saveexec_b64 s[2:3], vcc
	s_cbranch_execz .LBB198_15
; %bb.7:
	v_lshlrev_b32_e32 v0, 1, v10
	global_load_dwordx4 v[12:15], v0, s[20:21]
	v_add_u32_e32 v1, 0x1000, v10
	v_cmp_gt_u32_e32 vcc, s4, v1
	s_waitcnt vmcnt(0)
	ds_write_b128 v0, v[12:15]
	s_and_saveexec_b64 s[6:7], vcc
	s_xor_b64 s[6:7], exec, s[6:7]
	s_cbranch_execz .LBB198_15
; %bb.8:
	v_mov_b32_e32 v1, 0
	v_lshl_add_u64 v[6:7], s[20:21], 0, v[0:1]
	v_add_co_u32_e32 v12, vcc, 0x2000, v6
	v_add_u32_e32 v1, 0x2000, v10
	s_nop 0
	v_addc_co_u32_e32 v13, vcc, 0, v7, vcc
	global_load_dwordx4 v[12:15], v[12:13], off
	v_cmp_gt_u32_e32 vcc, s4, v1
	s_waitcnt vmcnt(0)
	ds_write_b128 v0, v[12:15] offset:8192
	s_and_saveexec_b64 s[6:7], vcc
	s_xor_b64 s[6:7], exec, s[6:7]
	s_cbranch_execz .LBB198_15
; %bb.9:
	v_add_co_u32_e32 v12, vcc, 0x4000, v6
	v_add_u32_e32 v1, 0x3000, v10
	s_nop 0
	v_addc_co_u32_e32 v13, vcc, 0, v7, vcc
	global_load_dwordx4 v[12:15], v[12:13], off
	v_cmp_gt_u32_e32 vcc, s4, v1
	s_waitcnt vmcnt(0)
	ds_write_b128 v0, v[12:15] offset:16384
	s_and_saveexec_b64 s[6:7], vcc
	s_xor_b64 s[6:7], exec, s[6:7]
	s_cbranch_execz .LBB198_15
; %bb.10:
	;; [unrolled: 12-line block ×6, first 2 shown]
	v_add_co_u32_e32 v6, vcc, 0xe000, v6
	s_nop 1
	v_addc_co_u32_e32 v7, vcc, 0, v7, vcc
	global_load_dwordx4 v[10:13], v[6:7], off
	s_waitcnt vmcnt(0)
	ds_write_b128 v0, v[10:13] offset:57344
.LBB198_15:
	s_or_b64 exec, exec, s[2:3]
	v_cmp_gt_u32_e32 vcc, s8, v8
	v_cmp_gt_u32_e64 s[2:3], s15, v62
	s_and_b64 s[2:3], vcc, s[2:3]
	s_waitcnt lgkmcnt(0)
	s_barrier
	s_and_saveexec_b64 s[4:5], s[2:3]
	s_cbranch_execz .LBB198_88
; %bb.16:
	v_cvt_f32_u32_e32 v0, s22
	s_load_dwordx4 s[16:19], s[0:1], 0x28
	s_load_dwordx2 s[24:25], s[0:1], 0x18
	s_cmp_lg_u32 s12, 0
	s_cselect_b64 s[2:3], -1, 0
	v_rcp_iflag_f32_e32 v0, v0
	s_add_i32 s38, s12, -8
	s_add_i32 s39, s15, -1
	s_mul_i32 s4, s8, s9
	v_mul_f32_e32 v0, 0x4f7ffffe, v0
	v_cvt_u32_f32_e32 v0, v0
	s_waitcnt lgkmcnt(0)
	s_cmp_lg_u64 s[16:17], 0
	s_cselect_b64 s[28:29], -1, 0
	s_lshl_b32 s40, s4, 2
	s_sub_i32 s4, 0, s22
	v_mul_lo_u32 v1, s4, v0
	s_abs_i32 s4, s23
	s_add_i32 s41, s15, -4
	s_sub_i32 s5, 1, s4
	s_cmp_lt_u32 s4, 2
	s_cselect_b32 s5, s5, 1
	s_sub_i32 s6, s5, s4
	v_mul_hi_u32 v1, v0, v1
	s_cmp_ge_u32 s5, s4
	v_add_u32_e32 v81, v0, v1
	s_cselect_b32 s23, s6, s5
	v_cndmask_b32_e64 v0, 0, 1, s[2:3]
	v_cmp_eq_u32_e64 s[0:1], 31, v9
	s_mov_b64 s[26:27], 0
	v_mov_b32_e32 v1, 0
	s_mul_i32 s23, s23, s22
	v_lshlrev_b32_e32 v82, 4, v9
	v_add_u32_e32 v83, s14, v80
	v_cmp_ne_u32_e64 s[2:3], 1, v0
	s_movk_i32 s14, 0x7fff
	s_mov_b32 s42, 0x7f800000
	s_branch .LBB198_19
.LBB198_17:                             ;   in Loop: Header=BB198_19 Depth=1
	s_or_b64 exec, exec, s[8:9]
	v_mov_b32_e32 v62, s41
.LBB198_18:                             ;   in Loop: Header=BB198_19 Depth=1
	s_or_b64 exec, exec, s[6:7]
	v_cmp_le_u32_e32 vcc, s15, v62
	s_or_b64 s[26:27], vcc, s[26:27]
	s_andn2_b64 exec, exec, s[26:27]
	s_cbranch_execz .LBB198_88
.LBB198_19:                             ; =>This Loop Header: Depth=1
                                        ;     Child Loop BB198_23 Depth 2
                                        ;     Child Loop BB198_86 Depth 2
	s_and_b64 vcc, exec, s[2:3]
	v_add_u32_e32 v68, 1, v62
	v_add_u32_e32 v66, 2, v62
	;; [unrolled: 1-line block ×3, first 2 shown]
	v_mov_b32_e32 v13, v1
	v_mov_b32_e32 v12, v1
	s_waitcnt vmcnt(0)
	v_mov_b32_e32 v11, v1
	v_mov_b32_e32 v10, v1
	v_mov_b32_e32 v9, v1
	v_mov_b32_e32 v8, v1
	v_mov_b32_e32 v7, v1
	v_mov_b32_e32 v6, v1
	v_mov_b32_e32 v17, v1
	v_mov_b32_e32 v16, v1
	v_mov_b32_e32 v15, v1
	v_mov_b32_e32 v14, v1
	v_mov_b32_e32 v21, v1
	v_mov_b32_e32 v20, v1
	v_mov_b32_e32 v19, v1
	v_mov_b32_e32 v18, v1
	v_mov_b32_e32 v37, v1
	v_mov_b32_e32 v36, v1
	v_mov_b32_e32 v35, v1
	v_mov_b32_e32 v34, v1
	v_mov_b32_e32 v33, v1
	v_mov_b32_e32 v32, v1
	v_mov_b32_e32 v31, v1
	v_mov_b32_e32 v30, v1
	v_mov_b32_e32 v29, v1
	v_mov_b32_e32 v28, v1
	v_mov_b32_e32 v27, v1
	v_mov_b32_e32 v26, v1
	v_mov_b32_e32 v25, v1
	v_mov_b32_e32 v24, v1
	v_mov_b32_e32 v23, v1
	v_mov_b32_e32 v22, v1
	s_cbranch_vccnz .LBB198_32
; %bb.20:                               ;   in Loop: Header=BB198_19 Depth=1
	v_min_u32_e32 v0, s39, v62
	v_mul_lo_u32 v70, v0, s13
	v_min_u32_e32 v0, s39, v68
	v_mul_lo_u32 v72, v0, s13
	;; [unrolled: 2-line block ×3, first 2 shown]
	v_min_u32_e32 v0, s39, v64
	v_mov_b32_e32 v22, 0
	v_mov_b32_e32 v71, v1
	;; [unrolled: 1-line block ×4, first 2 shown]
	v_mul_lo_u32 v76, v0, s13
	v_mov_b32_e32 v77, v1
	s_mov_b32 s4, 0
	v_mov_b32_e32 v63, v82
	s_mov_b32 s10, 0
	v_mov_b32_e32 v23, v22
	v_mov_b32_e32 v24, v22
	v_mov_b32_e32 v25, v22
	v_mov_b32_e32 v26, v22
	v_mov_b32_e32 v27, v22
	v_mov_b32_e32 v28, v22
	v_mov_b32_e32 v29, v22
	v_mov_b32_e32 v30, v22
	v_mov_b32_e32 v31, v22
	v_mov_b32_e32 v32, v22
	v_mov_b32_e32 v33, v22
	v_mov_b32_e32 v34, v22
	v_mov_b32_e32 v35, v22
	v_mov_b32_e32 v36, v22
	v_mov_b32_e32 v37, v22
	v_mov_b32_e32 v18, v22
	v_mov_b32_e32 v19, v22
	v_mov_b32_e32 v20, v22
	v_mov_b32_e32 v21, v22
	v_mov_b32_e32 v14, v22
	v_mov_b32_e32 v15, v22
	v_mov_b32_e32 v16, v22
	v_mov_b32_e32 v17, v22
	v_mov_b32_e32 v6, v22
	v_mov_b32_e32 v7, v22
	v_mov_b32_e32 v8, v22
	v_mov_b32_e32 v9, v22
	v_mov_b32_e32 v10, v22
	v_mov_b32_e32 v11, v22
	v_mov_b32_e32 v12, v22
	v_mov_b32_e32 v13, v22
	s_branch .LBB198_23
.LBB198_21:                             ;   in Loop: Header=BB198_23 Depth=2
	s_or_b64 exec, exec, s[8:9]
.LBB198_22:                             ;   in Loop: Header=BB198_23 Depth=2
	s_or_b64 exec, exec, s[6:7]
	s_waitcnt vmcnt(0) lgkmcnt(0)
	v_mfma_f32_4x4x4_16b_bf16 v[34:37], v[54:55], v[46:47], v[34:37]
	s_addk_i32 s10, 0x100
	v_mfma_f32_4x4x4_16b_bf16 v[30:33], v[54:55], v[42:43], v[30:33]
	v_add_u32_e32 v63, 0x200, v63
	v_mfma_f32_4x4x4_16b_bf16 v[26:29], v[54:55], v[50:51], v[26:29]
	s_cmp_ge_u32 s10, s12
	v_mfma_f32_4x4x4_16b_bf16 v[22:25], v[54:55], v[38:39], v[22:25]
	v_mfma_f32_4x4x4_16b_bf16 v[18:21], v[58:59], v[46:47], v[18:21]
	;; [unrolled: 1-line block ×13, first 2 shown]
	s_cbranch_scc1 .LBB198_32
.LBB198_23:                             ;   Parent Loop BB198_19 Depth=1
                                        ; =>  This Inner Loop Header: Depth=2
	v_add_u32_e32 v78, s10, v80
	v_min_u32_e32 v0, s38, v78
	v_lshl_add_u64 v[38:39], v[0:1], 1, s[24:25]
	v_lshl_add_u64 v[40:41], v[70:71], 1, v[38:39]
	;; [unrolled: 1-line block ×4, first 2 shown]
	global_load_dwordx4 v[46:49], v[40:41], off nt
	global_load_dwordx4 v[42:45], v[50:51], off nt
	v_lshl_add_u64 v[56:57], v[76:77], 1, v[38:39]
	global_load_dwordx4 v[50:53], v[54:55], off nt
	global_load_dwordx4 v[38:41], v[56:57], off nt
	s_mov_b32 s5, s4
	v_cmp_gt_u32_e32 vcc, s12, v78
	v_mov_b64_e32 v[54:55], s[4:5]
	v_mov_b32_e32 v59, 0
	v_mov_b32_e32 v58, 0
	;; [unrolled: 1-line block ×4, first 2 shown]
	v_mov_b64_e32 v[56:57], s[4:5]
	s_and_saveexec_b64 s[6:7], vcc
	s_cbranch_execz .LBB198_22
; %bb.24:                               ;   in Loop: Header=BB198_23 Depth=2
	v_cmp_lt_u32_e32 vcc, s14, v78
                                        ; implicit-def: $vgpr54_vgpr55
	s_and_saveexec_b64 s[8:9], vcc
	s_xor_b64 s[8:9], exec, s[8:9]
	s_cbranch_execz .LBB198_26
; %bb.25:                               ;   in Loop: Header=BB198_23 Depth=2
	v_mov_b32_e32 v79, v1
	v_lshl_add_u64 v[54:55], v[78:79], 1, s[20:21]
	global_load_dwordx4 v[54:57], v[54:55], off
.LBB198_26:                             ;   in Loop: Header=BB198_23 Depth=2
	s_andn2_saveexec_b64 s[8:9], s[8:9]
	s_cbranch_execz .LBB198_28
; %bb.27:                               ;   in Loop: Header=BB198_23 Depth=2
	s_waitcnt vmcnt(0)
	ds_read_b128 v[54:57], v63
.LBB198_28:                             ;   in Loop: Header=BB198_23 Depth=2
	s_or_b64 exec, exec, s[8:9]
	v_add_u32_e32 v0, s10, v83
	v_cmp_lt_u32_e32 vcc, s14, v0
                                        ; implicit-def: $vgpr59
	s_and_saveexec_b64 s[8:9], vcc
	s_xor_b64 s[8:9], exec, s[8:9]
	s_cbranch_execz .LBB198_30
; %bb.29:                               ;   in Loop: Header=BB198_23 Depth=2
	v_lshl_add_u64 v[58:59], v[0:1], 1, s[20:21]
	global_load_dwordx4 v[58:61], v[58:59], off
.LBB198_30:                             ;   in Loop: Header=BB198_23 Depth=2
	s_andn2_saveexec_b64 s[8:9], s[8:9]
	s_cbranch_execz .LBB198_21
; %bb.31:                               ;   in Loop: Header=BB198_23 Depth=2
	v_add_u32_e32 v0, s33, v63
	s_waitcnt vmcnt(0)
	ds_read_b128 v[58:61], v0
	s_branch .LBB198_21
.LBB198_32:                             ;   in Loop: Header=BB198_19 Depth=1
	v_cvt_i32_f32_e32 v0, v35
	v_cvt_i32_f32_e32 v35, v36
	;; [unrolled: 1-line block ×4, first 2 shown]
	v_cvt_f32_i32_dpp v0, v0 row_shl:1 row_mask:0xf bank_mask:0xf bound_ctrl:1
	v_cvt_f32_i32_dpp v35, v35 row_shl:2 row_mask:0xf bank_mask:0xf bound_ctrl:1
	;; [unrolled: 1-line block ×3, first 2 shown]
	v_cvt_i32_f32_e32 v32, v32
	v_add_f32_e32 v0, v34, v0
	v_add_f32_e32 v0, v0, v35
	;; [unrolled: 1-line block ×3, first 2 shown]
	v_cvt_i32_f32_e32 v34, v0
	v_cvt_i32_f32_e32 v33, v33
	v_cvt_f32_i32_dpp v31, v31 row_shl:1 row_mask:0xf bank_mask:0xf bound_ctrl:1
	v_cvt_f32_i32_dpp v32, v32 row_shl:2 row_mask:0xf bank_mask:0xf bound_ctrl:1
	;; [unrolled: 1-line block ×4, first 2 shown]
	v_add_f32_e32 v30, v30, v31
	v_add_f32_e32 v30, v30, v32
	;; [unrolled: 1-line block ×3, first 2 shown]
	v_cvt_i32_f32_e32 v34, v0
	v_cvt_i32_f32_e32 v27, v27
	v_add_f32_e32 v30, v30, v33
	v_cvt_i32_f32_e32 v28, v28
	v_cvt_f32_i32_dpp v31, v34 row_shl:8 row_mask:0xf bank_mask:0xf bound_ctrl:1
	v_cvt_i32_f32_e32 v32, v30
	v_cvt_i32_f32_e32 v29, v29
	v_cvt_f32_i32_dpp v27, v27 row_shl:1 row_mask:0xf bank_mask:0xf bound_ctrl:1
	v_add_f32_e32 v0, v0, v31
	v_cvt_i32_f32_e32 v0, v0
	v_cvt_f32_i32_dpp v28, v28 row_shl:2 row_mask:0xf bank_mask:0xf bound_ctrl:1
	v_cvt_f32_i32_dpp v31, v32 row_shl:4 row_mask:0xf bank_mask:0xf bound_ctrl:1
	;; [unrolled: 1-line block ×3, first 2 shown]
	v_cvt_f32_i32_dpp v0, v0 row_shr:15 row_mask:0xf bank_mask:0xf bound_ctrl:1
	v_add_f32_e32 v26, v26, v27
	v_add_f32_e32 v27, v30, v31
	;; [unrolled: 1-line block ×3, first 2 shown]
	v_cvt_i32_f32_e32 v23, v23
	v_cvt_i32_f32_e32 v30, v27
	v_add_f32_e32 v28, v26, v29
	v_cvt_i32_f32_e32 v24, v24
	v_cvt_i32_f32_e32 v31, v0
	;; [unrolled: 1-line block ×4, first 2 shown]
	v_cvt_f32_i32_dpp v23, v23 row_shl:1 row_mask:0xf bank_mask:0xf bound_ctrl:1
	v_cvt_f32_i32_dpp v29, v30 row_shl:8 row_mask:0xf bank_mask:0xf bound_ctrl:1
	;; [unrolled: 1-line block ×3, first 2 shown]
	v_cvt_f32_i32_dpp v30, v31 row_bcast:15 row_mask:0xf bank_mask:0xf bound_ctrl:1
	v_cvt_f32_i32_dpp v31, v26 row_shl:4 row_mask:0xf bank_mask:0xf bound_ctrl:1
	v_cvt_f32_i32_dpp v25, v25 row_shl:3 row_mask:0xf bank_mask:0xf bound_ctrl:1
	v_add_f32_e32 v22, v22, v23
	v_add_f32_e32 v27, v27, v29
	;; [unrolled: 1-line block ×4, first 2 shown]
	v_cvt_i32_f32_e32 v0, v27
	v_add_f32_e32 v27, v28, v31
	v_add_f32_e32 v22, v22, v25
	v_cvt_i32_f32_e32 v28, v27
	v_cvt_i32_f32_e32 v23, v22
	v_cvt_f32_i32_dpp v0, v0 row_shr:15 row_mask:0xf bank_mask:0xf bound_ctrl:1
	v_cvt_i32_f32_e32 v7, v7
	v_cvt_f32_i32_dpp v28, v28 row_shl:8 row_mask:0xf bank_mask:0xf bound_ctrl:1
	v_cvt_f32_i32_dpp v23, v23 row_shl:4 row_mask:0xf bank_mask:0xf bound_ctrl:1
	v_cvt_i32_f32_e32 v19, v19
	v_cvt_i32_f32_e32 v8, v8
	v_add_f32_e32 v24, v27, v28
	v_add_f32_e32 v28, v22, v23
	v_cvt_i32_f32_e32 v27, v0
	v_cvt_i32_f32_e32 v22, v28
	;; [unrolled: 1-line block ×4, first 2 shown]
	v_cvt_f32_i32_dpp v27, v27 row_bcast:15 row_mask:0xf bank_mask:0xf bound_ctrl:1
	v_cvt_f32_i32_dpp v29, v22 row_shl:8 row_mask:0xf bank_mask:0xf bound_ctrl:1
	v_cvt_i32_f32_e32 v21, v21
	v_cvt_i32_f32_e32 v25, v26
	v_cvt_f32_i32_dpp v24, v24 row_shr:15 row_mask:0xf bank_mask:0xf bound_ctrl:1
	v_cvt_f32_i32_dpp v7, v7 row_shl:1 row_mask:0xf bank_mask:0xf bound_ctrl:1
	v_cvt_f32_i32_dpp v19, v19 row_shl:1 row_mask:0xf bank_mask:0xf bound_ctrl:1
	v_cvt_i32_f32_e32 v15, v15
	v_cvt_f32_i32_dpp v8, v8 row_shl:2 row_mask:0xf bank_mask:0xf bound_ctrl:1
	v_cvt_i32_f32_e32 v9, v9
	;; [unrolled: 2-line block ×3, first 2 shown]
	v_add_f32_e32 v22, v0, v27
	v_add_f32_e32 v27, v28, v29
	v_cvt_f32_i32_dpp v21, v21 row_shl:3 row_mask:0xf bank_mask:0xf bound_ctrl:1
	v_cvt_i32_f32_e32 v17, v17
	v_mov_b32_dpp v23, v25 row_bcast:31 row_mask:0xf bank_mask:0xf bound_ctrl:1
	v_cvt_i32_f32_e32 v25, v24
	v_cvt_i32_f32_e32 v27, v27
	v_add_f32_e32 v6, v6, v7
	v_add_f32_e32 v18, v18, v19
	v_cvt_f32_i32_dpp v15, v15 row_shl:1 row_mask:0xf bank_mask:0xf bound_ctrl:1
	v_add_f32_e32 v6, v6, v8
	v_cvt_f32_i32_dpp v7, v9 row_shl:3 row_mask:0xf bank_mask:0xf bound_ctrl:1
	v_cvt_i32_f32_e32 v8, v11
	v_add_f32_e32 v18, v18, v20
	v_cvt_f32_i32_dpp v16, v16 row_shl:2 row_mask:0xf bank_mask:0xf bound_ctrl:1
	v_cvt_i32_f32_e32 v9, v12
	;; [unrolled: 3-line block ×3, first 2 shown]
	v_cvt_f32_i32_dpp v25, v25 row_bcast:15 row_mask:0xf bank_mask:0xf bound_ctrl:1
	v_cvt_f32_i32_dpp v27, v27 row_shr:15 row_mask:0xf bank_mask:0xf bound_ctrl:1
	v_cvt_i32_f32_e32 v18, v21
	v_add_f32_e32 v14, v14, v15
	v_add_f32_e32 v6, v6, v7
	v_cvt_f32_i32_dpp v7, v8 row_shl:1 row_mask:0xf bank_mask:0xf bound_ctrl:1
	v_add_f32_e32 v14, v14, v16
	v_cvt_f32_i32_dpp v8, v9 row_shl:2 row_mask:0xf bank_mask:0xf bound_ctrl:1
	;; [unrolled: 2-line block ×3, first 2 shown]
	v_cvt_i32_f32_e32 v0, v22
	v_cvt_i32_f32_e32 v28, v27
	v_add_f32_e32 v19, v24, v25
	v_cvt_f32_i32_dpp v24, v18 row_shl:4 row_mask:0xf bank_mask:0xf bound_ctrl:1
	v_cvt_i32_f32_e32 v16, v15
	v_add_f32_e32 v7, v10, v7
	v_add_f32_e32 v7, v7, v8
	v_add_f32_e32 v7, v7, v9
	v_mov_b32_dpp v20, v0 row_bcast:31 row_mask:0xf bank_mask:0xf bound_ctrl:1
	v_cvt_f32_i32_dpp v0, v28 row_bcast:15 row_mask:0xf bank_mask:0xf bound_ctrl:1
	v_add_f32_e32 v21, v21, v24
	v_cvt_f32_i32_dpp v16, v16 row_shl:4 row_mask:0xf bank_mask:0xf bound_ctrl:1
	v_cvt_i32_f32_e32 v11, v6
	v_cvt_i32_f32_e32 v8, v7
	;; [unrolled: 1-line block ×3, first 2 shown]
	v_add_f32_e32 v18, v27, v0
	v_add_f32_e32 v15, v15, v16
	v_cvt_f32_i32_dpp v10, v11 row_shl:4 row_mask:0xf bank_mask:0xf bound_ctrl:1
	v_cvt_f32_i32_dpp v8, v8 row_shl:4 row_mask:0xf bank_mask:0xf bound_ctrl:1
	v_cvt_i32_f32_e32 v0, v18
	v_cvt_f32_i32_dpp v24, v24 row_shl:8 row_mask:0xf bank_mask:0xf bound_ctrl:1
	v_cvt_i32_f32_e32 v16, v15
	v_add_f32_e32 v6, v6, v10
	v_add_f32_e32 v7, v7, v8
	v_mov_b32_dpp v14, v0 row_bcast:31 row_mask:0xf bank_mask:0xf bound_ctrl:1
	v_add_f32_e32 v0, v21, v24
	v_cvt_f32_i32_dpp v9, v16 row_shl:8 row_mask:0xf bank_mask:0xf bound_ctrl:1
	v_cvt_i32_f32_e32 v10, v6
	v_cvt_i32_f32_e32 v8, v7
	;; [unrolled: 1-line block ×3, first 2 shown]
	v_add_f32_e32 v9, v15, v9
	v_cvt_f32_i32_dpp v10, v10 row_shl:8 row_mask:0xf bank_mask:0xf bound_ctrl:1
	v_cvt_f32_i32_dpp v8, v8 row_shl:8 row_mask:0xf bank_mask:0xf bound_ctrl:1
	v_cvt_f32_i32_dpp v0, v0 row_shr:15 row_mask:0xf bank_mask:0xf bound_ctrl:1
	v_cvt_i32_f32_e32 v9, v9
	v_add_f32_e32 v6, v6, v10
	v_add_f32_e32 v7, v7, v8
	v_cvt_i32_f32_e32 v11, v0
	v_cvt_f32_i32_dpp v9, v9 row_shr:15 row_mask:0xf bank_mask:0xf bound_ctrl:1
	v_cvt_i32_f32_e32 v6, v6
	v_cvt_i32_f32_e32 v7, v7
	v_cvt_f32_i32_dpp v8, v11 row_bcast:15 row_mask:0xf bank_mask:0xf bound_ctrl:1
	v_cvt_i32_f32_e32 v10, v9
	v_cvt_f32_i32_dpp v6, v6 row_shr:15 row_mask:0xf bank_mask:0xf bound_ctrl:1
	v_cvt_f32_i32_dpp v7, v7 row_shr:15 row_mask:0xf bank_mask:0xf bound_ctrl:1
	v_add_f32_e32 v13, v0, v8
	v_cvt_f32_i32_dpp v8, v10 row_bcast:15 row_mask:0xf bank_mask:0xf bound_ctrl:1
	v_cvt_i32_f32_e32 v0, v6
	v_cvt_i32_f32_e32 v11, v7
	;; [unrolled: 1-line block ×3, first 2 shown]
	v_add_f32_e32 v10, v9, v8
	v_cvt_f32_i32_dpp v0, v0 row_bcast:15 row_mask:0xf bank_mask:0xf bound_ctrl:1
	v_cvt_f32_i32_dpp v9, v11 row_bcast:15 row_mask:0xf bank_mask:0xf bound_ctrl:1
	v_cvt_i32_f32_e32 v12, v13
	v_cvt_i32_f32_e32 v11, v10
	v_add_f32_e32 v8, v6, v0
	v_add_f32_e32 v6, v7, v9
	v_cvt_i32_f32_e32 v0, v8
	v_cvt_i32_f32_e32 v7, v6
	v_mov_b32_dpp v17, v25 row_bcast:31 row_mask:0xf bank_mask:0xf bound_ctrl:1
	v_mov_b32_dpp v16, v12 row_bcast:31 row_mask:0xf bank_mask:0xf bound_ctrl:1
	v_mov_b32_dpp v12, v11 row_bcast:31 row_mask:0xf bank_mask:0xf bound_ctrl:1
	v_mov_b32_dpp v9, v0 row_bcast:31 row_mask:0xf bank_mask:0xf bound_ctrl:1
	v_mov_b32_dpp v7, v7 row_bcast:31 row_mask:0xf bank_mask:0xf bound_ctrl:1
	s_and_saveexec_b64 s[30:31], s[0:1]
	s_cbranch_execz .LBB198_83
; %bb.33:                               ;   in Loop: Header=BB198_19 Depth=1
	s_andn2_b64 vcc, exec, s[28:29]
	v_mov_b32_e32 v28, 0
	v_mov_b32_e32 v27, 0
	;; [unrolled: 1-line block ×8, first 2 shown]
	s_cbranch_vccnz .LBB198_35
; %bb.34:                               ;   in Loop: Header=BB198_19 Depth=1
	v_mul_hi_u32 v0, v62, v81
	v_mul_lo_u32 v0, v0, s22
	v_sub_u32_e32 v0, v62, v0
	v_subrev_u32_e32 v11, s22, v0
	v_cmp_le_u32_e32 vcc, s22, v0
	v_mov_b32_e32 v25, v1
	v_mov_b32_e32 v29, v1
	v_cndmask_b32_e32 v0, v0, v11, vcc
	v_subrev_u32_e32 v11, s22, v0
	v_cmp_le_u32_e32 vcc, s22, v0
	v_mov_b32_e32 v37, v1
	s_nop 0
	v_cndmask_b32_e32 v0, v0, v11, vcc
	v_mul_hi_u32 v11, v68, v81
	v_mul_lo_u32 v11, v11, s22
	v_sub_u32_e32 v11, v68, v11
	v_subrev_u32_e32 v15, s22, v11
	v_cmp_le_u32_e32 vcc, s22, v11
	v_lshl_add_u64 v[30:31], v[0:1], 1, s[16:17]
	v_add_u32_e32 v0, s23, v0
	v_cndmask_b32_e32 v11, v11, v15, vcc
	v_subrev_u32_e32 v15, s22, v11
	v_cmp_le_u32_e32 vcc, s22, v11
	v_lshl_add_u64 v[40:41], v[0:1], 1, s[16:17]
	s_nop 0
	v_cndmask_b32_e32 v24, v11, v15, vcc
	v_mul_hi_u32 v11, v66, v81
	v_mul_lo_u32 v11, v11, s22
	v_sub_u32_e32 v11, v66, v11
	v_subrev_u32_e32 v15, s22, v11
	v_cmp_le_u32_e32 vcc, s22, v11
	v_add_u32_e32 v0, s23, v24
	v_lshl_add_u64 v[42:43], v[0:1], 1, s[16:17]
	v_cndmask_b32_e32 v11, v11, v15, vcc
	v_subrev_u32_e32 v15, s22, v11
	v_cmp_le_u32_e32 vcc, s22, v11
	v_lshl_add_u64 v[32:33], v[24:25], 1, s[16:17]
	s_nop 0
	v_cndmask_b32_e32 v28, v11, v15, vcc
	v_mul_hi_u32 v11, v64, v81
	v_mul_lo_u32 v11, v11, s22
	v_sub_u32_e32 v11, v64, v11
	v_subrev_u32_e32 v15, s22, v11
	v_cmp_le_u32_e32 vcc, s22, v11
	v_add_u32_e32 v0, s23, v28
	v_lshl_add_u64 v[44:45], v[0:1], 1, s[16:17]
	v_cndmask_b32_e32 v11, v11, v15, vcc
	v_subrev_u32_e32 v15, s22, v11
	v_cmp_le_u32_e32 vcc, s22, v11
	v_lshl_add_u64 v[34:35], v[28:29], 1, s[16:17]
	s_nop 0
	v_cndmask_b32_e32 v36, v11, v15, vcc
	v_add_u32_e32 v0, s23, v36
	v_lshl_add_u64 v[38:39], v[36:37], 1, s[16:17]
	v_lshl_add_u64 v[36:37], v[0:1], 1, s[16:17]
	global_load_ushort v28, v[30:31], off
	global_load_ushort v27, v[32:33], off
	;; [unrolled: 1-line block ×8, first 2 shown]
.LBB198_35:                             ;   in Loop: Header=BB198_19 Depth=1
	v_cmp_ne_u32_e32 vcc, 0, v2
	s_and_saveexec_b64 s[6:7], vcc
	s_cbranch_execnz .LBB198_43
; %bb.36:                               ;   in Loop: Header=BB198_19 Depth=1
	s_or_b64 exec, exec, s[6:7]
	v_cmp_ne_u32_e64 s[4:5], 0, v3
	s_and_saveexec_b64 s[8:9], s[4:5]
	s_cbranch_execnz .LBB198_48
.LBB198_37:                             ;   in Loop: Header=BB198_19 Depth=1
	s_or_b64 exec, exec, s[8:9]
	v_cmp_ne_u32_e64 s[6:7], 0, v4
	s_and_saveexec_b64 s[10:11], s[6:7]
	s_cbranch_execnz .LBB198_53
.LBB198_38:                             ;   in Loop: Header=BB198_19 Depth=1
	s_or_b64 exec, exec, s[10:11]
	v_cmp_ne_u32_e64 s[8:9], 0, v5
	s_and_saveexec_b64 s[34:35], s[8:9]
	s_cbranch_execnz .LBB198_58
.LBB198_39:                             ;   in Loop: Header=BB198_19 Depth=1
	s_or_b64 exec, exec, s[34:35]
	s_waitcnt vmcnt(4)
	v_add_u32_e32 v0, s15, v62
	s_and_saveexec_b64 s[10:11], vcc
	s_cbranch_execnz .LBB198_63
.LBB198_40:                             ;   in Loop: Header=BB198_19 Depth=1
	s_or_b64 exec, exec, s[10:11]
	s_and_saveexec_b64 s[10:11], s[4:5]
	s_cbranch_execnz .LBB198_68
.LBB198_41:                             ;   in Loop: Header=BB198_19 Depth=1
	s_or_b64 exec, exec, s[10:11]
	s_and_saveexec_b64 s[4:5], s[6:7]
	s_cbranch_execnz .LBB198_73
.LBB198_42:                             ;   in Loop: Header=BB198_19 Depth=1
	s_or_b64 exec, exec, s[4:5]
	s_and_b64 exec, exec, s[8:9]
	s_cbranch_execnz .LBB198_78
	s_branch .LBB198_83
.LBB198_43:                             ;   in Loop: Header=BB198_19 Depth=1
	v_cvt_f32_i32_e32 v23, v23
	v_add_f32_e32 v23, v26, v23
	s_waitcnt vmcnt(7)
	v_lshlrev_b32_e32 v26, 16, v28
	v_add_f32_e32 v26, v23, v26
	v_and_b32_e32 v23, 0x7f800000, v26
	v_cmp_ne_u32_e64 s[4:5], s42, v23
                                        ; implicit-def: $vgpr23
	s_and_saveexec_b64 s[8:9], s[4:5]
	s_xor_b64 s[4:5], exec, s[8:9]
; %bb.44:                               ;   in Loop: Header=BB198_19 Depth=1
	v_bfe_u32 v23, v26, 16, 1
	v_add3_u32 v23, v26, v23, s14
                                        ; implicit-def: $vgpr26
; %bb.45:                               ;   in Loop: Header=BB198_19 Depth=1
	s_andn2_saveexec_b64 s[8:9], s[4:5]
; %bb.46:                               ;   in Loop: Header=BB198_19 Depth=1
	v_or_b32_e32 v23, 0x10000, v26
	v_cmp_eq_u32_sdwa s[4:5], v26, v1 src0_sel:WORD_0 src1_sel:DWORD
	s_nop 1
	v_cndmask_b32_e64 v23, v23, v26, s[4:5]
; %bb.47:                               ;   in Loop: Header=BB198_19 Depth=1
	s_or_b64 exec, exec, s[8:9]
	v_mov_b32_e32 v63, v1
	v_lshl_add_u64 v[28:29], v[62:63], 1, s[18:19]
	global_store_short_d16_hi v[28:29], v23, off
	s_or_b64 exec, exec, s[6:7]
	v_cmp_ne_u32_e64 s[4:5], 0, v3
	s_and_saveexec_b64 s[8:9], s[4:5]
	s_cbranch_execz .LBB198_37
.LBB198_48:                             ;   in Loop: Header=BB198_19 Depth=1
	v_cvt_f32_i32_e32 v20, v20
	v_add_f32_e32 v20, v22, v20
	s_waitcnt vmcnt(6)
	v_lshlrev_b32_e32 v22, 16, v27
	v_add_f32_e32 v22, v20, v22
	v_and_b32_e32 v20, 0x7f800000, v22
	v_cmp_ne_u32_e64 s[6:7], s42, v20
                                        ; implicit-def: $vgpr20
	s_and_saveexec_b64 s[10:11], s[6:7]
	s_xor_b64 s[6:7], exec, s[10:11]
; %bb.49:                               ;   in Loop: Header=BB198_19 Depth=1
	v_bfe_u32 v20, v22, 16, 1
	v_add3_u32 v20, v22, v20, s14
                                        ; implicit-def: $vgpr22
; %bb.50:                               ;   in Loop: Header=BB198_19 Depth=1
	s_andn2_saveexec_b64 s[10:11], s[6:7]
; %bb.51:                               ;   in Loop: Header=BB198_19 Depth=1
	v_or_b32_e32 v20, 0x10000, v22
	v_cmp_eq_u32_sdwa s[6:7], v22, v1 src0_sel:WORD_0 src1_sel:DWORD
	s_nop 1
	v_cndmask_b32_e64 v20, v20, v22, s[6:7]
; %bb.52:                               ;   in Loop: Header=BB198_19 Depth=1
	s_or_b64 exec, exec, s[10:11]
	v_mov_b32_e32 v69, v1
	v_lshl_add_u64 v[22:23], v[68:69], 1, s[18:19]
	global_store_short_d16_hi v[22:23], v20, off
	s_or_b64 exec, exec, s[8:9]
	v_cmp_ne_u32_e64 s[6:7], 0, v4
	s_and_saveexec_b64 s[10:11], s[6:7]
	s_cbranch_execz .LBB198_38
.LBB198_53:                             ;   in Loop: Header=BB198_19 Depth=1
	v_cvt_f32_i32_e32 v17, v17
	v_add_f32_e32 v17, v19, v17
	s_waitcnt vmcnt(5)
	v_lshlrev_b32_e32 v19, 16, v25
	v_add_f32_e32 v19, v17, v19
	v_and_b32_e32 v17, 0x7f800000, v19
	v_cmp_ne_u32_e64 s[8:9], s42, v17
                                        ; implicit-def: $vgpr17
	s_and_saveexec_b64 s[34:35], s[8:9]
	s_xor_b64 s[8:9], exec, s[34:35]
; %bb.54:                               ;   in Loop: Header=BB198_19 Depth=1
	v_bfe_u32 v17, v19, 16, 1
	v_add3_u32 v17, v19, v17, s14
                                        ; implicit-def: $vgpr19
; %bb.55:                               ;   in Loop: Header=BB198_19 Depth=1
	s_andn2_saveexec_b64 s[34:35], s[8:9]
; %bb.56:                               ;   in Loop: Header=BB198_19 Depth=1
	v_or_b32_e32 v17, 0x10000, v19
	v_cmp_eq_u32_sdwa s[8:9], v19, v1 src0_sel:WORD_0 src1_sel:DWORD
	s_nop 1
	v_cndmask_b32_e64 v17, v17, v19, s[8:9]
; %bb.57:                               ;   in Loop: Header=BB198_19 Depth=1
	s_or_b64 exec, exec, s[34:35]
	v_mov_b32_e32 v67, v1
	v_lshl_add_u64 v[22:23], v[66:67], 1, s[18:19]
	global_store_short_d16_hi v[22:23], v17, off
	s_or_b64 exec, exec, s[10:11]
	v_cmp_ne_u32_e64 s[8:9], 0, v5
	s_and_saveexec_b64 s[34:35], s[8:9]
	s_cbranch_execz .LBB198_39
.LBB198_58:                             ;   in Loop: Header=BB198_19 Depth=1
	v_cvt_f32_i32_e32 v14, v14
	s_waitcnt vmcnt(4)
	v_lshlrev_b32_e32 v0, 16, v0
	v_add_f32_e32 v14, v18, v14
	v_add_f32_e32 v14, v14, v0
	v_and_b32_e32 v0, 0x7f800000, v14
	v_cmp_ne_u32_e64 s[10:11], s42, v0
                                        ; implicit-def: $vgpr0
	s_and_saveexec_b64 s[36:37], s[10:11]
	s_xor_b64 s[10:11], exec, s[36:37]
; %bb.59:                               ;   in Loop: Header=BB198_19 Depth=1
	v_bfe_u32 v0, v14, 16, 1
	v_add3_u32 v0, v14, v0, s14
                                        ; implicit-def: $vgpr14
; %bb.60:                               ;   in Loop: Header=BB198_19 Depth=1
	s_andn2_saveexec_b64 s[36:37], s[10:11]
; %bb.61:                               ;   in Loop: Header=BB198_19 Depth=1
	v_or_b32_e32 v0, 0x10000, v14
	v_cmp_eq_u32_sdwa s[10:11], v14, v1 src0_sel:WORD_0 src1_sel:DWORD
	s_nop 1
	v_cndmask_b32_e64 v0, v0, v14, s[10:11]
; %bb.62:                               ;   in Loop: Header=BB198_19 Depth=1
	s_or_b64 exec, exec, s[36:37]
	v_mov_b32_e32 v65, v1
	v_lshl_add_u64 v[18:19], v[64:65], 1, s[18:19]
	global_store_short_d16_hi v[18:19], v0, off
	s_or_b64 exec, exec, s[34:35]
	v_add_u32_e32 v0, s15, v62
	s_and_saveexec_b64 s[10:11], vcc
	s_cbranch_execz .LBB198_40
.LBB198_63:                             ;   in Loop: Header=BB198_19 Depth=1
	v_cvt_f32_i32_e32 v14, v16
	v_add_f32_e32 v13, v13, v14
	s_waitcnt vmcnt(3)
	v_lshlrev_b32_e32 v14, 16, v24
	v_add_f32_e32 v14, v13, v14
	v_and_b32_e32 v13, 0x7f800000, v14
	v_cmp_ne_u32_e32 vcc, s42, v13
                                        ; implicit-def: $vgpr13
	s_and_saveexec_b64 s[34:35], vcc
	s_xor_b64 s[34:35], exec, s[34:35]
; %bb.64:                               ;   in Loop: Header=BB198_19 Depth=1
	v_bfe_u32 v13, v14, 16, 1
	v_add3_u32 v13, v14, v13, s14
                                        ; implicit-def: $vgpr14
; %bb.65:                               ;   in Loop: Header=BB198_19 Depth=1
	s_andn2_saveexec_b64 s[34:35], s[34:35]
; %bb.66:                               ;   in Loop: Header=BB198_19 Depth=1
	v_or_b32_e32 v13, 0x10000, v14
	v_cmp_eq_u32_sdwa vcc, v14, v1 src0_sel:WORD_0 src1_sel:DWORD
	s_nop 1
	v_cndmask_b32_e32 v13, v13, v14, vcc
; %bb.67:                               ;   in Loop: Header=BB198_19 Depth=1
	s_or_b64 exec, exec, s[34:35]
	v_lshl_add_u64 v[16:17], v[0:1], 1, s[18:19]
	global_store_short_d16_hi v[16:17], v13, off
	s_or_b64 exec, exec, s[10:11]
	s_and_saveexec_b64 s[10:11], s[4:5]
	s_cbranch_execz .LBB198_41
.LBB198_68:                             ;   in Loop: Header=BB198_19 Depth=1
	v_cvt_f32_i32_e32 v12, v12
	v_add_f32_e32 v10, v10, v12
	s_waitcnt vmcnt(2)
	v_lshlrev_b32_e32 v12, 16, v21
	v_add_f32_e32 v12, v10, v12
	v_and_b32_e32 v10, 0x7f800000, v12
	v_cmp_ne_u32_e32 vcc, s42, v10
                                        ; implicit-def: $vgpr10
	s_and_saveexec_b64 s[4:5], vcc
	s_xor_b64 s[4:5], exec, s[4:5]
; %bb.69:                               ;   in Loop: Header=BB198_19 Depth=1
	v_bfe_u32 v10, v12, 16, 1
	v_add3_u32 v10, v12, v10, s14
                                        ; implicit-def: $vgpr12
; %bb.70:                               ;   in Loop: Header=BB198_19 Depth=1
	s_andn2_saveexec_b64 s[4:5], s[4:5]
; %bb.71:                               ;   in Loop: Header=BB198_19 Depth=1
	v_or_b32_e32 v10, 0x10000, v12
	v_cmp_eq_u32_sdwa vcc, v12, v1 src0_sel:WORD_0 src1_sel:DWORD
	s_nop 1
	v_cndmask_b32_e32 v10, v10, v12, vcc
; %bb.72:                               ;   in Loop: Header=BB198_19 Depth=1
	s_or_b64 exec, exec, s[4:5]
	v_add_u32_e32 v12, 1, v0
	v_mov_b32_e32 v13, v1
	v_lshl_add_u64 v[12:13], v[12:13], 1, s[18:19]
	global_store_short_d16_hi v[12:13], v10, off
	s_or_b64 exec, exec, s[10:11]
	s_and_saveexec_b64 s[4:5], s[6:7]
	s_cbranch_execz .LBB198_42
.LBB198_73:                             ;   in Loop: Header=BB198_19 Depth=1
	v_cvt_f32_i32_e32 v9, v9
	v_add_f32_e32 v8, v8, v9
	s_waitcnt vmcnt(1)
	v_lshlrev_b32_e32 v9, 16, v15
	v_add_f32_e32 v9, v8, v9
	v_and_b32_e32 v8, 0x7f800000, v9
	v_cmp_ne_u32_e32 vcc, s42, v8
                                        ; implicit-def: $vgpr8
	s_and_saveexec_b64 s[6:7], vcc
	s_xor_b64 s[6:7], exec, s[6:7]
; %bb.74:                               ;   in Loop: Header=BB198_19 Depth=1
	v_bfe_u32 v8, v9, 16, 1
	v_add3_u32 v8, v9, v8, s14
                                        ; implicit-def: $vgpr9
; %bb.75:                               ;   in Loop: Header=BB198_19 Depth=1
	s_andn2_saveexec_b64 s[6:7], s[6:7]
; %bb.76:                               ;   in Loop: Header=BB198_19 Depth=1
	v_or_b32_e32 v8, 0x10000, v9
	v_cmp_eq_u32_sdwa vcc, v9, v1 src0_sel:WORD_0 src1_sel:DWORD
	s_nop 1
	v_cndmask_b32_e32 v8, v8, v9, vcc
; %bb.77:                               ;   in Loop: Header=BB198_19 Depth=1
	s_or_b64 exec, exec, s[6:7]
	v_add_u32_e32 v12, 2, v0
	v_mov_b32_e32 v13, v1
	v_lshl_add_u64 v[12:13], v[12:13], 1, s[18:19]
	global_store_short_d16_hi v[12:13], v8, off
	s_or_b64 exec, exec, s[4:5]
	s_and_b64 exec, exec, s[8:9]
	s_cbranch_execz .LBB198_83
.LBB198_78:                             ;   in Loop: Header=BB198_19 Depth=1
	v_cvt_f32_i32_e32 v7, v7
	v_add_f32_e32 v6, v6, v7
	s_waitcnt vmcnt(0)
	v_lshlrev_b32_e32 v7, 16, v11
	v_add_f32_e32 v7, v6, v7
	v_and_b32_e32 v6, 0x7f800000, v7
	v_cmp_ne_u32_e32 vcc, s42, v6
                                        ; implicit-def: $vgpr6
	s_and_saveexec_b64 s[4:5], vcc
	s_xor_b64 s[4:5], exec, s[4:5]
; %bb.79:                               ;   in Loop: Header=BB198_19 Depth=1
	v_bfe_u32 v6, v7, 16, 1
	v_add3_u32 v6, v7, v6, s14
                                        ; implicit-def: $vgpr7
; %bb.80:                               ;   in Loop: Header=BB198_19 Depth=1
	s_andn2_saveexec_b64 s[4:5], s[4:5]
; %bb.81:                               ;   in Loop: Header=BB198_19 Depth=1
	v_or_b32_e32 v6, 0x10000, v7
	v_cmp_eq_u32_sdwa vcc, v7, v1 src0_sel:WORD_0 src1_sel:DWORD
	s_nop 1
	v_cndmask_b32_e32 v6, v6, v7, vcc
; %bb.82:                               ;   in Loop: Header=BB198_19 Depth=1
	s_or_b64 exec, exec, s[4:5]
	v_add_u32_e32 v0, 3, v0
	v_lshl_add_u64 v[8:9], v[0:1], 1, s[18:19]
	global_store_short_d16_hi v[8:9], v6, off
.LBB198_83:                             ;   in Loop: Header=BB198_19 Depth=1
	s_or_b64 exec, exec, s[30:31]
	v_add_u32_e32 v62, s40, v62
	v_add_u32_e32 v0, 4, v62
	v_cmp_gt_u32_e32 vcc, s15, v62
	v_cmp_le_u32_e64 s[4:5], s15, v0
	s_and_b64 s[4:5], vcc, s[4:5]
	s_and_saveexec_b64 s[6:7], s[4:5]
	s_cbranch_execz .LBB198_18
; %bb.84:                               ;   in Loop: Header=BB198_19 Depth=1
	v_cmp_ne_u32_e32 vcc, s41, v62
	s_and_saveexec_b64 s[8:9], vcc
	s_cbranch_execz .LBB198_17
; %bb.85:                               ;   in Loop: Header=BB198_19 Depth=1
	v_subrev_u32_e32 v0, s41, v62
	v_cmp_lt_u32_e32 vcc, 1, v0
	s_mov_b64 s[10:11], 0
	s_mov_b64 s[30:31], 0
	v_cndmask_b32_e32 v0, 1, v0, vcc
.LBB198_86:                             ;   Parent Loop BB198_19 Depth=1
                                        ; =>  This Inner Loop Header: Depth=2
	s_cmp_lg_u32 s30, 3
	s_cselect_b64 vcc, -1, 0
	s_cmp_lg_u32 s30, 2
	v_cndmask_b32_e32 v5, 0, v5, vcc
	s_cselect_b64 vcc, -1, 0
	s_cmp_lg_u32 s30, 1
	v_cndmask_b32_e32 v4, 0, v4, vcc
	;; [unrolled: 3-line block ×3, first 2 shown]
	s_cselect_b64 vcc, -1, 0
	s_add_u32 s30, s30, 1
	s_addc_u32 s31, s31, 0
	v_cmp_eq_u32_e64 s[4:5], s30, v0
	s_or_b64 s[10:11], s[4:5], s[10:11]
	v_cndmask_b32_e32 v2, 0, v2, vcc
	s_andn2_b64 exec, exec, s[10:11]
	s_cbranch_execnz .LBB198_86
; %bb.87:                               ;   in Loop: Header=BB198_19 Depth=1
	s_or_b64 exec, exec, s[10:11]
	s_branch .LBB198_17
.LBB198_88:
	s_endpgm
	.section	.rodata,"a",@progbits
	.p2align	6, 0x0
	.amdhsa_kernel _Z12wvSplitK_hf_I14__hip_bfloat16Li32ELi4ELi16ELi8ELi1ELi2EEviiiiiiPKT_S3_S3_PS1_ii
		.amdhsa_group_segment_fixed_size 65536
		.amdhsa_private_segment_fixed_size 0
		.amdhsa_kernarg_size 64
		.amdhsa_user_sgpr_count 2
		.amdhsa_user_sgpr_dispatch_ptr 0
		.amdhsa_user_sgpr_queue_ptr 0
		.amdhsa_user_sgpr_kernarg_segment_ptr 1
		.amdhsa_user_sgpr_dispatch_id 0
		.amdhsa_user_sgpr_kernarg_preload_length 0
		.amdhsa_user_sgpr_kernarg_preload_offset 0
		.amdhsa_user_sgpr_private_segment_size 0
		.amdhsa_uses_dynamic_stack 0
		.amdhsa_enable_private_segment 0
		.amdhsa_system_sgpr_workgroup_id_x 1
		.amdhsa_system_sgpr_workgroup_id_y 0
		.amdhsa_system_sgpr_workgroup_id_z 0
		.amdhsa_system_sgpr_workgroup_info 0
		.amdhsa_system_vgpr_workitem_id 1
		.amdhsa_next_free_vgpr 84
		.amdhsa_next_free_sgpr 43
		.amdhsa_accum_offset 84
		.amdhsa_reserve_vcc 1
		.amdhsa_float_round_mode_32 0
		.amdhsa_float_round_mode_16_64 0
		.amdhsa_float_denorm_mode_32 3
		.amdhsa_float_denorm_mode_16_64 3
		.amdhsa_dx10_clamp 1
		.amdhsa_ieee_mode 1
		.amdhsa_fp16_overflow 0
		.amdhsa_tg_split 0
		.amdhsa_exception_fp_ieee_invalid_op 0
		.amdhsa_exception_fp_denorm_src 0
		.amdhsa_exception_fp_ieee_div_zero 0
		.amdhsa_exception_fp_ieee_overflow 0
		.amdhsa_exception_fp_ieee_underflow 0
		.amdhsa_exception_fp_ieee_inexact 0
		.amdhsa_exception_int_div_zero 0
	.end_amdhsa_kernel
	.section	.text._Z12wvSplitK_hf_I14__hip_bfloat16Li32ELi4ELi16ELi8ELi1ELi2EEviiiiiiPKT_S3_S3_PS1_ii,"axG",@progbits,_Z12wvSplitK_hf_I14__hip_bfloat16Li32ELi4ELi16ELi8ELi1ELi2EEviiiiiiPKT_S3_S3_PS1_ii,comdat
.Lfunc_end198:
	.size	_Z12wvSplitK_hf_I14__hip_bfloat16Li32ELi4ELi16ELi8ELi1ELi2EEviiiiiiPKT_S3_S3_PS1_ii, .Lfunc_end198-_Z12wvSplitK_hf_I14__hip_bfloat16Li32ELi4ELi16ELi8ELi1ELi2EEviiiiiiPKT_S3_S3_PS1_ii
                                        ; -- End function
	.section	.AMDGPU.csdata,"",@progbits
; Kernel info:
; codeLenInByte = 4416
; NumSgprs: 49
; NumVgprs: 84
; NumAgprs: 0
; TotalNumVgprs: 84
; ScratchSize: 0
; MemoryBound: 1
; FloatMode: 240
; IeeeMode: 1
; LDSByteSize: 65536 bytes/workgroup (compile time only)
; SGPRBlocks: 6
; VGPRBlocks: 10
; NumSGPRsForWavesPerEU: 49
; NumVGPRsForWavesPerEU: 84
; AccumOffset: 84
; Occupancy: 2
; WaveLimiterHint : 0
; COMPUTE_PGM_RSRC2:SCRATCH_EN: 0
; COMPUTE_PGM_RSRC2:USER_SGPR: 2
; COMPUTE_PGM_RSRC2:TRAP_HANDLER: 0
; COMPUTE_PGM_RSRC2:TGID_X_EN: 1
; COMPUTE_PGM_RSRC2:TGID_Y_EN: 0
; COMPUTE_PGM_RSRC2:TGID_Z_EN: 0
; COMPUTE_PGM_RSRC2:TIDIG_COMP_CNT: 1
; COMPUTE_PGM_RSRC3_GFX90A:ACCUM_OFFSET: 20
; COMPUTE_PGM_RSRC3_GFX90A:TG_SPLIT: 0
	.section	.text._Z16wvSplitK_hf_big_I14__hip_bfloat16Li32ELi4ELi16ELi8ELi1ELi2EEviiiiiiPKT_S3_S3_PS1_ii,"axG",@progbits,_Z16wvSplitK_hf_big_I14__hip_bfloat16Li32ELi4ELi16ELi8ELi1ELi2EEviiiiiiPKT_S3_S3_PS1_ii,comdat
	.protected	_Z16wvSplitK_hf_big_I14__hip_bfloat16Li32ELi4ELi16ELi8ELi1ELi2EEviiiiiiPKT_S3_S3_PS1_ii ; -- Begin function _Z16wvSplitK_hf_big_I14__hip_bfloat16Li32ELi4ELi16ELi8ELi1ELi2EEviiiiiiPKT_S3_S3_PS1_ii
	.globl	_Z16wvSplitK_hf_big_I14__hip_bfloat16Li32ELi4ELi16ELi8ELi1ELi2EEviiiiiiPKT_S3_S3_PS1_ii
	.p2align	8
	.type	_Z16wvSplitK_hf_big_I14__hip_bfloat16Li32ELi4ELi16ELi8ELi1ELi2EEviiiiiiPKT_S3_S3_PS1_ii,@function
_Z16wvSplitK_hf_big_I14__hip_bfloat16Li32ELi4ELi16ELi8ELi1ELi2EEviiiiiiPKT_S3_S3_PS1_ii: ; @_Z16wvSplitK_hf_big_I14__hip_bfloat16Li32ELi4ELi16ELi8ELi1ELi2EEviiiiiiPKT_S3_S3_PS1_ii
; %bb.0:
	s_load_dwordx2 s[8:9], s[0:1], 0x38
	v_bfe_u32 v7, v0, 10, 10
	s_waitcnt lgkmcnt(0)
	v_cmp_gt_u32_e32 vcc, s8, v7
	s_and_saveexec_b64 s[4:5], vcc
	s_cbranch_execz .LBB199_86
; %bb.1:
	s_load_dwordx4 s[24:27], s[0:1], 0x0
	s_mul_i32 s2, s2, s8
	v_add_lshl_u32 v62, s2, v7, 2
	s_mov_b32 s4, 1
	v_add_u32_e32 v1, 4, v62
	s_mov_b32 s5, s4
	s_waitcnt lgkmcnt(0)
	v_cmp_gt_u32_e32 vcc, s27, v62
	v_cmp_le_u32_e64 s[2:3], s27, v1
	s_mov_b32 s6, s4
	s_mov_b32 s7, s4
	v_mov_b64_e32 v[2:3], s[4:5]
	s_and_b64 s[10:11], vcc, s[2:3]
	v_mov_b64_e32 v[4:5], s[6:7]
	s_and_saveexec_b64 s[2:3], s[10:11]
	s_cbranch_execz .LBB199_7
; %bb.2:
	s_add_i32 s16, s27, -4
	v_mov_b64_e32 v[2:3], s[4:5]
	v_cmp_ne_u32_e32 vcc, s16, v62
	v_mov_b64_e32 v[4:5], s[6:7]
	s_and_saveexec_b64 s[10:11], vcc
	s_cbranch_execz .LBB199_6
; %bb.3:
	v_subrev_u32_e32 v1, s16, v62
	v_cmp_lt_u32_e32 vcc, 1, v1
	s_mov_b64 s[12:13], 0
	s_mov_b64 s[14:15], 0
	v_cndmask_b32_e32 v6, 1, v1, vcc
	s_mov_b32 s5, s4
	s_mov_b32 s6, s4
	;; [unrolled: 1-line block ×3, first 2 shown]
.LBB199_4:                              ; =>This Inner Loop Header: Depth=1
	s_cmp_lg_u32 s14, 3
	s_cselect_b32 s7, s7, 0
	s_cmp_lg_u32 s14, 2
	s_cselect_b32 s6, s6, 0
	;; [unrolled: 2-line block ×4, first 2 shown]
	s_add_u32 s14, s14, 1
	s_addc_u32 s15, s15, 0
	v_cmp_eq_u32_e32 vcc, s14, v6
	v_mov_b64_e32 v[2:3], s[4:5]
	s_or_b64 s[12:13], vcc, s[12:13]
	v_mov_b64_e32 v[4:5], s[6:7]
	s_andn2_b64 exec, exec, s[12:13]
	s_cbranch_execnz .LBB199_4
; %bb.5:
	s_or_b64 exec, exec, s[12:13]
	v_mov_b32_e32 v62, s16
.LBB199_6:
	s_or_b64 exec, exec, s[10:11]
.LBB199_7:
	s_or_b64 exec, exec, s[2:3]
	s_lshl_b32 s2, s8, 2
	s_abs_i32 s3, s2
	v_cvt_f32_u32_e32 v1, s3
	s_sub_i32 s6, 0, s3
	s_abs_i32 s5, s27
	s_ashr_i32 s4, s27, 31
	v_rcp_iflag_f32_e32 v1, v1
	s_nop 0
	v_mul_f32_e32 v1, 0x4f7ffffe, v1
	v_cvt_u32_f32_e32 v1, v1
	s_nop 0
	v_readfirstlane_b32 s7, v1
	s_mul_i32 s6, s6, s7
	s_mul_hi_u32 s6, s7, s6
	s_add_i32 s7, s7, s6
	s_mul_hi_u32 s6, s5, s7
	s_mul_i32 s6, s6, s3
	s_sub_i32 s5, s5, s6
	s_sub_i32 s6, s5, s3
	s_cmp_ge_u32 s5, s3
	s_cselect_b32 s5, s6, s5
	s_sub_i32 s6, s5, s3
	s_cmp_ge_u32 s5, s3
	s_cselect_b32 s3, s6, s5
	s_xor_b32 s3, s3, s4
	s_sub_i32 s3, s3, s4
	s_add_i32 s2, s2, s27
	s_sub_i32 s2, s2, s3
	s_cmp_eq_u32 s3, 0
	s_cselect_b32 s33, s27, s2
	v_cmp_gt_u32_e32 vcc, s33, v62
	s_and_b64 exec, exec, vcc
	s_cbranch_execz .LBB199_86
; %bb.8:
	s_load_dwordx8 s[16:23], s[0:1], 0x10
	s_min_u32 s44, s26, 0x4000
	s_cmp_lg_u32 s24, 0
	s_load_dwordx2 s[14:15], s[0:1], 0x30
	s_cselect_b64 s[2:3], -1, 0
	s_waitcnt lgkmcnt(0)
	v_cvt_f32_u32_e32 v1, s16
	s_cmp_lg_u32 s26, 0
	s_mul_i32 s0, s9, s8
	s_cselect_b64 s[4:5], -1, 0
	v_rcp_iflag_f32_e32 v1, v1
	s_lshl_b32 s45, s8, 8
	s_add_i32 s46, s24, -8
	s_add_i32 s47, s27, -1
	v_mul_f32_e32 v1, 0x4f7ffffe, v1
	v_cvt_u32_f32_e32 v1, v1
	s_lshl_b32 s48, s0, 2
	s_cmp_lg_u64 s[22:23], 0
	s_cselect_b64 s[30:31], -1, 0
	s_sub_i32 s6, 0, s16
	v_mul_lo_u32 v6, s6, v1
	s_abs_i32 s6, s17
	s_add_i32 s49, s27, -4
	s_sub_i32 s7, 1, s6
	s_cmp_lt_u32 s6, 2
	v_and_b32_e32 v0, 0x3ff, v0
	s_cselect_b32 s7, s7, 1
	v_lshlrev_b32_e32 v72, 3, v0
	v_cmp_eq_u32_e64 s[0:1], 31, v0
	s_sub_i32 s9, s7, s6
	v_lshlrev_b32_e32 v0, 4, v0
	s_cmp_ge_u32 s7, s6
	v_lshl_add_u32 v74, v7, 9, v0
	v_cndmask_b32_e64 v0, 0, 1, s[2:3]
	v_mul_hi_u32 v6, v1, v6
	s_cselect_b32 s17, s9, s7
	s_add_u32 s34, s14, 2
	v_lshl_add_u32 v75, v7, 8, v72
	v_cmp_ne_u32_e64 s[2:3], 1, v0
	v_cndmask_b32_e64 v0, 0, 1, s[4:5]
	s_mov_b64 s[28:29], 0
	v_add_u32_e32 v73, v1, v6
	v_mov_b32_e32 v1, 0
	s_mul_i32 s17, s17, s16
	s_addc_u32 s35, s15, 0
	s_lshl_b32 s50, s44, 1
	s_lshl_b32 s51, s8, 9
	v_add_u32_e32 v76, s26, v75
	v_cmp_ne_u32_e64 s[4:5], 1, v0
	s_mov_b32 s52, 0x7f800000
	s_movk_i32 s53, 0x7fff
	s_branch .LBB199_12
.LBB199_9:                              ;   in Loop: Header=BB199_12 Depth=1
	s_or_b64 exec, exec, s[10:11]
	v_mov_b32_e32 v62, s49
.LBB199_10:                             ;   in Loop: Header=BB199_12 Depth=1
	s_or_b64 exec, exec, s[8:9]
.LBB199_11:                             ;   in Loop: Header=BB199_12 Depth=1
	s_or_b64 exec, exec, s[36:37]
	v_cmp_le_u32_e32 vcc, s33, v62
	s_or_b64 s[28:29], vcc, s[28:29]
	s_andn2_b64 exec, exec, s[28:29]
	s_cbranch_execz .LBB199_86
.LBB199_12:                             ; =>This Loop Header: Depth=1
                                        ;     Child Loop BB199_16 Depth 2
                                        ;       Child Loop BB199_21 Depth 3
                                        ;     Child Loop BB199_84 Depth 2
	s_and_b64 vcc, exec, s[2:3]
	v_mov_b32_e32 v9, v1
	v_mov_b32_e32 v8, v1
	s_waitcnt vmcnt(4)
	v_mov_b32_e32 v7, v1
	v_mov_b32_e32 v6, v1
	;; [unrolled: 1-line block ×9, first 2 shown]
	s_waitcnt vmcnt(0)
	v_mov_b32_e32 v14, v1
	v_mov_b32_e32 v21, v1
	;; [unrolled: 1-line block ×21, first 2 shown]
	s_cbranch_vccnz .LBB199_27
; %bb.13:                               ;   in Loop: Header=BB199_12 Depth=1
	v_min_u32_e32 v0, s47, v62
	v_mul_lo_u32 v64, v0, s25
	v_add_u32_e32 v0, 1, v62
	v_min_u32_e32 v0, s47, v0
	v_mul_lo_u32 v66, v0, s25
	v_add_u32_e32 v0, 2, v62
	;; [unrolled: 3-line block ×3, first 2 shown]
	v_min_u32_e32 v0, s47, v0
	v_mov_b32_e32 v22, 0
	v_cmp_gt_u32_e64 s[6:7], s27, v62
	v_mov_b32_e32 v65, v1
	v_mov_b32_e32 v67, v1
	;; [unrolled: 1-line block ×3, first 2 shown]
	v_mul_lo_u32 v70, v0, s25
	v_mov_b32_e32 v71, v1
	s_mov_b32 s36, 0
	s_mov_b32 s37, 0
	v_mov_b32_e32 v23, v22
	v_mov_b32_e32 v24, v22
	;; [unrolled: 1-line block ×31, first 2 shown]
	s_branch .LBB199_16
.LBB199_14:                             ;   in Loop: Header=BB199_16 Depth=2
	s_or_b64 exec, exec, s[10:11]
	s_waitcnt vmcnt(3) lgkmcnt(1)
	v_mfma_f32_4x4x4_16b_bf16 v[34:37], v[58:59], v[42:43], v[34:37]
	s_waitcnt vmcnt(2)
	v_mfma_f32_4x4x4_16b_bf16 v[30:33], v[58:59], v[38:39], v[30:33]
	s_waitcnt vmcnt(1)
	;; [unrolled: 2-line block ×3, first 2 shown]
	v_mfma_f32_4x4x4_16b_bf16 v[22:25], v[58:59], v[46:47], v[22:25]
	s_waitcnt lgkmcnt(0)
	v_mfma_f32_4x4x4_16b_bf16 v[18:21], v[54:55], v[42:43], v[18:21]
	v_mfma_f32_4x4x4_16b_bf16 v[14:17], v[54:55], v[38:39], v[14:17]
	v_mfma_f32_4x4x4_16b_bf16 v[10:13], v[54:55], v[50:51], v[10:13]
	v_mfma_f32_4x4x4_16b_bf16 v[6:9], v[54:55], v[46:47], v[6:9]
	v_mfma_f32_4x4x4_16b_bf16 v[34:37], v[60:61], v[44:45], v[34:37]
	v_mfma_f32_4x4x4_16b_bf16 v[30:33], v[60:61], v[40:41], v[30:33]
	v_mfma_f32_4x4x4_16b_bf16 v[26:29], v[60:61], v[52:53], v[26:29]
	v_mfma_f32_4x4x4_16b_bf16 v[22:25], v[60:61], v[48:49], v[22:25]
	v_mfma_f32_4x4x4_16b_bf16 v[18:21], v[56:57], v[44:45], v[18:21]
	v_mfma_f32_4x4x4_16b_bf16 v[14:17], v[56:57], v[40:41], v[14:17]
	v_mfma_f32_4x4x4_16b_bf16 v[10:13], v[56:57], v[52:53], v[10:13]
	v_mfma_f32_4x4x4_16b_bf16 v[6:9], v[56:57], v[48:49], v[6:9]
.LBB199_15:                             ;   in Loop: Header=BB199_16 Depth=2
	s_or_b64 exec, exec, s[8:9]
	s_addk_i32 s37, 0x100
	s_cmp_ge_u32 s37, s24
	s_cbranch_scc1 .LBB199_27
.LBB199_16:                             ;   Parent Loop BB199_12 Depth=1
                                        ; =>  This Loop Header: Depth=2
                                        ;       Child Loop BB199_21 Depth 3
	s_cmp_eq_u32 s37, 0
	s_cselect_b64 s[8:9], -1, 0
	s_add_i32 s10, s36, s44
	s_cmp_eq_u32 s37, s10
	s_cselect_b64 s[12:13], -1, 0
	s_or_b64 s[12:13], s[8:9], s[12:13]
	s_andn2_b64 vcc, exec, s[12:13]
	s_cbranch_vccz .LBB199_18
; %bb.17:                               ;   in Loop: Header=BB199_16 Depth=2
	s_and_saveexec_b64 s[8:9], s[6:7]
	s_cbranch_execz .LBB199_15
	s_branch .LBB199_25
.LBB199_18:                             ;   in Loop: Header=BB199_16 Depth=2
	s_and_b64 s[8:9], s[8:9], exec
	s_cselect_b32 s36, s36, s10
	s_and_b64 vcc, exec, s[4:5]
	s_barrier
	s_cbranch_vccnz .LBB199_24
; %bb.19:                               ;   in Loop: Header=BB199_16 Depth=2
	v_add_u32_e32 v38, s36, v76
	v_add_u32_e32 v39, s36, v75
	s_mov_b32 s38, 0
	s_mov_b64 s[10:11], 0
	v_mov_b32_e32 v40, v74
                                        ; implicit-def: $sgpr12_sgpr13
	s_branch .LBB199_21
.LBB199_20:                             ;   in Loop: Header=BB199_21 Depth=3
	s_or_b64 exec, exec, s[8:9]
	s_and_b64 s[8:9], exec, s[12:13]
	s_or_b64 s[10:11], s[8:9], s[10:11]
	s_andn2_b64 exec, exec, s[10:11]
	s_cbranch_execz .LBB199_23
.LBB199_21:                             ;   Parent Loop BB199_12 Depth=1
                                        ;     Parent Loop BB199_16 Depth=2
                                        ; =>    This Inner Loop Header: Depth=3
	v_add_u32_e32 v41, s38, v75
	v_add_u32_e32 v0, s38, v39
	v_cmp_gt_u32_e32 vcc, s26, v0
	v_cmp_gt_u32_e64 s[8:9], s44, v41
	s_and_b64 s[40:41], s[8:9], vcc
	s_or_b64 s[12:13], s[12:13], exec
	s_and_saveexec_b64 s[8:9], s[40:41]
	s_cbranch_execz .LBB199_20
; %bb.22:                               ;   in Loop: Header=BB199_21 Depth=3
	v_lshl_add_u64 v[42:43], v[0:1], 1, s[20:21]
	v_add_u32_e32 v0, s38, v38
	global_load_dwordx4 v[42:45], v[42:43], off
	v_lshl_add_u64 v[46:47], v[0:1], 1, s[20:21]
	global_load_dwordx4 v[46:49], v[46:47], off
	s_add_i32 s38, s38, s45
	s_cmp_ge_u32 s38, s44
	s_cselect_b64 s[40:41], -1, 0
	s_andn2_b64 s[12:13], s[12:13], exec
	s_and_b64 s[40:41], s[40:41], exec
	v_add_u32_e32 v0, s50, v40
	s_or_b64 s[12:13], s[12:13], s[40:41]
	s_waitcnt vmcnt(1)
	ds_write_b128 v40, v[42:45]
	v_add_u32_e32 v40, s51, v40
	s_waitcnt vmcnt(0)
	ds_write2_b64 v0, v[46:47], v[48:49] offset1:1
	s_branch .LBB199_20
.LBB199_23:                             ;   in Loop: Header=BB199_16 Depth=2
	s_or_b64 exec, exec, s[10:11]
.LBB199_24:                             ;   in Loop: Header=BB199_16 Depth=2
	s_waitcnt lgkmcnt(0)
	s_barrier
	s_and_saveexec_b64 s[8:9], s[6:7]
	s_cbranch_execz .LBB199_15
.LBB199_25:                             ;   in Loop: Header=BB199_16 Depth=2
	v_add_u32_e32 v63, s37, v72
	v_min_u32_e32 v0, s46, v63
	v_lshl_add_u64 v[46:47], v[0:1], 1, s[18:19]
	v_lshl_add_u64 v[48:49], v[64:65], 1, v[46:47]
	v_lshl_add_u64 v[50:51], v[66:67], 1, v[46:47]
	v_lshl_add_u64 v[54:55], v[68:69], 1, v[46:47]
	global_load_dwordx4 v[42:45], v[48:49], off nt
	global_load_dwordx4 v[38:41], v[50:51], off nt
	v_lshl_add_u64 v[56:57], v[70:71], 1, v[46:47]
	global_load_dwordx4 v[50:53], v[54:55], off nt
	global_load_dwordx4 v[46:49], v[56:57], off nt
	v_cmp_gt_u32_e32 vcc, s24, v63
	v_mov_b32_e32 v56, 0
	v_mov_b32_e32 v57, 0
	v_mov_b32_e32 v54, 0
	v_mov_b32_e32 v55, 0
	v_mov_b32_e32 v60, 0
	v_mov_b32_e32 v61, 0
	v_mov_b32_e32 v58, 0
	v_mov_b32_e32 v59, 0
	s_and_saveexec_b64 s[10:11], vcc
	s_cbranch_execz .LBB199_14
; %bb.26:                               ;   in Loop: Header=BB199_16 Depth=2
	v_subrev_u32_e32 v0, s36, v63
	v_lshlrev_b32_e32 v0, 1, v0
	v_lshl_add_u32 v54, s44, 1, v0
	ds_read_b128 v[58:61], v0
	ds_read_b128 v[54:57], v54
	s_branch .LBB199_14
.LBB199_27:                             ;   in Loop: Header=BB199_12 Depth=1
	v_cmp_le_u32_e32 vcc, s27, v62
	s_and_saveexec_b64 s[6:7], vcc
	s_xor_b64 s[6:7], exec, s[6:7]
; %bb.28:                               ;   in Loop: Header=BB199_12 Depth=1
	v_add_u32_e32 v62, s48, v62
                                        ; implicit-def: $vgpr9
                                        ; implicit-def: $vgpr13
                                        ; implicit-def: $vgpr17
                                        ; implicit-def: $vgpr21
                                        ; implicit-def: $vgpr37
                                        ; implicit-def: $vgpr33
                                        ; implicit-def: $vgpr29
                                        ; implicit-def: $vgpr25
; %bb.29:                               ;   in Loop: Header=BB199_12 Depth=1
	s_andn2_saveexec_b64 s[36:37], s[6:7]
	s_cbranch_execz .LBB199_11
; %bb.30:                               ;   in Loop: Header=BB199_12 Depth=1
	v_cvt_i32_f32_e32 v0, v35
	v_cvt_i32_f32_e32 v35, v36
	;; [unrolled: 1-line block ×4, first 2 shown]
	v_cvt_f32_i32_dpp v0, v0 row_shl:1 row_mask:0xf bank_mask:0xf bound_ctrl:1
	v_cvt_f32_i32_dpp v35, v35 row_shl:2 row_mask:0xf bank_mask:0xf bound_ctrl:1
	;; [unrolled: 1-line block ×3, first 2 shown]
	v_cvt_i32_f32_e32 v32, v32
	v_add_f32_e32 v0, v34, v0
	v_add_f32_e32 v0, v0, v35
	;; [unrolled: 1-line block ×3, first 2 shown]
	v_cvt_i32_f32_e32 v34, v0
	v_cvt_i32_f32_e32 v33, v33
	v_cvt_f32_i32_dpp v31, v31 row_shl:1 row_mask:0xf bank_mask:0xf bound_ctrl:1
	v_cvt_f32_i32_dpp v32, v32 row_shl:2 row_mask:0xf bank_mask:0xf bound_ctrl:1
	;; [unrolled: 1-line block ×4, first 2 shown]
	v_add_f32_e32 v30, v30, v31
	v_add_f32_e32 v30, v30, v32
	;; [unrolled: 1-line block ×3, first 2 shown]
	v_cvt_i32_f32_e32 v34, v0
	v_cvt_i32_f32_e32 v27, v27
	v_add_f32_e32 v30, v30, v33
	v_cvt_i32_f32_e32 v28, v28
	v_cvt_f32_i32_dpp v31, v34 row_shl:8 row_mask:0xf bank_mask:0xf bound_ctrl:1
	v_cvt_i32_f32_e32 v32, v30
	v_cvt_i32_f32_e32 v29, v29
	v_cvt_f32_i32_dpp v27, v27 row_shl:1 row_mask:0xf bank_mask:0xf bound_ctrl:1
	v_add_f32_e32 v0, v0, v31
	v_cvt_i32_f32_e32 v0, v0
	v_cvt_f32_i32_dpp v28, v28 row_shl:2 row_mask:0xf bank_mask:0xf bound_ctrl:1
	v_cvt_f32_i32_dpp v31, v32 row_shl:4 row_mask:0xf bank_mask:0xf bound_ctrl:1
	;; [unrolled: 1-line block ×3, first 2 shown]
	v_cvt_f32_i32_dpp v0, v0 row_shr:15 row_mask:0xf bank_mask:0xf bound_ctrl:1
	v_add_f32_e32 v26, v26, v27
	v_cvt_i32_f32_e32 v23, v23
	v_add_f32_e32 v27, v30, v31
	v_add_f32_e32 v26, v26, v28
	v_cvt_i32_f32_e32 v24, v24
	v_cvt_i32_f32_e32 v30, v27
	v_add_f32_e32 v28, v26, v29
	v_cvt_i32_f32_e32 v25, v25
	v_cvt_i32_f32_e32 v31, v0
	;; [unrolled: 1-line block ×3, first 2 shown]
	v_cvt_f32_i32_dpp v23, v23 row_shl:1 row_mask:0xf bank_mask:0xf bound_ctrl:1
	v_cvt_f32_i32_dpp v24, v24 row_shl:2 row_mask:0xf bank_mask:0xf bound_ctrl:1
	;; [unrolled: 1-line block ×4, first 2 shown]
	v_cvt_f32_i32_dpp v30, v31 row_bcast:15 row_mask:0xf bank_mask:0xf bound_ctrl:1
	v_cvt_f32_i32_dpp v31, v26 row_shl:4 row_mask:0xf bank_mask:0xf bound_ctrl:1
	v_add_f32_e32 v22, v22, v23
	v_add_f32_e32 v22, v22, v24
	;; [unrolled: 1-line block ×5, first 2 shown]
	v_cvt_i32_f32_e32 v0, v27
	v_add_f32_e32 v27, v28, v31
	v_cvt_i32_f32_e32 v23, v22
	v_cvt_i32_f32_e32 v28, v27
	v_cvt_f32_i32_dpp v0, v0 row_shr:15 row_mask:0xf bank_mask:0xf bound_ctrl:1
	v_cvt_i32_f32_e32 v19, v19
	v_cvt_f32_i32_dpp v23, v23 row_shl:4 row_mask:0xf bank_mask:0xf bound_ctrl:1
	v_cvt_f32_i32_dpp v28, v28 row_shl:8 row_mask:0xf bank_mask:0xf bound_ctrl:1
	v_cvt_i32_f32_e32 v20, v20
	v_cvt_i32_f32_e32 v21, v21
	v_add_f32_e32 v23, v22, v23
	v_add_f32_e32 v24, v27, v28
	v_cvt_i32_f32_e32 v22, v23
	v_cvt_i32_f32_e32 v24, v24
	;; [unrolled: 1-line block ×3, first 2 shown]
	v_cvt_f32_i32_dpp v19, v19 row_shl:1 row_mask:0xf bank_mask:0xf bound_ctrl:1
	v_cvt_f32_i32_dpp v29, v22 row_shl:8 row_mask:0xf bank_mask:0xf bound_ctrl:1
	v_cvt_f32_i32_dpp v24, v24 row_shr:15 row_mask:0xf bank_mask:0xf bound_ctrl:1
	v_cvt_i32_f32_e32 v15, v15
	v_cvt_f32_i32_dpp v20, v20 row_shl:2 row_mask:0xf bank_mask:0xf bound_ctrl:1
	v_cvt_i32_f32_e32 v16, v16
	v_add_f32_e32 v23, v23, v29
	v_cvt_f32_i32_dpp v21, v21 row_shl:3 row_mask:0xf bank_mask:0xf bound_ctrl:1
	v_cvt_i32_f32_e32 v17, v17
	v_cvt_i32_f32_e32 v11, v11
	v_cvt_f32_i32_dpp v27, v27 row_bcast:15 row_mask:0xf bank_mask:0xf bound_ctrl:1
	v_cvt_i32_f32_e32 v28, v24
	v_cvt_i32_f32_e32 v23, v23
	v_add_f32_e32 v18, v18, v19
	v_cvt_f32_i32_dpp v15, v15 row_shl:1 row_mask:0xf bank_mask:0xf bound_ctrl:1
	v_cvt_i32_f32_e32 v7, v7
	v_add_f32_e32 v18, v18, v20
	v_cvt_f32_i32_dpp v16, v16 row_shl:2 row_mask:0xf bank_mask:0xf bound_ctrl:1
	v_cvt_i32_f32_e32 v12, v12
	v_cvt_i32_f32_e32 v8, v8
	v_add_f32_e32 v20, v18, v21
	v_cvt_f32_i32_dpp v17, v17 row_shl:3 row_mask:0xf bank_mask:0xf bound_ctrl:1
	v_cvt_f32_i32_dpp v11, v11 row_shl:1 row_mask:0xf bank_mask:0xf bound_ctrl:1
	v_cvt_i32_f32_e32 v13, v13
	v_cvt_i32_f32_e32 v9, v9
	v_add_f32_e32 v22, v0, v27
	v_cvt_f32_i32_dpp v27, v28 row_bcast:15 row_mask:0xf bank_mask:0xf bound_ctrl:1
	v_cvt_f32_i32_dpp v28, v23 row_shr:15 row_mask:0xf bank_mask:0xf bound_ctrl:1
	v_cvt_i32_f32_e32 v18, v20
	v_add_f32_e32 v14, v14, v15
	v_cvt_f32_i32_dpp v7, v7 row_shl:1 row_mask:0xf bank_mask:0xf bound_ctrl:1
	v_add_f32_e32 v14, v14, v16
	v_cvt_f32_i32_dpp v12, v12 row_shl:2 row_mask:0xf bank_mask:0xf bound_ctrl:1
	v_cvt_f32_i32_dpp v8, v8 row_shl:2 row_mask:0xf bank_mask:0xf bound_ctrl:1
	v_add_f32_e32 v14, v14, v17
	v_add_f32_e32 v10, v10, v11
	v_cvt_f32_i32_dpp v11, v13 row_shl:3 row_mask:0xf bank_mask:0xf bound_ctrl:1
	v_cvt_f32_i32_dpp v9, v9 row_shl:3 row_mask:0xf bank_mask:0xf bound_ctrl:1
	v_cvt_i32_f32_e32 v0, v22
	v_cvt_i32_f32_e32 v29, v28
	v_cvt_f32_i32_dpp v21, v18 row_shl:4 row_mask:0xf bank_mask:0xf bound_ctrl:1
	v_cvt_i32_f32_e32 v16, v14
	v_add_f32_e32 v6, v6, v7
	v_add_f32_e32 v10, v10, v12
	;; [unrolled: 1-line block ×5, first 2 shown]
	v_mov_b32_dpp v23, v0 row_bcast:31 row_mask:0xf bank_mask:0xf bound_ctrl:1
	v_cvt_f32_i32_dpp v0, v29 row_bcast:15 row_mask:0xf bank_mask:0xf bound_ctrl:1
	v_add_f32_e32 v20, v20, v21
	v_cvt_f32_i32_dpp v16, v16 row_shl:4 row_mask:0xf bank_mask:0xf bound_ctrl:1
	v_cvt_i32_f32_e32 v11, v10
	v_cvt_i32_f32_e32 v7, v6
	;; [unrolled: 1-line block ×3, first 2 shown]
	v_add_f32_e32 v18, v28, v0
	v_add_f32_e32 v14, v14, v16
	v_cvt_f32_i32_dpp v9, v11 row_shl:4 row_mask:0xf bank_mask:0xf bound_ctrl:1
	v_cvt_f32_i32_dpp v7, v7 row_shl:4 row_mask:0xf bank_mask:0xf bound_ctrl:1
	v_add_f32_e32 v19, v24, v27
	v_cvt_i32_f32_e32 v0, v18
	v_cvt_f32_i32_dpp v27, v21 row_shl:8 row_mask:0xf bank_mask:0xf bound_ctrl:1
	v_cvt_i32_f32_e32 v16, v14
	v_add_f32_e32 v9, v10, v9
	v_add_f32_e32 v6, v6, v7
	v_mov_b32_dpp v15, v0 row_bcast:31 row_mask:0xf bank_mask:0xf bound_ctrl:1
	v_add_f32_e32 v0, v20, v27
	v_cvt_f32_i32_dpp v8, v16 row_shl:8 row_mask:0xf bank_mask:0xf bound_ctrl:1
	v_cvt_i32_f32_e32 v10, v9
	v_cvt_i32_f32_e32 v7, v6
	;; [unrolled: 1-line block ×3, first 2 shown]
	v_add_f32_e32 v8, v14, v8
	v_cvt_f32_i32_dpp v10, v10 row_shl:8 row_mask:0xf bank_mask:0xf bound_ctrl:1
	v_cvt_f32_i32_dpp v7, v7 row_shl:8 row_mask:0xf bank_mask:0xf bound_ctrl:1
	v_cvt_f32_i32_dpp v0, v0 row_shr:15 row_mask:0xf bank_mask:0xf bound_ctrl:1
	v_cvt_i32_f32_e32 v8, v8
	v_add_f32_e32 v9, v9, v10
	v_add_f32_e32 v6, v6, v7
	v_cvt_i32_f32_e32 v11, v0
	v_cvt_f32_i32_dpp v8, v8 row_shr:15 row_mask:0xf bank_mask:0xf bound_ctrl:1
	v_cvt_i32_f32_e32 v9, v9
	v_cvt_i32_f32_e32 v6, v6
	v_cvt_f32_i32_dpp v7, v11 row_bcast:15 row_mask:0xf bank_mask:0xf bound_ctrl:1
	v_cvt_i32_f32_e32 v10, v8
	v_cvt_f32_i32_dpp v9, v9 row_shr:15 row_mask:0xf bank_mask:0xf bound_ctrl:1
	v_cvt_f32_i32_dpp v6, v6 row_shr:15 row_mask:0xf bank_mask:0xf bound_ctrl:1
	v_add_f32_e32 v16, v0, v7
	v_cvt_f32_i32_dpp v7, v10 row_bcast:15 row_mask:0xf bank_mask:0xf bound_ctrl:1
	v_cvt_i32_f32_e32 v0, v9
	v_cvt_i32_f32_e32 v10, v6
	;; [unrolled: 1-line block ×3, first 2 shown]
	v_add_f32_e32 v12, v8, v7
	v_cvt_f32_i32_dpp v0, v0 row_bcast:15 row_mask:0xf bank_mask:0xf bound_ctrl:1
	v_cvt_f32_i32_dpp v7, v10 row_bcast:15 row_mask:0xf bank_mask:0xf bound_ctrl:1
	v_cvt_i32_f32_e32 v24, v19
	v_cvt_i32_f32_e32 v11, v16
	v_add_f32_e32 v10, v9, v0
	v_add_f32_e32 v8, v6, v7
	v_cvt_i32_f32_e32 v13, v12
	v_cvt_i32_f32_e32 v0, v10
	;; [unrolled: 1-line block ×3, first 2 shown]
	v_mov_b32_dpp v25, v25 row_bcast:31 row_mask:0xf bank_mask:0xf bound_ctrl:1
	v_mov_b32_dpp v21, v24 row_bcast:31 row_mask:0xf bank_mask:0xf bound_ctrl:1
	;; [unrolled: 1-line block ×6, first 2 shown]
	s_and_saveexec_b64 s[38:39], s[0:1]
	s_cbranch_execz .LBB199_81
; %bb.31:                               ;   in Loop: Header=BB199_12 Depth=1
	s_andn2_b64 vcc, exec, s[30:31]
	v_mov_b32_e32 v30, 0
	v_add_u32_e32 v0, 2, v62
	v_add_u32_e32 v6, 3, v62
	v_mov_b32_e32 v29, 0
	v_mov_b32_e32 v28, 0
	;; [unrolled: 1-line block ×7, first 2 shown]
	s_cbranch_vccnz .LBB199_33
; %bb.32:                               ;   in Loop: Header=BB199_12 Depth=1
	v_mul_hi_u32 v7, v62, v73
	v_mul_lo_u32 v7, v7, s16
	v_sub_u32_e32 v7, v62, v7
	v_subrev_u32_e32 v14, s16, v7
	v_cmp_le_u32_e32 vcc, s16, v7
	v_mov_b32_e32 v29, v1
	v_mov_b32_e32 v37, v1
	v_cndmask_b32_e32 v7, v7, v14, vcc
	v_subrev_u32_e32 v14, s16, v7
	v_cmp_le_u32_e32 vcc, s16, v7
	v_mov_b32_e32 v31, v1
	v_mov_b32_e32 v41, v1
	v_cndmask_b32_e32 v28, v7, v14, vcc
	v_add_u32_e32 v7, 1, v62
	v_mul_hi_u32 v14, v7, v73
	v_mul_lo_u32 v14, v14, s16
	v_sub_u32_e32 v7, v7, v14
	v_subrev_u32_e32 v14, s16, v7
	v_cmp_le_u32_e32 vcc, s16, v7
	v_lshl_add_u64 v[32:33], v[28:29], 1, s[22:23]
	v_add_u32_e32 v28, s17, v28
	v_cndmask_b32_e32 v7, v7, v14, vcc
	v_subrev_u32_e32 v14, s16, v7
	v_cmp_le_u32_e32 vcc, s16, v7
	v_lshl_add_u64 v[44:45], v[28:29], 1, s[22:23]
	s_nop 0
	v_cndmask_b32_e32 v30, v7, v14, vcc
	v_mul_hi_u32 v7, v0, v73
	v_mul_lo_u32 v7, v7, s16
	v_sub_u32_e32 v7, v0, v7
	v_subrev_u32_e32 v14, s16, v7
	v_cmp_le_u32_e32 vcc, s16, v7
	v_add_u32_e32 v28, s17, v30
	v_lshl_add_u64 v[46:47], v[28:29], 1, s[22:23]
	v_cndmask_b32_e32 v7, v7, v14, vcc
	v_subrev_u32_e32 v14, s16, v7
	v_cmp_le_u32_e32 vcc, s16, v7
	v_lshl_add_u64 v[34:35], v[30:31], 1, s[22:23]
	s_nop 0
	v_cndmask_b32_e32 v36, v7, v14, vcc
	v_mul_hi_u32 v7, v6, v73
	v_mul_lo_u32 v7, v7, s16
	v_sub_u32_e32 v7, v6, v7
	v_subrev_u32_e32 v14, s16, v7
	v_cmp_le_u32_e32 vcc, s16, v7
	v_add_u32_e32 v28, s17, v36
	v_lshl_add_u64 v[38:39], v[36:37], 1, s[22:23]
	v_cndmask_b32_e32 v7, v7, v14, vcc
	v_subrev_u32_e32 v14, s16, v7
	v_cmp_le_u32_e32 vcc, s16, v7
	v_lshl_add_u64 v[36:37], v[28:29], 1, s[22:23]
	s_nop 0
	v_cndmask_b32_e32 v40, v7, v14, vcc
	v_add_u32_e32 v28, s17, v40
	v_lshl_add_u64 v[42:43], v[40:41], 1, s[22:23]
	v_lshl_add_u64 v[40:41], v[28:29], 1, s[22:23]
	global_load_ushort v30, v[32:33], off
	global_load_ushort v29, v[34:35], off
	;; [unrolled: 1-line block ×8, first 2 shown]
.LBB199_33:                             ;   in Loop: Header=BB199_12 Depth=1
	v_cmp_ne_u32_e32 vcc, 0, v2
	s_and_saveexec_b64 s[8:9], vcc
	s_cbranch_execnz .LBB199_41
; %bb.34:                               ;   in Loop: Header=BB199_12 Depth=1
	s_or_b64 exec, exec, s[8:9]
	v_cmp_ne_u32_e64 s[6:7], 0, v3
	s_and_saveexec_b64 s[10:11], s[6:7]
	s_cbranch_execnz .LBB199_46
.LBB199_35:                             ;   in Loop: Header=BB199_12 Depth=1
	s_or_b64 exec, exec, s[10:11]
	v_cmp_ne_u32_e64 s[8:9], 0, v4
	s_and_saveexec_b64 s[12:13], s[8:9]
	s_cbranch_execnz .LBB199_51
.LBB199_36:                             ;   in Loop: Header=BB199_12 Depth=1
	s_or_b64 exec, exec, s[12:13]
	v_cmp_ne_u32_e64 s[10:11], 0, v5
	s_and_saveexec_b64 s[40:41], s[10:11]
	s_cbranch_execnz .LBB199_56
.LBB199_37:                             ;   in Loop: Header=BB199_12 Depth=1
	s_or_b64 exec, exec, s[40:41]
	v_add_u32_e32 v0, s27, v62
	s_and_saveexec_b64 s[12:13], vcc
	s_cbranch_execnz .LBB199_61
.LBB199_38:                             ;   in Loop: Header=BB199_12 Depth=1
	s_or_b64 exec, exec, s[12:13]
	s_and_saveexec_b64 s[12:13], s[6:7]
	s_cbranch_execnz .LBB199_66
.LBB199_39:                             ;   in Loop: Header=BB199_12 Depth=1
	s_or_b64 exec, exec, s[12:13]
	s_and_saveexec_b64 s[6:7], s[8:9]
	s_cbranch_execnz .LBB199_71
.LBB199_40:                             ;   in Loop: Header=BB199_12 Depth=1
	s_or_b64 exec, exec, s[6:7]
	s_and_b64 exec, exec, s[10:11]
	s_cbranch_execnz .LBB199_76
	s_branch .LBB199_81
.LBB199_41:                             ;   in Loop: Header=BB199_12 Depth=1
	v_cvt_f32_i32_e32 v25, v25
	v_add_f32_e32 v25, v26, v25
	s_waitcnt vmcnt(7)
	v_lshlrev_b32_e32 v26, 16, v30
	v_add_f32_e32 v26, v25, v26
	v_and_b32_e32 v25, 0x7f800000, v26
	v_cmp_ne_u32_e64 s[6:7], s52, v25
                                        ; implicit-def: $vgpr25
	s_and_saveexec_b64 s[10:11], s[6:7]
	s_xor_b64 s[6:7], exec, s[10:11]
; %bb.42:                               ;   in Loop: Header=BB199_12 Depth=1
	v_bfe_u32 v25, v26, 16, 1
	v_add3_u32 v25, v26, v25, s53
                                        ; implicit-def: $vgpr26
; %bb.43:                               ;   in Loop: Header=BB199_12 Depth=1
	s_andn2_saveexec_b64 s[10:11], s[6:7]
; %bb.44:                               ;   in Loop: Header=BB199_12 Depth=1
	v_or_b32_e32 v25, 0x10000, v26
	v_cmp_eq_u32_sdwa s[6:7], v26, v1 src0_sel:WORD_0 src1_sel:DWORD
	s_nop 1
	v_cndmask_b32_e64 v25, v25, v26, s[6:7]
; %bb.45:                               ;   in Loop: Header=BB199_12 Depth=1
	s_or_b64 exec, exec, s[10:11]
	v_mov_b32_e32 v63, v1
	v_lshl_add_u64 v[30:31], v[62:63], 1, s[14:15]
	global_store_short_d16_hi v[30:31], v25, off
	s_or_b64 exec, exec, s[8:9]
	v_cmp_ne_u32_e64 s[6:7], 0, v3
	s_and_saveexec_b64 s[10:11], s[6:7]
	s_cbranch_execz .LBB199_35
.LBB199_46:                             ;   in Loop: Header=BB199_12 Depth=1
	v_cvt_f32_i32_e32 v23, v23
	v_add_f32_e32 v22, v22, v23
	s_waitcnt vmcnt(6)
	v_lshlrev_b32_e32 v23, 16, v29
	v_add_f32_e32 v23, v22, v23
	v_and_b32_e32 v22, 0x7f800000, v23
	v_cmp_ne_u32_e64 s[8:9], s52, v22
                                        ; implicit-def: $vgpr22
	s_and_saveexec_b64 s[12:13], s[8:9]
	s_xor_b64 s[8:9], exec, s[12:13]
; %bb.47:                               ;   in Loop: Header=BB199_12 Depth=1
	v_bfe_u32 v22, v23, 16, 1
	v_add3_u32 v22, v23, v22, s53
                                        ; implicit-def: $vgpr23
; %bb.48:                               ;   in Loop: Header=BB199_12 Depth=1
	s_andn2_saveexec_b64 s[12:13], s[8:9]
; %bb.49:                               ;   in Loop: Header=BB199_12 Depth=1
	v_or_b32_e32 v22, 0x10000, v23
	v_cmp_eq_u32_sdwa s[8:9], v23, v1 src0_sel:WORD_0 src1_sel:DWORD
	s_nop 1
	v_cndmask_b32_e64 v22, v22, v23, s[8:9]
; %bb.50:                               ;   in Loop: Header=BB199_12 Depth=1
	s_or_b64 exec, exec, s[12:13]
	v_mov_b32_e32 v63, v1
	v_lshl_add_u64 v[30:31], v[62:63], 1, s[34:35]
	global_store_short_d16_hi v[30:31], v22, off
	s_or_b64 exec, exec, s[10:11]
	v_cmp_ne_u32_e64 s[8:9], 0, v4
	s_and_saveexec_b64 s[12:13], s[8:9]
	s_cbranch_execz .LBB199_36
.LBB199_51:                             ;   in Loop: Header=BB199_12 Depth=1
	v_cvt_f32_i32_e32 v21, v21
	v_add_f32_e32 v19, v19, v21
	s_waitcnt vmcnt(5)
	v_lshlrev_b32_e32 v21, 16, v28
	v_add_f32_e32 v21, v19, v21
	v_and_b32_e32 v19, 0x7f800000, v21
	v_cmp_ne_u32_e64 s[10:11], s52, v19
                                        ; implicit-def: $vgpr19
	s_and_saveexec_b64 s[40:41], s[10:11]
	s_xor_b64 s[10:11], exec, s[40:41]
; %bb.52:                               ;   in Loop: Header=BB199_12 Depth=1
	v_bfe_u32 v19, v21, 16, 1
	v_add3_u32 v19, v21, v19, s53
                                        ; implicit-def: $vgpr21
; %bb.53:                               ;   in Loop: Header=BB199_12 Depth=1
	s_andn2_saveexec_b64 s[40:41], s[10:11]
; %bb.54:                               ;   in Loop: Header=BB199_12 Depth=1
	v_or_b32_e32 v19, 0x10000, v21
	v_cmp_eq_u32_sdwa s[10:11], v21, v1 src0_sel:WORD_0 src1_sel:DWORD
	s_nop 1
	v_cndmask_b32_e64 v19, v19, v21, s[10:11]
; %bb.55:                               ;   in Loop: Header=BB199_12 Depth=1
	s_or_b64 exec, exec, s[40:41]
	v_lshl_add_u64 v[22:23], v[0:1], 1, s[14:15]
	global_store_short_d16_hi v[22:23], v19, off
	s_or_b64 exec, exec, s[12:13]
	v_cmp_ne_u32_e64 s[10:11], 0, v5
	s_and_saveexec_b64 s[40:41], s[10:11]
	s_cbranch_execz .LBB199_37
.LBB199_56:                             ;   in Loop: Header=BB199_12 Depth=1
	v_cvt_f32_i32_e32 v0, v15
	s_waitcnt vmcnt(4)
	v_lshlrev_b32_e32 v7, 16, v7
	v_add_f32_e32 v0, v18, v0
	v_add_f32_e32 v7, v0, v7
	v_and_b32_e32 v0, 0x7f800000, v7
	v_cmp_ne_u32_e64 s[12:13], s52, v0
                                        ; implicit-def: $vgpr0
	s_and_saveexec_b64 s[42:43], s[12:13]
	s_xor_b64 s[12:13], exec, s[42:43]
; %bb.57:                               ;   in Loop: Header=BB199_12 Depth=1
	v_bfe_u32 v0, v7, 16, 1
	v_add3_u32 v0, v7, v0, s53
                                        ; implicit-def: $vgpr7
; %bb.58:                               ;   in Loop: Header=BB199_12 Depth=1
	s_andn2_saveexec_b64 s[42:43], s[12:13]
; %bb.59:                               ;   in Loop: Header=BB199_12 Depth=1
	v_or_b32_e32 v0, 0x10000, v7
	v_cmp_eq_u32_sdwa s[12:13], v7, v1 src0_sel:WORD_0 src1_sel:DWORD
	s_nop 1
	v_cndmask_b32_e64 v0, v0, v7, s[12:13]
; %bb.60:                               ;   in Loop: Header=BB199_12 Depth=1
	s_or_b64 exec, exec, s[42:43]
	v_mov_b32_e32 v7, v1
	v_lshl_add_u64 v[6:7], v[6:7], 1, s[14:15]
	global_store_short_d16_hi v[6:7], v0, off
	s_or_b64 exec, exec, s[40:41]
	v_add_u32_e32 v0, s27, v62
	s_and_saveexec_b64 s[12:13], vcc
	s_cbranch_execz .LBB199_38
.LBB199_61:                             ;   in Loop: Header=BB199_12 Depth=1
	v_cvt_f32_i32_e32 v6, v17
	s_waitcnt vmcnt(3)
	v_lshlrev_b32_e32 v7, 16, v27
	v_add_f32_e32 v6, v16, v6
	v_add_f32_e32 v7, v6, v7
	v_and_b32_e32 v6, 0x7f800000, v7
	v_cmp_ne_u32_e32 vcc, s52, v6
                                        ; implicit-def: $vgpr6
	s_and_saveexec_b64 s[40:41], vcc
	s_xor_b64 s[40:41], exec, s[40:41]
; %bb.62:                               ;   in Loop: Header=BB199_12 Depth=1
	v_bfe_u32 v6, v7, 16, 1
	v_add3_u32 v6, v7, v6, s53
                                        ; implicit-def: $vgpr7
; %bb.63:                               ;   in Loop: Header=BB199_12 Depth=1
	s_andn2_saveexec_b64 s[40:41], s[40:41]
; %bb.64:                               ;   in Loop: Header=BB199_12 Depth=1
	v_or_b32_e32 v6, 0x10000, v7
	v_cmp_eq_u32_sdwa vcc, v7, v1 src0_sel:WORD_0 src1_sel:DWORD
	s_nop 1
	v_cndmask_b32_e32 v6, v6, v7, vcc
; %bb.65:                               ;   in Loop: Header=BB199_12 Depth=1
	s_or_b64 exec, exec, s[40:41]
	v_lshl_add_u64 v[16:17], v[0:1], 1, s[14:15]
	global_store_short_d16_hi v[16:17], v6, off
	s_or_b64 exec, exec, s[12:13]
	s_and_saveexec_b64 s[12:13], s[6:7]
	s_cbranch_execz .LBB199_39
.LBB199_66:                             ;   in Loop: Header=BB199_12 Depth=1
	v_cvt_f32_i32_e32 v6, v13
	s_waitcnt vmcnt(2)
	v_lshlrev_b32_e32 v7, 16, v24
	v_add_f32_e32 v6, v12, v6
	v_add_f32_e32 v7, v6, v7
	v_and_b32_e32 v6, 0x7f800000, v7
	v_cmp_ne_u32_e32 vcc, s52, v6
                                        ; implicit-def: $vgpr6
	s_and_saveexec_b64 s[6:7], vcc
	s_xor_b64 s[6:7], exec, s[6:7]
; %bb.67:                               ;   in Loop: Header=BB199_12 Depth=1
	v_bfe_u32 v6, v7, 16, 1
	v_add3_u32 v6, v7, v6, s53
                                        ; implicit-def: $vgpr7
; %bb.68:                               ;   in Loop: Header=BB199_12 Depth=1
	s_andn2_saveexec_b64 s[6:7], s[6:7]
; %bb.69:                               ;   in Loop: Header=BB199_12 Depth=1
	v_or_b32_e32 v6, 0x10000, v7
	v_cmp_eq_u32_sdwa vcc, v7, v1 src0_sel:WORD_0 src1_sel:DWORD
	s_nop 1
	v_cndmask_b32_e32 v6, v6, v7, vcc
; %bb.70:                               ;   in Loop: Header=BB199_12 Depth=1
	s_or_b64 exec, exec, s[6:7]
	v_add_u32_e32 v12, 1, v0
	v_mov_b32_e32 v13, v1
	v_lshl_add_u64 v[12:13], v[12:13], 1, s[14:15]
	global_store_short_d16_hi v[12:13], v6, off
	s_or_b64 exec, exec, s[12:13]
	s_and_saveexec_b64 s[6:7], s[8:9]
	s_cbranch_execz .LBB199_40
.LBB199_71:                             ;   in Loop: Header=BB199_12 Depth=1
	v_cvt_f32_i32_e32 v6, v11
	s_waitcnt vmcnt(1)
	v_lshlrev_b32_e32 v7, 16, v20
	v_add_f32_e32 v6, v10, v6
	v_add_f32_e32 v7, v6, v7
	v_and_b32_e32 v6, 0x7f800000, v7
	v_cmp_ne_u32_e32 vcc, s52, v6
                                        ; implicit-def: $vgpr6
	s_and_saveexec_b64 s[8:9], vcc
	s_xor_b64 s[8:9], exec, s[8:9]
; %bb.72:                               ;   in Loop: Header=BB199_12 Depth=1
	v_bfe_u32 v6, v7, 16, 1
	v_add3_u32 v6, v7, v6, s53
                                        ; implicit-def: $vgpr7
; %bb.73:                               ;   in Loop: Header=BB199_12 Depth=1
	s_andn2_saveexec_b64 s[8:9], s[8:9]
; %bb.74:                               ;   in Loop: Header=BB199_12 Depth=1
	v_or_b32_e32 v6, 0x10000, v7
	v_cmp_eq_u32_sdwa vcc, v7, v1 src0_sel:WORD_0 src1_sel:DWORD
	s_nop 1
	v_cndmask_b32_e32 v6, v6, v7, vcc
; %bb.75:                               ;   in Loop: Header=BB199_12 Depth=1
	s_or_b64 exec, exec, s[8:9]
	v_add_u32_e32 v10, 2, v0
	v_mov_b32_e32 v11, v1
	v_lshl_add_u64 v[10:11], v[10:11], 1, s[14:15]
	global_store_short_d16_hi v[10:11], v6, off
	s_or_b64 exec, exec, s[6:7]
	s_and_b64 exec, exec, s[10:11]
	s_cbranch_execz .LBB199_81
.LBB199_76:                             ;   in Loop: Header=BB199_12 Depth=1
	v_cvt_f32_i32_e32 v6, v9
	s_waitcnt vmcnt(0)
	v_lshlrev_b32_e32 v7, 16, v14
	v_add_f32_e32 v6, v8, v6
	v_add_f32_e32 v7, v6, v7
	v_and_b32_e32 v6, 0x7f800000, v7
	v_cmp_ne_u32_e32 vcc, s52, v6
                                        ; implicit-def: $vgpr6
	s_and_saveexec_b64 s[6:7], vcc
	s_xor_b64 s[6:7], exec, s[6:7]
; %bb.77:                               ;   in Loop: Header=BB199_12 Depth=1
	v_bfe_u32 v6, v7, 16, 1
	v_add3_u32 v6, v7, v6, s53
                                        ; implicit-def: $vgpr7
; %bb.78:                               ;   in Loop: Header=BB199_12 Depth=1
	s_andn2_saveexec_b64 s[6:7], s[6:7]
; %bb.79:                               ;   in Loop: Header=BB199_12 Depth=1
	v_or_b32_e32 v6, 0x10000, v7
	v_cmp_eq_u32_sdwa vcc, v7, v1 src0_sel:WORD_0 src1_sel:DWORD
	s_nop 1
	v_cndmask_b32_e32 v6, v6, v7, vcc
; %bb.80:                               ;   in Loop: Header=BB199_12 Depth=1
	s_or_b64 exec, exec, s[6:7]
	v_add_u32_e32 v0, 3, v0
	v_lshl_add_u64 v[8:9], v[0:1], 1, s[14:15]
	global_store_short_d16_hi v[8:9], v6, off
.LBB199_81:                             ;   in Loop: Header=BB199_12 Depth=1
	s_or_b64 exec, exec, s[38:39]
	v_add_u32_e32 v62, s48, v62
	v_add_u32_e32 v0, 4, v62
	v_cmp_gt_u32_e32 vcc, s27, v62
	v_cmp_le_u32_e64 s[6:7], s27, v0
	s_and_b64 s[6:7], vcc, s[6:7]
	s_and_saveexec_b64 s[8:9], s[6:7]
	s_cbranch_execz .LBB199_10
; %bb.82:                               ;   in Loop: Header=BB199_12 Depth=1
	v_cmp_ne_u32_e32 vcc, s49, v62
	s_and_saveexec_b64 s[10:11], vcc
	s_cbranch_execz .LBB199_9
; %bb.83:                               ;   in Loop: Header=BB199_12 Depth=1
	v_subrev_u32_e32 v0, s49, v62
	v_cmp_lt_u32_e32 vcc, 1, v0
	s_mov_b64 s[12:13], 0
	s_mov_b64 s[38:39], 0
	v_cndmask_b32_e32 v0, 1, v0, vcc
.LBB199_84:                             ;   Parent Loop BB199_12 Depth=1
                                        ; =>  This Inner Loop Header: Depth=2
	s_cmp_lg_u32 s38, 3
	s_cselect_b64 vcc, -1, 0
	s_cmp_lg_u32 s38, 2
	v_cndmask_b32_e32 v5, 0, v5, vcc
	s_cselect_b64 vcc, -1, 0
	s_cmp_lg_u32 s38, 1
	v_cndmask_b32_e32 v4, 0, v4, vcc
	;; [unrolled: 3-line block ×3, first 2 shown]
	s_cselect_b64 vcc, -1, 0
	s_add_u32 s38, s38, 1
	s_addc_u32 s39, s39, 0
	v_cmp_eq_u32_e64 s[6:7], s38, v0
	s_or_b64 s[12:13], s[6:7], s[12:13]
	v_cndmask_b32_e32 v2, 0, v2, vcc
	s_andn2_b64 exec, exec, s[12:13]
	s_cbranch_execnz .LBB199_84
; %bb.85:                               ;   in Loop: Header=BB199_12 Depth=1
	s_or_b64 exec, exec, s[12:13]
	s_branch .LBB199_9
.LBB199_86:
	s_endpgm
	.section	.rodata,"a",@progbits
	.p2align	6, 0x0
	.amdhsa_kernel _Z16wvSplitK_hf_big_I14__hip_bfloat16Li32ELi4ELi16ELi8ELi1ELi2EEviiiiiiPKT_S3_S3_PS1_ii
		.amdhsa_group_segment_fixed_size 65536
		.amdhsa_private_segment_fixed_size 0
		.amdhsa_kernarg_size 64
		.amdhsa_user_sgpr_count 2
		.amdhsa_user_sgpr_dispatch_ptr 0
		.amdhsa_user_sgpr_queue_ptr 0
		.amdhsa_user_sgpr_kernarg_segment_ptr 1
		.amdhsa_user_sgpr_dispatch_id 0
		.amdhsa_user_sgpr_kernarg_preload_length 0
		.amdhsa_user_sgpr_kernarg_preload_offset 0
		.amdhsa_user_sgpr_private_segment_size 0
		.amdhsa_uses_dynamic_stack 0
		.amdhsa_enable_private_segment 0
		.amdhsa_system_sgpr_workgroup_id_x 1
		.amdhsa_system_sgpr_workgroup_id_y 0
		.amdhsa_system_sgpr_workgroup_id_z 0
		.amdhsa_system_sgpr_workgroup_info 0
		.amdhsa_system_vgpr_workitem_id 1
		.amdhsa_next_free_vgpr 77
		.amdhsa_next_free_sgpr 54
		.amdhsa_accum_offset 80
		.amdhsa_reserve_vcc 1
		.amdhsa_float_round_mode_32 0
		.amdhsa_float_round_mode_16_64 0
		.amdhsa_float_denorm_mode_32 3
		.amdhsa_float_denorm_mode_16_64 3
		.amdhsa_dx10_clamp 1
		.amdhsa_ieee_mode 1
		.amdhsa_fp16_overflow 0
		.amdhsa_tg_split 0
		.amdhsa_exception_fp_ieee_invalid_op 0
		.amdhsa_exception_fp_denorm_src 0
		.amdhsa_exception_fp_ieee_div_zero 0
		.amdhsa_exception_fp_ieee_overflow 0
		.amdhsa_exception_fp_ieee_underflow 0
		.amdhsa_exception_fp_ieee_inexact 0
		.amdhsa_exception_int_div_zero 0
	.end_amdhsa_kernel
	.section	.text._Z16wvSplitK_hf_big_I14__hip_bfloat16Li32ELi4ELi16ELi8ELi1ELi2EEviiiiiiPKT_S3_S3_PS1_ii,"axG",@progbits,_Z16wvSplitK_hf_big_I14__hip_bfloat16Li32ELi4ELi16ELi8ELi1ELi2EEviiiiiiPKT_S3_S3_PS1_ii,comdat
.Lfunc_end199:
	.size	_Z16wvSplitK_hf_big_I14__hip_bfloat16Li32ELi4ELi16ELi8ELi1ELi2EEviiiiiiPKT_S3_S3_PS1_ii, .Lfunc_end199-_Z16wvSplitK_hf_big_I14__hip_bfloat16Li32ELi4ELi16ELi8ELi1ELi2EEviiiiiiPKT_S3_S3_PS1_ii
                                        ; -- End function
	.section	.AMDGPU.csdata,"",@progbits
; Kernel info:
; codeLenInByte = 4320
; NumSgprs: 60
; NumVgprs: 77
; NumAgprs: 0
; TotalNumVgprs: 77
; ScratchSize: 0
; MemoryBound: 0
; FloatMode: 240
; IeeeMode: 1
; LDSByteSize: 65536 bytes/workgroup (compile time only)
; SGPRBlocks: 7
; VGPRBlocks: 9
; NumSGPRsForWavesPerEU: 60
; NumVGPRsForWavesPerEU: 77
; AccumOffset: 80
; Occupancy: 2
; WaveLimiterHint : 0
; COMPUTE_PGM_RSRC2:SCRATCH_EN: 0
; COMPUTE_PGM_RSRC2:USER_SGPR: 2
; COMPUTE_PGM_RSRC2:TRAP_HANDLER: 0
; COMPUTE_PGM_RSRC2:TGID_X_EN: 1
; COMPUTE_PGM_RSRC2:TGID_Y_EN: 0
; COMPUTE_PGM_RSRC2:TGID_Z_EN: 0
; COMPUTE_PGM_RSRC2:TIDIG_COMP_CNT: 1
; COMPUTE_PGM_RSRC3_GFX90A:ACCUM_OFFSET: 19
; COMPUTE_PGM_RSRC3_GFX90A:TG_SPLIT: 0
	.section	.text._Z16wvSplitK_hf_sml_I14__hip_bfloat16Li32ELi4ELi16ELi8ELi2ELi2EEviiiiiiPKT_S3_S3_PS1_ii,"axG",@progbits,_Z16wvSplitK_hf_sml_I14__hip_bfloat16Li32ELi4ELi16ELi8ELi2ELi2EEviiiiiiPKT_S3_S3_PS1_ii,comdat
	.protected	_Z16wvSplitK_hf_sml_I14__hip_bfloat16Li32ELi4ELi16ELi8ELi2ELi2EEviiiiiiPKT_S3_S3_PS1_ii ; -- Begin function _Z16wvSplitK_hf_sml_I14__hip_bfloat16Li32ELi4ELi16ELi8ELi2ELi2EEviiiiiiPKT_S3_S3_PS1_ii
	.globl	_Z16wvSplitK_hf_sml_I14__hip_bfloat16Li32ELi4ELi16ELi8ELi2ELi2EEviiiiiiPKT_S3_S3_PS1_ii
	.p2align	8
	.type	_Z16wvSplitK_hf_sml_I14__hip_bfloat16Li32ELi4ELi16ELi8ELi2ELi2EEviiiiiiPKT_S3_S3_PS1_ii,@function
_Z16wvSplitK_hf_sml_I14__hip_bfloat16Li32ELi4ELi16ELi8ELi2ELi2EEviiiiiiPKT_S3_S3_PS1_ii: ; @_Z16wvSplitK_hf_sml_I14__hip_bfloat16Li32ELi4ELi16ELi8ELi2ELi2EEviiiiiiPKT_S3_S3_PS1_ii
; %bb.0:
	s_load_dwordx4 s[4:7], s[0:1], 0x0
	v_and_b32_e32 v4, 0x3ff, v0
	v_bfe_u32 v5, v0, 10, 10
	v_lshlrev_b32_e32 v92, 3, v4
	v_lshl_add_u32 v6, v5, 8, v92
	s_waitcnt lgkmcnt(0)
	s_lshl_b32 s6, s6, 1
	s_min_u32 s3, s6, 0x8000
	v_cmp_gt_u32_e32 vcc, s3, v6
	s_and_saveexec_b64 s[8:9], vcc
	s_cbranch_execz .LBB200_9
; %bb.1:
	s_load_dwordx2 s[10:11], s[0:1], 0x20
	v_lshlrev_b32_e32 v0, 1, v6
	v_add_u32_e32 v1, 0x1000, v6
	v_cmp_gt_u32_e32 vcc, s3, v1
	s_waitcnt lgkmcnt(0)
	global_load_dwordx4 v[8:11], v0, s[10:11]
	s_waitcnt vmcnt(0)
	ds_write_b128 v0, v[8:11]
	s_and_saveexec_b64 s[12:13], vcc
	s_xor_b64 s[12:13], exec, s[12:13]
	s_cbranch_execz .LBB200_9
; %bb.2:
	v_mov_b32_e32 v1, 0
	v_lshl_add_u64 v[2:3], s[10:11], 0, v[0:1]
	v_add_co_u32_e32 v8, vcc, 0x2000, v2
	v_add_u32_e32 v1, 0x2000, v6
	s_nop 0
	v_addc_co_u32_e32 v9, vcc, 0, v3, vcc
	global_load_dwordx4 v[8:11], v[8:9], off
	v_cmp_gt_u32_e32 vcc, s3, v1
	s_waitcnt vmcnt(0)
	ds_write_b128 v0, v[8:11] offset:8192
	s_and_saveexec_b64 s[10:11], vcc
	s_xor_b64 s[10:11], exec, s[10:11]
	s_cbranch_execz .LBB200_9
; %bb.3:
	v_add_co_u32_e32 v8, vcc, 0x4000, v2
	v_add_u32_e32 v1, 0x3000, v6
	s_nop 0
	v_addc_co_u32_e32 v9, vcc, 0, v3, vcc
	global_load_dwordx4 v[8:11], v[8:9], off
	v_cmp_gt_u32_e32 vcc, s3, v1
	s_waitcnt vmcnt(0)
	ds_write_b128 v0, v[8:11] offset:16384
	s_and_saveexec_b64 s[10:11], vcc
	s_xor_b64 s[10:11], exec, s[10:11]
	s_cbranch_execz .LBB200_9
; %bb.4:
	;; [unrolled: 12-line block ×6, first 2 shown]
	v_add_co_u32_e32 v2, vcc, 0xe000, v2
	s_nop 1
	v_addc_co_u32_e32 v3, vcc, 0, v3, vcc
	global_load_dwordx4 v[6:9], v[2:3], off
	s_waitcnt vmcnt(0)
	ds_write_b128 v0, v[6:9] offset:57344
.LBB200_9:
	s_or_b64 exec, exec, s[8:9]
	s_load_dwordx2 s[16:17], s[0:1], 0x38
	s_waitcnt lgkmcnt(0)
	s_barrier
	v_cmp_gt_u32_e32 vcc, s16, v5
	s_and_saveexec_b64 s[8:9], vcc
	s_cbranch_execz .LBB200_56
; %bb.10:
	s_load_dwordx2 s[12:13], s[0:1], 0x10
	s_mul_i32 s2, s2, s16
	v_add_lshl_u32 v80, s2, v5, 2
	v_cmp_gt_u32_e32 vcc, s7, v80
	s_and_b64 exec, exec, vcc
	s_cbranch_execz .LBB200_56
; %bb.11:
	s_waitcnt lgkmcnt(0)
	v_cvt_f32_u32_e32 v0, s12
	s_load_dwordx4 s[8:11], s[0:1], 0x28
	s_load_dwordx2 s[14:15], s[0:1], 0x18
	s_cmp_lg_u32 s4, 0
	s_cselect_b64 s[2:3], -1, 0
	v_rcp_iflag_f32_e32 v0, v0
	s_add_i32 s24, s4, -8
	s_add_i32 s25, s7, -1
	s_mul_i32 s20, s16, s17
	v_mul_f32_e32 v0, 0x4f7ffffe, v0
	v_cvt_u32_f32_e32 v0, v0
	s_waitcnt lgkmcnt(0)
	s_cmp_lg_u64 s[8:9], 0
	s_cselect_b64 s[18:19], -1, 0
	s_lshl_b32 s26, s20, 2
	s_sub_i32 s20, 0, s12
	s_abs_i32 s13, s13
	v_mul_lo_u32 v1, s20, v0
	s_sub_i32 s20, 1, s13
	s_cmp_lt_u32 s13, 2
	s_cselect_b32 s20, s20, 1
	s_sub_i32 s21, s20, s13
	v_mul_hi_u32 v1, v0, v1
	s_cmp_ge_u32 s20, s13
	v_add_u32_e32 v93, v0, v1
	s_cselect_b32 s13, s21, s20
	v_cndmask_b32_e64 v0, 0, 1, s[2:3]
	v_cmp_eq_u32_e64 s[0:1], 31, v4
	s_mov_b64 s[16:17], 0
	v_mov_b32_e32 v83, 0
	s_mul_i32 s13, s13, s12
	v_lshlrev_b32_e32 v94, 4, v4
	v_cmp_ne_u32_e64 s[2:3], 1, v0
	s_mov_b32 s27, 0x7f800000
	s_movk_i32 s28, 0x7fff
	s_branch .LBB200_14
.LBB200_12:                             ;   in Loop: Header=BB200_14 Depth=1
	s_or_b64 exec, exec, s[22:23]
	v_add_u32_e32 v82, 3, v82
	v_lshl_add_u64 v[2:3], v[82:83], 1, s[10:11]
	global_store_short_d16_hi v[2:3], v0, off
.LBB200_13:                             ;   in Loop: Header=BB200_14 Depth=1
	s_or_b64 exec, exec, s[20:21]
	v_add_u32_e32 v80, s26, v80
	v_cmp_le_u32_e32 vcc, s7, v80
	s_or_b64 s[16:17], vcc, s[16:17]
	s_andn2_b64 exec, exec, s[16:17]
	s_cbranch_execz .LBB200_56
.LBB200_14:                             ; =>This Loop Header: Depth=1
                                        ;     Child Loop BB200_18 Depth 2
	s_and_b64 vcc, exec, s[2:3]
	v_mov_b32_e32 v7, v83
	v_mov_b32_e32 v6, v83
	;; [unrolled: 1-line block ×32, first 2 shown]
	s_cbranch_vccnz .LBB200_21
; %bb.15:                               ;   in Loop: Header=BB200_14 Depth=1
	v_min_u32_e32 v0, s25, v80
	v_mul_lo_u32 v82, v0, s5
	v_or_b32_e32 v0, 1, v80
	v_or_b32_e32 v2, 2, v80
	v_or_b32_e32 v4, 3, v80
	v_min_u32_e32 v0, s25, v0
	v_min_u32_e32 v2, s25, v2
	;; [unrolled: 1-line block ×3, first 2 shown]
	v_mul_lo_u32 v0, v0, s5
	v_mov_b32_e32 v1, v83
	v_mul_lo_u32 v2, v2, s5
	v_mov_b32_e32 v3, v83
	;; [unrolled: 2-line block ×3, first 2 shown]
	v_mov_b32_e32 v28, 0
	s_mov_b32 s29, 0
	v_lshlrev_b64 v[84:85], 1, v[82:83]
	v_lshlrev_b64 v[86:87], 1, v[0:1]
	;; [unrolled: 1-line block ×4, first 2 shown]
	v_mov_b32_e32 v81, v94
	v_mov_b32_e32 v29, v28
	;; [unrolled: 1-line block ×32, first 2 shown]
	s_branch .LBB200_18
.LBB200_16:                             ;   in Loop: Header=BB200_18 Depth=2
	s_or_b64 exec, exec, s[22:23]
.LBB200_17:                             ;   in Loop: Header=BB200_18 Depth=2
	s_or_b64 exec, exec, s[20:21]
	s_waitcnt vmcnt(7) lgkmcnt(1)
	v_mfma_f32_4x4x4_16b_bf16 v[28:31], v[76:77], v[56:57], v[28:31]
	s_addk_i32 s29, 0x200
	s_waitcnt vmcnt(6)
	v_mfma_f32_4x4x4_16b_bf16 v[24:27], v[76:77], v[52:53], v[24:27]
	v_add_u32_e32 v81, 0x400, v81
	s_waitcnt vmcnt(5)
	v_mfma_f32_4x4x4_16b_bf16 v[20:23], v[76:77], v[68:69], v[20:23]
	s_cmp_ge_u32 s29, s4
	s_waitcnt vmcnt(4)
	v_mfma_f32_4x4x4_16b_bf16 v[16:19], v[76:77], v[64:65], v[16:19]
	s_waitcnt lgkmcnt(0)
	v_mfma_f32_4x4x4_16b_bf16 v[12:15], v[72:73], v[56:57], v[12:15]
	v_mfma_f32_4x4x4_16b_bf16 v[8:11], v[72:73], v[52:53], v[8:11]
	;; [unrolled: 1-line block ×12, first 2 shown]
	s_waitcnt vmcnt(3)
	v_mfma_f32_4x4x4_16b_bf16 v[28:31], v[60:61], v[44:45], v[28:31]
	s_waitcnt vmcnt(2)
	v_mfma_f32_4x4x4_16b_bf16 v[24:27], v[60:61], v[40:41], v[24:27]
	;; [unrolled: 2-line block ×4, first 2 shown]
	v_mfma_f32_4x4x4_16b_bf16 v[12:15], v[36:37], v[44:45], v[12:15]
	v_mfma_f32_4x4x4_16b_bf16 v[8:11], v[36:37], v[40:41], v[8:11]
	;; [unrolled: 1-line block ×12, first 2 shown]
	s_cbranch_scc1 .LBB200_21
.LBB200_18:                             ;   Parent Loop BB200_14 Depth=1
                                        ; =>  This Inner Loop Header: Depth=2
	v_add_u32_e32 v60, s29, v92
	v_min_u32_e32 v82, s24, v60
	v_lshl_add_u64 v[32:33], v[82:83], 1, s[14:15]
	v_lshl_add_u64 v[34:35], v[32:33], 0, v[84:85]
	v_add_u32_e32 v95, 0x100, v60
	v_lshl_add_u64 v[36:37], v[32:33], 0, v[86:87]
	global_load_dwordx4 v[56:59], v[34:35], off nt
	global_load_dwordx4 v[52:55], v[36:37], off nt
	v_lshl_add_u64 v[34:35], v[32:33], 0, v[88:89]
	v_lshl_add_u64 v[32:33], v[32:33], 0, v[90:91]
	v_min_u32_e32 v82, s24, v95
	global_load_dwordx4 v[68:71], v[34:35], off nt
	global_load_dwordx4 v[64:67], v[32:33], off nt
	v_lshl_add_u64 v[32:33], v[82:83], 1, s[14:15]
	v_lshl_add_u64 v[34:35], v[32:33], 0, v[84:85]
	;; [unrolled: 1-line block ×3, first 2 shown]
	global_load_dwordx4 v[44:47], v[34:35], off nt
	global_load_dwordx4 v[40:43], v[36:37], off nt
	v_lshl_add_u64 v[36:37], v[32:33], 0, v[88:89]
	v_lshl_add_u64 v[38:39], v[32:33], 0, v[90:91]
	global_load_dwordx4 v[48:51], v[36:37], off nt
	global_load_dwordx4 v[32:35], v[38:39], off nt
	v_cmp_gt_u32_e32 vcc, s4, v60
	v_mov_b32_e32 v38, 0
	v_mov_b32_e32 v39, 0
	;; [unrolled: 1-line block ×16, first 2 shown]
	s_and_saveexec_b64 s[20:21], vcc
	s_cbranch_execz .LBB200_17
; %bb.19:                               ;   in Loop: Header=BB200_18 Depth=2
	v_add_u32_e32 v82, s6, v81
	ds_read_b128 v[76:79], v81
	ds_read_b128 v[72:75], v82
	v_cmp_gt_u32_e32 vcc, s4, v95
	v_mov_b32_e32 v61, 0
	v_mov_b32_e32 v60, 0
	;; [unrolled: 1-line block ×8, first 2 shown]
	s_and_saveexec_b64 s[22:23], vcc
	s_cbranch_execz .LBB200_16
; %bb.20:                               ;   in Loop: Header=BB200_18 Depth=2
	ds_read_b128 v[60:63], v81 offset:512
	ds_read_b128 v[36:39], v82 offset:512
	s_branch .LBB200_16
.LBB200_21:                             ;   in Loop: Header=BB200_14 Depth=1
	; sched_barrier mask(0x00000000)
	v_cvt_i32_f32_e32 v29, v29
	v_cvt_i32_f32_e32 v30, v30
	;; [unrolled: 1-line block ×4, first 2 shown]
	v_cvt_f32_i32_dpp v29, v29 row_shl:1 row_mask:0xf bank_mask:0xf bound_ctrl:1
	v_cvt_f32_i32_dpp v30, v30 row_shl:2 row_mask:0xf bank_mask:0xf bound_ctrl:1
	;; [unrolled: 1-line block ×3, first 2 shown]
	v_cvt_i32_f32_e32 v26, v26
	v_add_f32_e32 v28, v28, v29
	v_add_f32_e32 v28, v28, v30
	;; [unrolled: 1-line block ×3, first 2 shown]
	v_cvt_i32_f32_e32 v29, v28
	v_cvt_i32_f32_e32 v27, v27
	v_cvt_f32_i32_dpp v25, v25 row_shl:1 row_mask:0xf bank_mask:0xf bound_ctrl:1
	v_cvt_f32_i32_dpp v26, v26 row_shl:2 row_mask:0xf bank_mask:0xf bound_ctrl:1
	;; [unrolled: 1-line block ×4, first 2 shown]
	v_add_f32_e32 v24, v24, v25
	v_cvt_i32_f32_e32 v21, v21
	v_add_f32_e32 v28, v28, v29
	v_cvt_i32_f32_e32 v29, v28
	;; [unrolled: 2-line block ×3, first 2 shown]
	v_add_f32_e32 v24, v24, v27
	v_cvt_f32_i32_dpp v25, v29 row_shl:8 row_mask:0xf bank_mask:0xf bound_ctrl:1
	v_cvt_i32_f32_e32 v23, v23
	v_cvt_i32_f32_e32 v26, v24
	v_cvt_f32_i32_dpp v21, v21 row_shl:1 row_mask:0xf bank_mask:0xf bound_ctrl:1
	v_add_f32_e32 v25, v28, v25
	v_cvt_i32_f32_e32 v25, v25
	v_cvt_f32_i32_dpp v22, v22 row_shl:2 row_mask:0xf bank_mask:0xf bound_ctrl:1
	v_cvt_f32_i32_dpp v26, v26 row_shl:4 row_mask:0xf bank_mask:0xf bound_ctrl:1
	v_cvt_f32_i32_dpp v23, v23 row_shl:3 row_mask:0xf bank_mask:0xf bound_ctrl:1
	v_cvt_f32_i32_dpp v25, v25 row_shr:15 row_mask:0xf bank_mask:0xf bound_ctrl:1
	v_add_f32_e32 v20, v20, v21
	v_add_f32_e32 v20, v20, v22
	v_add_f32_e32 v21, v24, v26
	v_add_f32_e32 v22, v20, v23
	v_cvt_i32_f32_e32 v24, v21
	v_cvt_i32_f32_e32 v26, v25
	;; [unrolled: 1-line block ×4, first 2 shown]
	v_cvt_f32_i32_dpp v23, v24 row_shl:8 row_mask:0xf bank_mask:0xf bound_ctrl:1
	v_cvt_f32_i32_dpp v24, v26 row_bcast:15 row_mask:0xf bank_mask:0xf bound_ctrl:1
	v_cvt_f32_i32_dpp v26, v20 row_shl:4 row_mask:0xf bank_mask:0xf bound_ctrl:1
	v_cvt_i32_f32_e32 v18, v18
	v_add_f32_e32 v21, v21, v23
	v_cvt_i32_f32_e32 v19, v19
	v_add_f32_e32 v22, v22, v26
	v_cvt_i32_f32_e32 v23, v22
	v_cvt_f32_i32_dpp v17, v17 row_shl:1 row_mask:0xf bank_mask:0xf bound_ctrl:1
	v_cvt_f32_i32_dpp v18, v18 row_shl:2 row_mask:0xf bank_mask:0xf bound_ctrl:1
	;; [unrolled: 1-line block ×4, first 2 shown]
	v_add_f32_e32 v16, v16, v17
	v_add_f32_e32 v16, v16, v18
	;; [unrolled: 1-line block ×4, first 2 shown]
	v_cvt_i32_f32_e32 v21, v21
	v_cvt_i32_f32_e32 v17, v16
	;; [unrolled: 1-line block ×7, first 2 shown]
	v_add_f32_e32 v20, v25, v24
	v_cvt_i32_f32_e32 v15, v15
	v_cvt_f32_i32_dpp v18, v21 row_shr:15 row_mask:0xf bank_mask:0xf bound_ctrl:1
	v_cvt_f32_i32_dpp v17, v17 row_shl:4 row_mask:0xf bank_mask:0xf bound_ctrl:1
	v_cvt_i32_f32_e32 v21, v20
	v_cvt_f32_i32_dpp v19, v19 row_shr:15 row_mask:0xf bank_mask:0xf bound_ctrl:1
	v_cvt_f32_i32_dpp v1, v1 row_shl:1 row_mask:0xf bank_mask:0xf bound_ctrl:1
	v_cvt_f32_i32_dpp v13, v13 row_shl:1 row_mask:0xf bank_mask:0xf bound_ctrl:1
	v_cvt_i32_f32_e32 v9, v9
	v_cvt_f32_i32_dpp v2, v2 row_shl:2 row_mask:0xf bank_mask:0xf bound_ctrl:1
	v_cvt_i32_f32_e32 v3, v3
	;; [unrolled: 2-line block ×4, first 2 shown]
	v_add_f32_e32 v23, v16, v17
	v_mov_b32_dpp v17, v21 row_bcast:31 row_mask:0xf bank_mask:0xf bound_ctrl:1
	v_cvt_i32_f32_e32 v21, v19
	v_add_f32_e32 v0, v0, v1
	v_add_f32_e32 v12, v12, v13
	v_cvt_f32_i32_dpp v9, v9 row_shl:1 row_mask:0xf bank_mask:0xf bound_ctrl:1
	v_add_f32_e32 v0, v0, v2
	v_cvt_f32_i32_dpp v1, v3 row_shl:3 row_mask:0xf bank_mask:0xf bound_ctrl:1
	v_cvt_i32_f32_e32 v2, v5
	v_add_f32_e32 v12, v12, v14
	v_cvt_f32_i32_dpp v10, v10 row_shl:2 row_mask:0xf bank_mask:0xf bound_ctrl:1
	v_cvt_i32_f32_e32 v3, v6
	;; [unrolled: 3-line block ×3, first 2 shown]
	v_cvt_f32_i32_dpp v21, v21 row_bcast:15 row_mask:0xf bank_mask:0xf bound_ctrl:1
	v_cvt_i32_f32_e32 v12, v15
	v_add_f32_e32 v8, v8, v9
	v_add_f32_e32 v0, v0, v1
	v_cvt_f32_i32_dpp v1, v2 row_shl:1 row_mask:0xf bank_mask:0xf bound_ctrl:1
	v_add_f32_e32 v8, v8, v10
	v_cvt_f32_i32_dpp v2, v3 row_shl:2 row_mask:0xf bank_mask:0xf bound_ctrl:1
	v_add_f32_e32 v9, v8, v11
	v_cvt_f32_i32_dpp v3, v5 row_shl:3 row_mask:0xf bank_mask:0xf bound_ctrl:1
	v_add_f32_e32 v13, v19, v21
	v_cvt_f32_i32_dpp v19, v12 row_shl:4 row_mask:0xf bank_mask:0xf bound_ctrl:1
	v_cvt_i32_f32_e32 v11, v9
	v_add_f32_e32 v1, v4, v1
	v_add_f32_e32 v1, v1, v2
	;; [unrolled: 1-line block ×4, first 2 shown]
	v_cvt_f32_i32_dpp v11, v11 row_shl:4 row_mask:0xf bank_mask:0xf bound_ctrl:1
	v_cvt_i32_f32_e32 v5, v0
	v_cvt_i32_f32_e32 v2, v1
	;; [unrolled: 1-line block ×3, first 2 shown]
	v_add_f32_e32 v9, v9, v11
	v_cvt_f32_i32_dpp v4, v5 row_shl:4 row_mask:0xf bank_mask:0xf bound_ctrl:1
	v_cvt_f32_i32_dpp v2, v2 row_shl:4 row_mask:0xf bank_mask:0xf bound_ctrl:1
	;; [unrolled: 1-line block ×3, first 2 shown]
	v_cvt_i32_f32_e32 v11, v9
	v_add_f32_e32 v0, v0, v4
	v_add_f32_e32 v1, v1, v2
	v_cvt_i32_f32_e32 v22, v18
	v_cvt_i32_f32_e32 v16, v23
	v_add_f32_e32 v15, v15, v19
	v_cvt_f32_i32_dpp v3, v11 row_shl:8 row_mask:0xf bank_mask:0xf bound_ctrl:1
	v_cvt_i32_f32_e32 v4, v0
	v_cvt_i32_f32_e32 v2, v1
	;; [unrolled: 1-line block ×3, first 2 shown]
	v_cvt_f32_i32_dpp v22, v22 row_bcast:15 row_mask:0xf bank_mask:0xf bound_ctrl:1
	v_cvt_f32_i32_dpp v24, v16 row_shl:8 row_mask:0xf bank_mask:0xf bound_ctrl:1
	v_add_f32_e32 v3, v9, v3
	v_cvt_f32_i32_dpp v4, v4 row_shl:8 row_mask:0xf bank_mask:0xf bound_ctrl:1
	v_cvt_f32_i32_dpp v2, v2 row_shl:8 row_mask:0xf bank_mask:0xf bound_ctrl:1
	v_cvt_f32_i32_dpp v5, v15 row_shr:15 row_mask:0xf bank_mask:0xf bound_ctrl:1
	v_cvt_i32_f32_e32 v3, v3
	v_add_f32_e32 v16, v18, v22
	v_add_f32_e32 v22, v23, v24
	v_add_f32_e32 v0, v0, v4
	v_add_f32_e32 v1, v1, v2
	v_cvt_i32_f32_e32 v22, v22
	v_cvt_i32_f32_e32 v6, v5
	v_cvt_f32_i32_dpp v3, v3 row_shr:15 row_mask:0xf bank_mask:0xf bound_ctrl:1
	v_cvt_i32_f32_e32 v0, v0
	v_cvt_i32_f32_e32 v1, v1
	v_cvt_f32_i32_dpp v22, v22 row_shr:15 row_mask:0xf bank_mask:0xf bound_ctrl:1
	v_cvt_f32_i32_dpp v2, v6 row_bcast:15 row_mask:0xf bank_mask:0xf bound_ctrl:1
	v_cvt_f32_i32_dpp v0, v0 row_shr:15 row_mask:0xf bank_mask:0xf bound_ctrl:1
	v_cvt_i32_f32_e32 v4, v3
	v_cvt_f32_i32_dpp v1, v1 row_shr:15 row_mask:0xf bank_mask:0xf bound_ctrl:1
	v_cvt_i32_f32_e32 v18, v16
	v_cvt_i32_f32_e32 v23, v22
	v_add_f32_e32 v11, v5, v2
	v_cvt_i32_f32_e32 v2, v0
	v_cvt_f32_i32_dpp v4, v4 row_bcast:15 row_mask:0xf bank_mask:0xf bound_ctrl:1
	v_cvt_i32_f32_e32 v5, v1
	v_mov_b32_dpp v14, v18 row_bcast:31 row_mask:0xf bank_mask:0xf bound_ctrl:1
	v_cvt_f32_i32_dpp v18, v23 row_bcast:15 row_mask:0xf bank_mask:0xf bound_ctrl:1
	v_cvt_f32_i32_dpp v2, v2 row_bcast:15 row_mask:0xf bank_mask:0xf bound_ctrl:1
	v_add_f32_e32 v6, v3, v4
	v_cvt_f32_i32_dpp v3, v5 row_bcast:15 row_mask:0xf bank_mask:0xf bound_ctrl:1
	v_add_f32_e32 v12, v22, v18
	v_add_f32_e32 v4, v0, v2
	v_cvt_i32_f32_e32 v21, v13
	v_add_f32_e32 v2, v1, v3
	v_cvt_i32_f32_e32 v18, v12
	v_cvt_i32_f32_e32 v7, v11
	;; [unrolled: 1-line block ×5, first 2 shown]
	v_mov_b32_dpp v10, v21 row_bcast:31 row_mask:0xf bank_mask:0xf bound_ctrl:1
	v_mov_b32_dpp v8, v18 row_bcast:31 row_mask:0xf bank_mask:0xf bound_ctrl:1
	;; [unrolled: 1-line block ×6, first 2 shown]
	s_and_saveexec_b64 s[20:21], s[0:1]
	s_cbranch_execz .LBB200_13
; %bb.22:                               ;   in Loop: Header=BB200_14 Depth=1
	s_andn2_b64 vcc, exec, s[18:19]
	v_mov_b32_e32 v0, 0
	v_mov_b32_e32 v24, 0
	;; [unrolled: 1-line block ×8, first 2 shown]
	s_cbranch_vccnz .LBB200_24
; %bb.23:                               ;   in Loop: Header=BB200_14 Depth=1
	v_mul_hi_u32 v0, v80, v93
	v_mul_lo_u32 v0, v0, s12
	v_sub_u32_e32 v0, v80, v0
	v_subrev_u32_e32 v1, s12, v0
	v_cmp_le_u32_e32 vcc, s12, v0
	v_mov_b32_e32 v19, v83
	v_mov_b32_e32 v23, v83
	v_cndmask_b32_e32 v0, v0, v1, vcc
	v_subrev_u32_e32 v1, s12, v0
	v_cmp_le_u32_e32 vcc, s12, v0
	s_nop 1
	v_cndmask_b32_e32 v82, v0, v1, vcc
	v_or_b32_e32 v0, 1, v80
	v_mul_hi_u32 v1, v0, v93
	v_mul_lo_u32 v1, v1, s12
	v_sub_u32_e32 v0, v0, v1
	v_subrev_u32_e32 v1, s12, v0
	v_cmp_le_u32_e32 vcc, s12, v0
	v_lshl_add_u64 v[26:27], v[82:83], 1, s[8:9]
	v_add_u32_e32 v82, s13, v82
	v_cndmask_b32_e32 v0, v0, v1, vcc
	v_subrev_u32_e32 v1, s12, v0
	v_cmp_le_u32_e32 vcc, s12, v0
	v_lshl_add_u64 v[34:35], v[82:83], 1, s[8:9]
	s_nop 0
	v_cndmask_b32_e32 v0, v0, v1, vcc
	v_mov_b32_e32 v1, v83
	v_lshl_add_u64 v[28:29], v[0:1], 1, s[8:9]
	v_or_b32_e32 v1, 2, v80
	v_mul_hi_u32 v9, v1, v93
	v_mul_lo_u32 v9, v9, s12
	v_sub_u32_e32 v1, v1, v9
	v_subrev_u32_e32 v9, s12, v1
	v_cmp_le_u32_e32 vcc, s12, v1
	v_add_u32_e32 v82, s13, v0
	v_lshl_add_u64 v[36:37], v[82:83], 1, s[8:9]
	v_cndmask_b32_e32 v1, v1, v9, vcc
	v_subrev_u32_e32 v9, s12, v1
	v_cmp_le_u32_e32 vcc, s12, v1
	s_nop 1
	v_cndmask_b32_e32 v18, v1, v9, vcc
	v_or_b32_e32 v1, 3, v80
	v_mul_hi_u32 v9, v1, v93
	v_mul_lo_u32 v9, v9, s12
	v_sub_u32_e32 v1, v1, v9
	v_subrev_u32_e32 v9, s12, v1
	v_cmp_le_u32_e32 vcc, s12, v1
	v_add_u32_e32 v82, s13, v18
	v_lshl_add_u64 v[38:39], v[82:83], 1, s[8:9]
	v_cndmask_b32_e32 v1, v1, v9, vcc
	v_subrev_u32_e32 v9, s12, v1
	v_cmp_le_u32_e32 vcc, s12, v1
	v_lshl_add_u64 v[30:31], v[18:19], 1, s[8:9]
	s_nop 0
	v_cndmask_b32_e32 v22, v1, v9, vcc
	v_add_u32_e32 v82, s13, v22
	v_lshl_add_u64 v[32:33], v[22:23], 1, s[8:9]
	v_lshl_add_u64 v[40:41], v[82:83], 1, s[8:9]
	global_load_ushort v0, v[26:27], off
	global_load_ushort v24, v[28:29], off
	global_load_ushort v23, v[30:31], off
	global_load_ushort v22, v[32:33], off
	global_load_ushort v21, v[34:35], off
	global_load_ushort v19, v[36:37], off
	global_load_ushort v18, v[38:39], off
	global_load_ushort v9, v[40:41], off
.LBB200_24:                             ;   in Loop: Header=BB200_14 Depth=1
	v_cvt_f32_i32_e32 v1, v17
	s_waitcnt vmcnt(7)
	v_lshlrev_b32_e32 v0, 16, v0
                                        ; implicit-def: $vgpr17
	v_add_f32_e32 v1, v20, v1
	v_add_f32_e32 v0, v1, v0
	v_and_b32_e32 v1, 0x7f800000, v0
	v_cmp_ne_u32_e32 vcc, s27, v1
	s_and_saveexec_b64 s[22:23], vcc
	s_xor_b64 s[22:23], exec, s[22:23]
; %bb.25:                               ;   in Loop: Header=BB200_14 Depth=1
	v_bfe_u32 v1, v0, 16, 1
	v_add3_u32 v17, v0, v1, s28
                                        ; implicit-def: $vgpr0
; %bb.26:                               ;   in Loop: Header=BB200_14 Depth=1
	s_andn2_saveexec_b64 s[22:23], s[22:23]
; %bb.27:                               ;   in Loop: Header=BB200_14 Depth=1
	v_or_b32_e32 v1, 0x10000, v0
	v_cmp_eq_u32_sdwa vcc, v0, v83 src0_sel:WORD_0 src1_sel:DWORD
	s_nop 1
	v_cndmask_b32_e32 v17, v1, v0, vcc
; %bb.28:                               ;   in Loop: Header=BB200_14 Depth=1
	s_or_b64 exec, exec, s[22:23]
	v_cvt_f32_i32_e32 v14, v14
	v_mov_b32_e32 v81, v83
	v_lshl_add_u64 v[0:1], v[80:81], 1, s[10:11]
	global_store_short_d16_hi v[0:1], v17, off
	v_add_f32_e32 v14, v16, v14
	s_waitcnt vmcnt(7)
	v_lshlrev_b32_e32 v16, 16, v24
	v_add_f32_e32 v14, v14, v16
	v_and_b32_e32 v16, 0x7f800000, v14
	v_cmp_ne_u32_e32 vcc, s27, v16
                                        ; implicit-def: $vgpr16
	s_and_saveexec_b64 s[22:23], vcc
	s_xor_b64 s[22:23], exec, s[22:23]
; %bb.29:                               ;   in Loop: Header=BB200_14 Depth=1
	v_bfe_u32 v16, v14, 16, 1
	v_add3_u32 v16, v14, v16, s28
                                        ; implicit-def: $vgpr14
; %bb.30:                               ;   in Loop: Header=BB200_14 Depth=1
	s_andn2_saveexec_b64 s[22:23], s[22:23]
; %bb.31:                               ;   in Loop: Header=BB200_14 Depth=1
	v_or_b32_e32 v16, 0x10000, v14
	v_cmp_eq_u32_sdwa vcc, v14, v83 src0_sel:WORD_0 src1_sel:DWORD
	s_nop 1
	v_cndmask_b32_e32 v16, v16, v14, vcc
; %bb.32:                               ;   in Loop: Header=BB200_14 Depth=1
	s_or_b64 exec, exec, s[22:23]
	v_cvt_f32_i32_e32 v10, v10
	global_store_short_d16_hi v[0:1], v16, off offset:2
	v_add_f32_e32 v10, v13, v10
	s_waitcnt vmcnt(7)
	v_lshlrev_b32_e32 v13, 16, v23
	v_add_f32_e32 v10, v10, v13
	v_and_b32_e32 v13, 0x7f800000, v10
	v_cmp_ne_u32_e32 vcc, s27, v13
                                        ; implicit-def: $vgpr13
	s_and_saveexec_b64 s[22:23], vcc
	s_xor_b64 s[22:23], exec, s[22:23]
; %bb.33:                               ;   in Loop: Header=BB200_14 Depth=1
	v_bfe_u32 v13, v10, 16, 1
	v_add3_u32 v13, v10, v13, s28
                                        ; implicit-def: $vgpr10
; %bb.34:                               ;   in Loop: Header=BB200_14 Depth=1
	s_andn2_saveexec_b64 s[22:23], s[22:23]
; %bb.35:                               ;   in Loop: Header=BB200_14 Depth=1
	v_or_b32_e32 v13, 0x10000, v10
	v_cmp_eq_u32_sdwa vcc, v10, v83 src0_sel:WORD_0 src1_sel:DWORD
	s_nop 1
	v_cndmask_b32_e32 v13, v13, v10, vcc
; %bb.36:                               ;   in Loop: Header=BB200_14 Depth=1
	s_or_b64 exec, exec, s[22:23]
	v_cvt_f32_i32_e32 v8, v8
	s_waitcnt vmcnt(6)
	v_lshlrev_b32_e32 v10, 16, v22
	global_store_short_d16_hi v[0:1], v13, off offset:4
	v_add_f32_e32 v8, v12, v8
	v_add_f32_e32 v8, v8, v10
	v_and_b32_e32 v10, 0x7f800000, v8
	v_cmp_ne_u32_e32 vcc, s27, v10
                                        ; implicit-def: $vgpr10
	s_and_saveexec_b64 s[22:23], vcc
	s_xor_b64 s[22:23], exec, s[22:23]
; %bb.37:                               ;   in Loop: Header=BB200_14 Depth=1
	v_bfe_u32 v10, v8, 16, 1
	v_add3_u32 v10, v8, v10, s28
                                        ; implicit-def: $vgpr8
; %bb.38:                               ;   in Loop: Header=BB200_14 Depth=1
	s_andn2_saveexec_b64 s[22:23], s[22:23]
; %bb.39:                               ;   in Loop: Header=BB200_14 Depth=1
	v_or_b32_e32 v10, 0x10000, v8
	v_cmp_eq_u32_sdwa vcc, v8, v83 src0_sel:WORD_0 src1_sel:DWORD
	s_nop 1
	v_cndmask_b32_e32 v10, v10, v8, vcc
; %bb.40:                               ;   in Loop: Header=BB200_14 Depth=1
	s_or_b64 exec, exec, s[22:23]
	v_cvt_f32_i32_e32 v8, v15
	global_store_short_d16_hi v[0:1], v10, off offset:6
	s_waitcnt vmcnt(7)
	v_lshlrev_b32_e32 v1, 16, v21
	v_add_f32_e32 v0, v11, v8
	v_add_f32_e32 v1, v0, v1
	v_and_b32_e32 v0, 0x7f800000, v1
	v_cmp_ne_u32_e32 vcc, s27, v0
                                        ; implicit-def: $vgpr0
	s_and_saveexec_b64 s[22:23], vcc
	s_xor_b64 s[22:23], exec, s[22:23]
; %bb.41:                               ;   in Loop: Header=BB200_14 Depth=1
	v_bfe_u32 v0, v1, 16, 1
	v_add3_u32 v0, v1, v0, s28
                                        ; implicit-def: $vgpr1
; %bb.42:                               ;   in Loop: Header=BB200_14 Depth=1
	s_andn2_saveexec_b64 s[22:23], s[22:23]
; %bb.43:                               ;   in Loop: Header=BB200_14 Depth=1
	v_or_b32_e32 v0, 0x10000, v1
	v_cmp_eq_u32_sdwa vcc, v1, v83 src0_sel:WORD_0 src1_sel:DWORD
	s_nop 1
	v_cndmask_b32_e32 v0, v0, v1, vcc
; %bb.44:                               ;   in Loop: Header=BB200_14 Depth=1
	s_or_b64 exec, exec, s[22:23]
	v_cvt_f32_i32_e32 v1, v7
	v_add_u32_e32 v82, s7, v80
	v_lshl_add_u64 v[10:11], v[82:83], 1, s[10:11]
	global_store_short_d16_hi v[10:11], v0, off
	v_add_f32_e32 v0, v6, v1
	s_waitcnt vmcnt(7)
	v_lshlrev_b32_e32 v1, 16, v19
	v_add_f32_e32 v1, v0, v1
	v_and_b32_e32 v0, 0x7f800000, v1
	v_cmp_ne_u32_e32 vcc, s27, v0
                                        ; implicit-def: $vgpr0
	s_and_saveexec_b64 s[22:23], vcc
	s_xor_b64 s[22:23], exec, s[22:23]
; %bb.45:                               ;   in Loop: Header=BB200_14 Depth=1
	v_bfe_u32 v0, v1, 16, 1
	v_add3_u32 v0, v1, v0, s28
                                        ; implicit-def: $vgpr1
; %bb.46:                               ;   in Loop: Header=BB200_14 Depth=1
	s_andn2_saveexec_b64 s[22:23], s[22:23]
; %bb.47:                               ;   in Loop: Header=BB200_14 Depth=1
	v_or_b32_e32 v0, 0x10000, v1
	v_cmp_eq_u32_sdwa vcc, v1, v83 src0_sel:WORD_0 src1_sel:DWORD
	s_nop 1
	v_cndmask_b32_e32 v0, v0, v1, vcc
; %bb.48:                               ;   in Loop: Header=BB200_14 Depth=1
	s_or_b64 exec, exec, s[22:23]
	v_cvt_f32_i32_e32 v1, v5
	v_add_u32_e32 v6, 1, v82
	v_mov_b32_e32 v7, v83
	v_lshl_add_u64 v[6:7], v[6:7], 1, s[10:11]
	v_add_f32_e32 v1, v4, v1
	global_store_short_d16_hi v[6:7], v0, off
	s_waitcnt vmcnt(7)
	v_lshlrev_b32_e32 v0, 16, v18
	v_add_f32_e32 v1, v1, v0
	v_and_b32_e32 v0, 0x7f800000, v1
	v_cmp_ne_u32_e32 vcc, s27, v0
                                        ; implicit-def: $vgpr0
	s_and_saveexec_b64 s[22:23], vcc
	s_xor_b64 s[22:23], exec, s[22:23]
; %bb.49:                               ;   in Loop: Header=BB200_14 Depth=1
	v_bfe_u32 v0, v1, 16, 1
	v_add3_u32 v0, v1, v0, s28
                                        ; implicit-def: $vgpr1
; %bb.50:                               ;   in Loop: Header=BB200_14 Depth=1
	s_andn2_saveexec_b64 s[22:23], s[22:23]
; %bb.51:                               ;   in Loop: Header=BB200_14 Depth=1
	v_or_b32_e32 v0, 0x10000, v1
	v_cmp_eq_u32_sdwa vcc, v1, v83 src0_sel:WORD_0 src1_sel:DWORD
	s_nop 1
	v_cndmask_b32_e32 v0, v0, v1, vcc
; %bb.52:                               ;   in Loop: Header=BB200_14 Depth=1
	s_or_b64 exec, exec, s[22:23]
	v_cvt_f32_i32_e32 v1, v3
	v_add_u32_e32 v4, 2, v82
	v_mov_b32_e32 v5, v83
	v_lshl_add_u64 v[4:5], v[4:5], 1, s[10:11]
	v_add_f32_e32 v1, v2, v1
	global_store_short_d16_hi v[4:5], v0, off
	s_waitcnt vmcnt(7)
	v_lshlrev_b32_e32 v0, 16, v9
	v_add_f32_e32 v1, v1, v0
	v_and_b32_e32 v0, 0x7f800000, v1
	v_cmp_ne_u32_e32 vcc, s27, v0
                                        ; implicit-def: $vgpr0
	s_and_saveexec_b64 s[22:23], vcc
	s_xor_b64 s[22:23], exec, s[22:23]
; %bb.53:                               ;   in Loop: Header=BB200_14 Depth=1
	v_bfe_u32 v0, v1, 16, 1
	v_add3_u32 v0, v1, v0, s28
                                        ; implicit-def: $vgpr1
; %bb.54:                               ;   in Loop: Header=BB200_14 Depth=1
	s_andn2_saveexec_b64 s[22:23], s[22:23]
	s_cbranch_execz .LBB200_12
; %bb.55:                               ;   in Loop: Header=BB200_14 Depth=1
	v_or_b32_e32 v0, 0x10000, v1
	v_cmp_eq_u32_sdwa vcc, v1, v83 src0_sel:WORD_0 src1_sel:DWORD
	s_nop 1
	v_cndmask_b32_e32 v0, v0, v1, vcc
	s_branch .LBB200_12
.LBB200_56:
	s_endpgm
	.section	.rodata,"a",@progbits
	.p2align	6, 0x0
	.amdhsa_kernel _Z16wvSplitK_hf_sml_I14__hip_bfloat16Li32ELi4ELi16ELi8ELi2ELi2EEviiiiiiPKT_S3_S3_PS1_ii
		.amdhsa_group_segment_fixed_size 65536
		.amdhsa_private_segment_fixed_size 0
		.amdhsa_kernarg_size 64
		.amdhsa_user_sgpr_count 2
		.amdhsa_user_sgpr_dispatch_ptr 0
		.amdhsa_user_sgpr_queue_ptr 0
		.amdhsa_user_sgpr_kernarg_segment_ptr 1
		.amdhsa_user_sgpr_dispatch_id 0
		.amdhsa_user_sgpr_kernarg_preload_length 0
		.amdhsa_user_sgpr_kernarg_preload_offset 0
		.amdhsa_user_sgpr_private_segment_size 0
		.amdhsa_uses_dynamic_stack 0
		.amdhsa_enable_private_segment 0
		.amdhsa_system_sgpr_workgroup_id_x 1
		.amdhsa_system_sgpr_workgroup_id_y 0
		.amdhsa_system_sgpr_workgroup_id_z 0
		.amdhsa_system_sgpr_workgroup_info 0
		.amdhsa_system_vgpr_workitem_id 1
		.amdhsa_next_free_vgpr 96
		.amdhsa_next_free_sgpr 30
		.amdhsa_accum_offset 96
		.amdhsa_reserve_vcc 1
		.amdhsa_float_round_mode_32 0
		.amdhsa_float_round_mode_16_64 0
		.amdhsa_float_denorm_mode_32 3
		.amdhsa_float_denorm_mode_16_64 3
		.amdhsa_dx10_clamp 1
		.amdhsa_ieee_mode 1
		.amdhsa_fp16_overflow 0
		.amdhsa_tg_split 0
		.amdhsa_exception_fp_ieee_invalid_op 0
		.amdhsa_exception_fp_denorm_src 0
		.amdhsa_exception_fp_ieee_div_zero 0
		.amdhsa_exception_fp_ieee_overflow 0
		.amdhsa_exception_fp_ieee_underflow 0
		.amdhsa_exception_fp_ieee_inexact 0
		.amdhsa_exception_int_div_zero 0
	.end_amdhsa_kernel
	.section	.text._Z16wvSplitK_hf_sml_I14__hip_bfloat16Li32ELi4ELi16ELi8ELi2ELi2EEviiiiiiPKT_S3_S3_PS1_ii,"axG",@progbits,_Z16wvSplitK_hf_sml_I14__hip_bfloat16Li32ELi4ELi16ELi8ELi2ELi2EEviiiiiiPKT_S3_S3_PS1_ii,comdat
.Lfunc_end200:
	.size	_Z16wvSplitK_hf_sml_I14__hip_bfloat16Li32ELi4ELi16ELi8ELi2ELi2EEviiiiiiPKT_S3_S3_PS1_ii, .Lfunc_end200-_Z16wvSplitK_hf_sml_I14__hip_bfloat16Li32ELi4ELi16ELi8ELi2ELi2EEviiiiiiPKT_S3_S3_PS1_ii
                                        ; -- End function
	.section	.AMDGPU.csdata,"",@progbits
; Kernel info:
; codeLenInByte = 4044
; NumSgprs: 36
; NumVgprs: 96
; NumAgprs: 0
; TotalNumVgprs: 96
; ScratchSize: 0
; MemoryBound: 0
; FloatMode: 240
; IeeeMode: 1
; LDSByteSize: 65536 bytes/workgroup (compile time only)
; SGPRBlocks: 4
; VGPRBlocks: 11
; NumSGPRsForWavesPerEU: 36
; NumVGPRsForWavesPerEU: 96
; AccumOffset: 96
; Occupancy: 2
; WaveLimiterHint : 0
; COMPUTE_PGM_RSRC2:SCRATCH_EN: 0
; COMPUTE_PGM_RSRC2:USER_SGPR: 2
; COMPUTE_PGM_RSRC2:TRAP_HANDLER: 0
; COMPUTE_PGM_RSRC2:TGID_X_EN: 1
; COMPUTE_PGM_RSRC2:TGID_Y_EN: 0
; COMPUTE_PGM_RSRC2:TGID_Z_EN: 0
; COMPUTE_PGM_RSRC2:TIDIG_COMP_CNT: 1
; COMPUTE_PGM_RSRC3_GFX90A:ACCUM_OFFSET: 23
; COMPUTE_PGM_RSRC3_GFX90A:TG_SPLIT: 0
	.section	.text._Z12wvSplitK_hf_I14__hip_bfloat16Li32ELi4ELi16ELi8ELi2ELi2EEviiiiiiPKT_S3_S3_PS1_ii,"axG",@progbits,_Z12wvSplitK_hf_I14__hip_bfloat16Li32ELi4ELi16ELi8ELi2ELi2EEviiiiiiPKT_S3_S3_PS1_ii,comdat
	.protected	_Z12wvSplitK_hf_I14__hip_bfloat16Li32ELi4ELi16ELi8ELi2ELi2EEviiiiiiPKT_S3_S3_PS1_ii ; -- Begin function _Z12wvSplitK_hf_I14__hip_bfloat16Li32ELi4ELi16ELi8ELi2ELi2EEviiiiiiPKT_S3_S3_PS1_ii
	.globl	_Z12wvSplitK_hf_I14__hip_bfloat16Li32ELi4ELi16ELi8ELi2ELi2EEviiiiiiPKT_S3_S3_PS1_ii
	.p2align	8
	.type	_Z12wvSplitK_hf_I14__hip_bfloat16Li32ELi4ELi16ELi8ELi2ELi2EEviiiiiiPKT_S3_S3_PS1_ii,@function
_Z12wvSplitK_hf_I14__hip_bfloat16Li32ELi4ELi16ELi8ELi2ELi2EEviiiiiiPKT_S3_S3_PS1_ii: ; @_Z12wvSplitK_hf_I14__hip_bfloat16Li32ELi4ELi16ELi8ELi2ELi2EEviiiiiiPKT_S3_S3_PS1_ii
; %bb.0:
	s_load_dwordx2 s[8:9], s[0:1], 0x38
	s_load_dwordx2 s[20:21], s[0:1], 0x20
	s_load_dwordx4 s[12:15], s[0:1], 0x0
	s_load_dwordx2 s[22:23], s[0:1], 0x10
	v_bfe_u32 v8, v0, 10, 10
	s_waitcnt lgkmcnt(0)
	s_mul_i32 s2, s2, s8
	v_add_lshl_u32 v86, s2, v8, 2
	s_mov_b32 s4, 1
	v_add_u32_e32 v1, 4, v86
	s_mov_b32 s5, s4
	v_cmp_gt_u32_e32 vcc, s15, v86
	v_cmp_le_u32_e64 s[2:3], s15, v1
	s_mov_b32 s6, s4
	s_mov_b32 s7, s4
	v_mov_b64_e32 v[2:3], s[4:5]
	s_and_b64 s[10:11], vcc, s[2:3]
	v_mov_b64_e32 v[4:5], s[6:7]
	s_and_saveexec_b64 s[2:3], s[10:11]
	s_cbranch_execz .LBB201_6
; %bb.1:
	s_add_i32 s24, s15, -4
	v_mov_b64_e32 v[2:3], s[4:5]
	v_cmp_ne_u32_e32 vcc, s24, v86
	v_mov_b64_e32 v[4:5], s[6:7]
	s_and_saveexec_b64 s[10:11], vcc
	s_cbranch_execz .LBB201_5
; %bb.2:
	v_subrev_u32_e32 v1, s24, v86
	v_cmp_lt_u32_e32 vcc, 1, v1
	s_mov_b64 s[16:17], 0
	s_mov_b64 s[18:19], 0
	v_cndmask_b32_e32 v6, 1, v1, vcc
	s_mov_b32 s5, s4
	s_mov_b32 s6, s4
	s_mov_b32 s7, s4
.LBB201_3:                              ; =>This Inner Loop Header: Depth=1
	s_cmp_lg_u32 s18, 3
	s_cselect_b32 s7, s7, 0
	s_cmp_lg_u32 s18, 2
	s_cselect_b32 s6, s6, 0
	;; [unrolled: 2-line block ×4, first 2 shown]
	s_add_u32 s18, s18, 1
	s_addc_u32 s19, s19, 0
	v_cmp_eq_u32_e32 vcc, s18, v6
	v_mov_b64_e32 v[2:3], s[4:5]
	s_or_b64 s[16:17], vcc, s[16:17]
	v_mov_b64_e32 v[4:5], s[6:7]
	s_andn2_b64 exec, exec, s[16:17]
	s_cbranch_execnz .LBB201_3
; %bb.4:
	s_or_b64 exec, exec, s[16:17]
	v_mov_b32_e32 v86, s24
.LBB201_5:
	s_or_b64 exec, exec, s[10:11]
.LBB201_6:
	s_or_b64 exec, exec, s[2:3]
	v_and_b32_e32 v9, 0x3ff, v0
	v_lshlrev_b32_e32 v106, 3, v9
	s_lshl_b32 s2, s14, 1
	v_lshl_add_u32 v10, v8, 8, v106
	s_min_u32 s4, s2, 0x8000
	v_cmp_gt_u32_e32 vcc, s4, v10
	s_and_saveexec_b64 s[2:3], vcc
	s_cbranch_execz .LBB201_15
; %bb.7:
	v_lshlrev_b32_e32 v0, 1, v10
	global_load_dwordx4 v[12:15], v0, s[20:21]
	v_add_u32_e32 v1, 0x1000, v10
	v_cmp_gt_u32_e32 vcc, s4, v1
	s_waitcnt vmcnt(0)
	ds_write_b128 v0, v[12:15]
	s_and_saveexec_b64 s[6:7], vcc
	s_xor_b64 s[6:7], exec, s[6:7]
	s_cbranch_execz .LBB201_15
; %bb.8:
	v_mov_b32_e32 v1, 0
	v_lshl_add_u64 v[6:7], s[20:21], 0, v[0:1]
	v_add_co_u32_e32 v12, vcc, 0x2000, v6
	v_add_u32_e32 v1, 0x2000, v10
	s_nop 0
	v_addc_co_u32_e32 v13, vcc, 0, v7, vcc
	global_load_dwordx4 v[12:15], v[12:13], off
	v_cmp_gt_u32_e32 vcc, s4, v1
	s_waitcnt vmcnt(0)
	ds_write_b128 v0, v[12:15] offset:8192
	s_and_saveexec_b64 s[6:7], vcc
	s_xor_b64 s[6:7], exec, s[6:7]
	s_cbranch_execz .LBB201_15
; %bb.9:
	v_add_co_u32_e32 v12, vcc, 0x4000, v6
	v_add_u32_e32 v1, 0x3000, v10
	s_nop 0
	v_addc_co_u32_e32 v13, vcc, 0, v7, vcc
	global_load_dwordx4 v[12:15], v[12:13], off
	v_cmp_gt_u32_e32 vcc, s4, v1
	s_waitcnt vmcnt(0)
	ds_write_b128 v0, v[12:15] offset:16384
	s_and_saveexec_b64 s[6:7], vcc
	s_xor_b64 s[6:7], exec, s[6:7]
	s_cbranch_execz .LBB201_15
; %bb.10:
	;; [unrolled: 12-line block ×6, first 2 shown]
	v_add_co_u32_e32 v6, vcc, 0xe000, v6
	s_nop 1
	v_addc_co_u32_e32 v7, vcc, 0, v7, vcc
	global_load_dwordx4 v[10:13], v[6:7], off
	s_waitcnt vmcnt(0)
	ds_write_b128 v0, v[10:13] offset:57344
.LBB201_15:
	s_or_b64 exec, exec, s[2:3]
	v_cmp_gt_u32_e32 vcc, s8, v8
	v_cmp_gt_u32_e64 s[2:3], s15, v86
	s_and_b64 s[2:3], vcc, s[2:3]
	s_waitcnt lgkmcnt(0)
	s_barrier
	s_and_saveexec_b64 s[4:5], s[2:3]
	s_cbranch_execz .LBB201_98
; %bb.16:
	v_cvt_f32_u32_e32 v0, s22
	s_load_dwordx4 s[16:19], s[0:1], 0x28
	s_load_dwordx2 s[24:25], s[0:1], 0x18
	s_cmp_lg_u32 s12, 0
	s_cselect_b64 s[2:3], -1, 0
	v_rcp_iflag_f32_e32 v0, v0
	s_add_i32 s33, s12, -8
	s_add_i32 s40, s15, -1
	s_mul_i32 s4, s8, s9
	v_mul_f32_e32 v0, 0x4f7ffffe, v0
	v_cvt_u32_f32_e32 v0, v0
	s_waitcnt lgkmcnt(0)
	s_cmp_lg_u64 s[16:17], 0
	s_cselect_b64 s[28:29], -1, 0
	s_lshl_b32 s41, s4, 2
	s_sub_i32 s4, 0, s22
	v_mul_lo_u32 v1, s4, v0
	s_abs_i32 s4, s23
	s_add_i32 s42, s15, -4
	s_sub_i32 s5, 1, s4
	s_cmp_lt_u32 s4, 2
	s_cselect_b32 s5, s5, 1
	s_sub_i32 s6, s5, s4
	v_mul_hi_u32 v1, v0, v1
	s_cmp_ge_u32 s5, s4
	v_add_u32_e32 v107, v0, v1
	s_cselect_b32 s23, s6, s5
	v_cndmask_b32_e64 v0, 0, 1, s[2:3]
	v_cmp_eq_u32_e64 s[0:1], 31, v9
	s_mov_b64 s[26:27], 0
	v_mov_b32_e32 v1, 0
	s_mul_i32 s23, s23, s22
	v_cmp_ne_u32_e64 s[2:3], 1, v0
	s_movk_i32 s43, 0x7fff
	s_mov_b32 s44, 0x7f800000
	s_mov_b32 s30, 0
	s_branch .LBB201_19
.LBB201_17:                             ;   in Loop: Header=BB201_19 Depth=1
	s_or_b64 exec, exec, s[8:9]
	v_mov_b32_e32 v86, s42
.LBB201_18:                             ;   in Loop: Header=BB201_19 Depth=1
	s_or_b64 exec, exec, s[6:7]
	v_cmp_le_u32_e32 vcc, s15, v86
	s_or_b64 s[26:27], vcc, s[26:27]
	s_andn2_b64 exec, exec, s[26:27]
	s_cbranch_execz .LBB201_98
.LBB201_19:                             ; =>This Loop Header: Depth=1
                                        ;     Child Loop BB201_24 Depth 2
                                        ;     Child Loop BB201_96 Depth 2
	s_and_b64 vcc, exec, s[2:3]
	v_add_u32_e32 v92, 1, v86
	v_add_u32_e32 v90, 2, v86
	;; [unrolled: 1-line block ×3, first 2 shown]
	v_mov_b32_e32 v13, v1
	v_mov_b32_e32 v12, v1
	s_waitcnt vmcnt(0)
	v_mov_b32_e32 v11, v1
	v_mov_b32_e32 v10, v1
	;; [unrolled: 1-line block ×30, first 2 shown]
	s_cbranch_vccnz .LBB201_42
; %bb.20:                               ;   in Loop: Header=BB201_19 Depth=1
	v_min_u32_e32 v0, s40, v86
	v_min_u32_e32 v6, s40, v92
	;; [unrolled: 1-line block ×4, first 2 shown]
	v_mul_lo_u32 v0, v0, s13
	v_mul_lo_u32 v6, v6, s13
	v_mov_b32_e32 v7, v1
	v_mul_lo_u32 v8, v8, s13
	v_mov_b32_e32 v9, v1
	;; [unrolled: 2-line block ×3, first 2 shown]
	v_mov_b32_e32 v34, 0
	s_mov_b32 s4, 0
	v_lshlrev_b64 v[94:95], 1, v[0:1]
	v_lshlrev_b64 v[96:97], 1, v[6:7]
	;; [unrolled: 1-line block ×4, first 2 shown]
	s_mov_b32 s34, 0
	v_mov_b32_e32 v35, v34
	v_mov_b32_e32 v36, v34
	;; [unrolled: 1-line block ×31, first 2 shown]
	s_branch .LBB201_24
.LBB201_21:                             ;   in Loop: Header=BB201_24 Depth=2
	s_or_b64 exec, exec, s[10:11]
.LBB201_22:                             ;   in Loop: Header=BB201_24 Depth=2
	s_or_b64 exec, exec, s[8:9]
.LBB201_23:                             ;   in Loop: Header=BB201_24 Depth=2
	s_or_b64 exec, exec, s[6:7]
	s_waitcnt vmcnt(0) lgkmcnt(0)
	v_mfma_f32_4x4x4_16b_bf16 v[34:37], v[70:71], v[46:47], v[34:37]
	s_addk_i32 s34, 0x200
	v_mfma_f32_4x4x4_16b_bf16 v[30:33], v[70:71], v[42:43], v[30:33]
	s_cmp_ge_u32 s34, s12
	v_mfma_f32_4x4x4_16b_bf16 v[26:29], v[70:71], v[54:55], v[26:29]
	v_mfma_f32_4x4x4_16b_bf16 v[22:25], v[70:71], v[50:51], v[22:25]
	;; [unrolled: 1-line block ×30, first 2 shown]
	s_cbranch_scc1 .LBB201_42
.LBB201_24:                             ;   Parent Loop BB201_19 Depth=1
                                        ; =>  This Inner Loop Header: Depth=2
	v_add_u32_e32 v104, s34, v106
	v_min_u32_e32 v0, s33, v104
	v_lshl_add_u64 v[38:39], v[0:1], 1, s[24:25]
	v_lshl_add_u64 v[40:41], v[38:39], 0, v[94:95]
	v_add_u32_e32 v102, 0x100, v104
	v_lshl_add_u64 v[50:51], v[38:39], 0, v[96:97]
	global_load_dwordx4 v[46:49], v[40:41], off nt
	global_load_dwordx4 v[42:45], v[50:51], off nt
	v_lshl_add_u64 v[40:41], v[38:39], 0, v[98:99]
	v_lshl_add_u64 v[38:39], v[38:39], 0, v[100:101]
	v_min_u32_e32 v0, s33, v102
	global_load_dwordx4 v[54:57], v[40:41], off nt
	global_load_dwordx4 v[50:53], v[38:39], off nt
	v_lshl_add_u64 v[38:39], v[0:1], 1, s[24:25]
	v_lshl_add_u64 v[40:41], v[38:39], 0, v[94:95]
	;; [unrolled: 1-line block ×4, first 2 shown]
	global_load_dwordx4 v[62:65], v[40:41], off nt
	global_load_dwordx4 v[58:61], v[66:67], off nt
	v_lshl_add_u64 v[72:73], v[38:39], 0, v[100:101]
	global_load_dwordx4 v[66:69], v[70:71], off nt
	global_load_dwordx4 v[38:41], v[72:73], off nt
	s_mov_b32 s5, s4
	v_cmp_gt_u32_e32 vcc, s12, v104
	v_mov_b64_e32 v[70:71], s[4:5]
	v_mov_b32_e32 v83, 0
	v_mov_b32_e32 v82, 0
	;; [unrolled: 1-line block ×4, first 2 shown]
	v_mov_b64_e32 v[72:73], s[4:5]
	v_mov_b64_e32 v[78:79], s[4:5]
	;; [unrolled: 1-line block ×5, first 2 shown]
	s_and_saveexec_b64 s[6:7], vcc
	s_cbranch_execz .LBB201_23
; %bb.25:                               ;   in Loop: Header=BB201_24 Depth=2
	v_cmp_lt_u32_e32 vcc, s43, v104
                                        ; implicit-def: $vgpr70_vgpr71
	s_and_saveexec_b64 s[8:9], vcc
	s_xor_b64 s[8:9], exec, s[8:9]
	s_cbranch_execz .LBB201_27
; %bb.26:                               ;   in Loop: Header=BB201_24 Depth=2
	v_mov_b32_e32 v105, v1
	v_lshl_add_u64 v[70:71], v[104:105], 1, s[20:21]
	global_load_dwordx4 v[70:73], v[70:71], off
.LBB201_27:                             ;   in Loop: Header=BB201_24 Depth=2
	s_andn2_saveexec_b64 s[8:9], s[8:9]
	s_cbranch_execz .LBB201_29
; %bb.28:                               ;   in Loop: Header=BB201_24 Depth=2
	v_lshlrev_b32_e32 v0, 1, v104
	s_waitcnt vmcnt(0)
	ds_read_b128 v[70:73], v0
.LBB201_29:                             ;   in Loop: Header=BB201_24 Depth=2
	s_or_b64 exec, exec, s[8:9]
	v_add_u32_e32 v0, s14, v104
	v_cmp_lt_u32_e32 vcc, s43, v0
                                        ; implicit-def: $vgpr74_vgpr75
	s_and_saveexec_b64 s[8:9], vcc
	s_xor_b64 s[8:9], exec, s[8:9]
	s_cbranch_execz .LBB201_31
; %bb.30:                               ;   in Loop: Header=BB201_24 Depth=2
	v_lshl_add_u64 v[74:75], v[0:1], 1, s[20:21]
	global_load_dwordx4 v[74:77], v[74:75], off
.LBB201_31:                             ;   in Loop: Header=BB201_24 Depth=2
	s_andn2_saveexec_b64 s[8:9], s[8:9]
	s_cbranch_execz .LBB201_33
; %bb.32:                               ;   in Loop: Header=BB201_24 Depth=2
	s_waitcnt vmcnt(0)
	v_lshlrev_b32_e32 v74, 1, v0
	ds_read_b128 v[74:77], v74
.LBB201_33:                             ;   in Loop: Header=BB201_24 Depth=2
	s_or_b64 exec, exec, s[8:9]
	s_mov_b32 s31, s30
	v_cmp_gt_u32_e32 vcc, s12, v102
	v_mov_b32_e32 v83, 0
	v_mov_b64_e32 v[78:79], s[30:31]
	v_mov_b32_e32 v82, 0
	v_mov_b32_e32 v85, 0
	;; [unrolled: 1-line block ×3, first 2 shown]
	v_mov_b64_e32 v[80:81], s[30:31]
	s_and_saveexec_b64 s[8:9], vcc
	s_cbranch_execz .LBB201_22
; %bb.34:                               ;   in Loop: Header=BB201_24 Depth=2
	v_cmp_lt_u32_e32 vcc, s43, v102
                                        ; implicit-def: $vgpr78_vgpr79
	s_and_saveexec_b64 s[10:11], vcc
	s_xor_b64 s[10:11], exec, s[10:11]
	s_cbranch_execz .LBB201_36
; %bb.35:                               ;   in Loop: Header=BB201_24 Depth=2
	v_mov_b32_e32 v103, v1
	v_lshl_add_u64 v[78:79], v[102:103], 1, s[20:21]
	global_load_dwordx4 v[78:81], v[78:79], off
                                        ; implicit-def: $vgpr104
.LBB201_36:                             ;   in Loop: Header=BB201_24 Depth=2
	s_andn2_saveexec_b64 s[10:11], s[10:11]
	s_cbranch_execz .LBB201_38
; %bb.37:                               ;   in Loop: Header=BB201_24 Depth=2
	s_waitcnt vmcnt(0)
	v_lshlrev_b32_e32 v78, 1, v104
	ds_read_b128 v[78:81], v78 offset:512
.LBB201_38:                             ;   in Loop: Header=BB201_24 Depth=2
	s_or_b64 exec, exec, s[10:11]
	v_add_u32_e32 v82, s14, v102
	v_cmp_lt_u32_e32 vcc, s43, v82
                                        ; implicit-def: $vgpr83
	s_and_saveexec_b64 s[10:11], vcc
	s_xor_b64 s[10:11], exec, s[10:11]
	s_cbranch_execz .LBB201_40
; %bb.39:                               ;   in Loop: Header=BB201_24 Depth=2
	v_mov_b32_e32 v83, v1
	v_lshl_add_u64 v[82:83], v[82:83], 1, s[20:21]
	global_load_dwordx4 v[82:85], v[82:83], off
.LBB201_40:                             ;   in Loop: Header=BB201_24 Depth=2
	s_andn2_saveexec_b64 s[10:11], s[10:11]
	s_cbranch_execz .LBB201_21
; %bb.41:                               ;   in Loop: Header=BB201_24 Depth=2
	v_lshlrev_b32_e32 v0, 1, v0
	s_waitcnt vmcnt(0)
	ds_read_b128 v[82:85], v0 offset:512
	s_branch .LBB201_21
.LBB201_42:                             ;   in Loop: Header=BB201_19 Depth=1
	v_cvt_i32_f32_e32 v0, v35
	v_cvt_i32_f32_e32 v35, v36
	;; [unrolled: 1-line block ×4, first 2 shown]
	v_cvt_f32_i32_dpp v0, v0 row_shl:1 row_mask:0xf bank_mask:0xf bound_ctrl:1
	v_cvt_f32_i32_dpp v35, v35 row_shl:2 row_mask:0xf bank_mask:0xf bound_ctrl:1
	;; [unrolled: 1-line block ×3, first 2 shown]
	v_cvt_i32_f32_e32 v32, v32
	v_add_f32_e32 v0, v34, v0
	v_add_f32_e32 v0, v0, v35
	;; [unrolled: 1-line block ×3, first 2 shown]
	v_cvt_i32_f32_e32 v34, v0
	v_cvt_i32_f32_e32 v33, v33
	v_cvt_f32_i32_dpp v31, v31 row_shl:1 row_mask:0xf bank_mask:0xf bound_ctrl:1
	v_cvt_f32_i32_dpp v32, v32 row_shl:2 row_mask:0xf bank_mask:0xf bound_ctrl:1
	;; [unrolled: 1-line block ×4, first 2 shown]
	v_add_f32_e32 v30, v30, v31
	v_add_f32_e32 v30, v30, v32
	;; [unrolled: 1-line block ×3, first 2 shown]
	v_cvt_i32_f32_e32 v34, v0
	v_cvt_i32_f32_e32 v27, v27
	v_add_f32_e32 v30, v30, v33
	v_cvt_i32_f32_e32 v28, v28
	v_cvt_f32_i32_dpp v31, v34 row_shl:8 row_mask:0xf bank_mask:0xf bound_ctrl:1
	v_cvt_i32_f32_e32 v32, v30
	v_cvt_i32_f32_e32 v29, v29
	v_cvt_f32_i32_dpp v27, v27 row_shl:1 row_mask:0xf bank_mask:0xf bound_ctrl:1
	v_add_f32_e32 v0, v0, v31
	v_cvt_i32_f32_e32 v0, v0
	v_cvt_f32_i32_dpp v28, v28 row_shl:2 row_mask:0xf bank_mask:0xf bound_ctrl:1
	v_cvt_f32_i32_dpp v31, v32 row_shl:4 row_mask:0xf bank_mask:0xf bound_ctrl:1
	v_cvt_f32_i32_dpp v29, v29 row_shl:3 row_mask:0xf bank_mask:0xf bound_ctrl:1
	v_cvt_f32_i32_dpp v0, v0 row_shr:15 row_mask:0xf bank_mask:0xf bound_ctrl:1
	v_add_f32_e32 v26, v26, v27
	v_add_f32_e32 v27, v30, v31
	;; [unrolled: 1-line block ×3, first 2 shown]
	v_cvt_i32_f32_e32 v23, v23
	v_cvt_i32_f32_e32 v30, v27
	v_add_f32_e32 v28, v26, v29
	v_cvt_i32_f32_e32 v24, v24
	v_cvt_i32_f32_e32 v31, v0
	;; [unrolled: 1-line block ×4, first 2 shown]
	v_cvt_f32_i32_dpp v23, v23 row_shl:1 row_mask:0xf bank_mask:0xf bound_ctrl:1
	v_cvt_f32_i32_dpp v29, v30 row_shl:8 row_mask:0xf bank_mask:0xf bound_ctrl:1
	;; [unrolled: 1-line block ×3, first 2 shown]
	v_cvt_f32_i32_dpp v30, v31 row_bcast:15 row_mask:0xf bank_mask:0xf bound_ctrl:1
	v_cvt_f32_i32_dpp v31, v26 row_shl:4 row_mask:0xf bank_mask:0xf bound_ctrl:1
	v_cvt_f32_i32_dpp v25, v25 row_shl:3 row_mask:0xf bank_mask:0xf bound_ctrl:1
	v_add_f32_e32 v22, v22, v23
	v_add_f32_e32 v27, v27, v29
	;; [unrolled: 1-line block ×4, first 2 shown]
	v_cvt_i32_f32_e32 v0, v27
	v_add_f32_e32 v27, v28, v31
	v_add_f32_e32 v22, v22, v25
	v_cvt_i32_f32_e32 v28, v27
	v_cvt_i32_f32_e32 v23, v22
	v_cvt_f32_i32_dpp v0, v0 row_shr:15 row_mask:0xf bank_mask:0xf bound_ctrl:1
	v_cvt_i32_f32_e32 v7, v7
	v_cvt_f32_i32_dpp v28, v28 row_shl:8 row_mask:0xf bank_mask:0xf bound_ctrl:1
	v_cvt_f32_i32_dpp v23, v23 row_shl:4 row_mask:0xf bank_mask:0xf bound_ctrl:1
	v_cvt_i32_f32_e32 v19, v19
	v_cvt_i32_f32_e32 v8, v8
	v_add_f32_e32 v24, v27, v28
	v_add_f32_e32 v28, v22, v23
	v_cvt_i32_f32_e32 v27, v0
	v_cvt_i32_f32_e32 v22, v28
	;; [unrolled: 1-line block ×4, first 2 shown]
	v_cvt_f32_i32_dpp v27, v27 row_bcast:15 row_mask:0xf bank_mask:0xf bound_ctrl:1
	v_cvt_f32_i32_dpp v29, v22 row_shl:8 row_mask:0xf bank_mask:0xf bound_ctrl:1
	v_cvt_i32_f32_e32 v21, v21
	v_cvt_i32_f32_e32 v25, v26
	v_cvt_f32_i32_dpp v24, v24 row_shr:15 row_mask:0xf bank_mask:0xf bound_ctrl:1
	v_cvt_f32_i32_dpp v7, v7 row_shl:1 row_mask:0xf bank_mask:0xf bound_ctrl:1
	v_cvt_f32_i32_dpp v19, v19 row_shl:1 row_mask:0xf bank_mask:0xf bound_ctrl:1
	v_cvt_i32_f32_e32 v15, v15
	v_cvt_f32_i32_dpp v8, v8 row_shl:2 row_mask:0xf bank_mask:0xf bound_ctrl:1
	v_cvt_i32_f32_e32 v9, v9
	;; [unrolled: 2-line block ×3, first 2 shown]
	v_add_f32_e32 v22, v0, v27
	v_add_f32_e32 v27, v28, v29
	v_cvt_f32_i32_dpp v21, v21 row_shl:3 row_mask:0xf bank_mask:0xf bound_ctrl:1
	v_cvt_i32_f32_e32 v17, v17
	v_mov_b32_dpp v23, v25 row_bcast:31 row_mask:0xf bank_mask:0xf bound_ctrl:1
	v_cvt_i32_f32_e32 v25, v24
	v_cvt_i32_f32_e32 v27, v27
	v_add_f32_e32 v6, v6, v7
	v_add_f32_e32 v18, v18, v19
	v_cvt_f32_i32_dpp v15, v15 row_shl:1 row_mask:0xf bank_mask:0xf bound_ctrl:1
	v_add_f32_e32 v6, v6, v8
	v_cvt_f32_i32_dpp v7, v9 row_shl:3 row_mask:0xf bank_mask:0xf bound_ctrl:1
	v_cvt_i32_f32_e32 v8, v11
	v_add_f32_e32 v18, v18, v20
	v_cvt_f32_i32_dpp v16, v16 row_shl:2 row_mask:0xf bank_mask:0xf bound_ctrl:1
	v_cvt_i32_f32_e32 v9, v12
	;; [unrolled: 3-line block ×3, first 2 shown]
	v_cvt_f32_i32_dpp v25, v25 row_bcast:15 row_mask:0xf bank_mask:0xf bound_ctrl:1
	v_cvt_f32_i32_dpp v27, v27 row_shr:15 row_mask:0xf bank_mask:0xf bound_ctrl:1
	v_cvt_i32_f32_e32 v18, v21
	v_add_f32_e32 v14, v14, v15
	v_add_f32_e32 v6, v6, v7
	v_cvt_f32_i32_dpp v7, v8 row_shl:1 row_mask:0xf bank_mask:0xf bound_ctrl:1
	v_add_f32_e32 v14, v14, v16
	v_cvt_f32_i32_dpp v8, v9 row_shl:2 row_mask:0xf bank_mask:0xf bound_ctrl:1
	;; [unrolled: 2-line block ×3, first 2 shown]
	v_cvt_i32_f32_e32 v0, v22
	v_cvt_i32_f32_e32 v28, v27
	v_add_f32_e32 v19, v24, v25
	v_cvt_f32_i32_dpp v24, v18 row_shl:4 row_mask:0xf bank_mask:0xf bound_ctrl:1
	v_cvt_i32_f32_e32 v16, v15
	v_add_f32_e32 v7, v10, v7
	v_add_f32_e32 v7, v7, v8
	;; [unrolled: 1-line block ×3, first 2 shown]
	v_mov_b32_dpp v20, v0 row_bcast:31 row_mask:0xf bank_mask:0xf bound_ctrl:1
	v_cvt_f32_i32_dpp v0, v28 row_bcast:15 row_mask:0xf bank_mask:0xf bound_ctrl:1
	v_add_f32_e32 v21, v21, v24
	v_cvt_f32_i32_dpp v16, v16 row_shl:4 row_mask:0xf bank_mask:0xf bound_ctrl:1
	v_cvt_i32_f32_e32 v11, v6
	v_cvt_i32_f32_e32 v8, v7
	;; [unrolled: 1-line block ×3, first 2 shown]
	v_add_f32_e32 v18, v27, v0
	v_add_f32_e32 v15, v15, v16
	v_cvt_f32_i32_dpp v10, v11 row_shl:4 row_mask:0xf bank_mask:0xf bound_ctrl:1
	v_cvt_f32_i32_dpp v8, v8 row_shl:4 row_mask:0xf bank_mask:0xf bound_ctrl:1
	v_cvt_i32_f32_e32 v0, v18
	v_cvt_f32_i32_dpp v24, v24 row_shl:8 row_mask:0xf bank_mask:0xf bound_ctrl:1
	v_cvt_i32_f32_e32 v16, v15
	v_add_f32_e32 v6, v6, v10
	v_add_f32_e32 v7, v7, v8
	v_mov_b32_dpp v14, v0 row_bcast:31 row_mask:0xf bank_mask:0xf bound_ctrl:1
	v_add_f32_e32 v0, v21, v24
	v_cvt_f32_i32_dpp v9, v16 row_shl:8 row_mask:0xf bank_mask:0xf bound_ctrl:1
	v_cvt_i32_f32_e32 v10, v6
	v_cvt_i32_f32_e32 v8, v7
	;; [unrolled: 1-line block ×3, first 2 shown]
	v_add_f32_e32 v9, v15, v9
	v_cvt_f32_i32_dpp v10, v10 row_shl:8 row_mask:0xf bank_mask:0xf bound_ctrl:1
	v_cvt_f32_i32_dpp v8, v8 row_shl:8 row_mask:0xf bank_mask:0xf bound_ctrl:1
	v_cvt_f32_i32_dpp v0, v0 row_shr:15 row_mask:0xf bank_mask:0xf bound_ctrl:1
	v_cvt_i32_f32_e32 v9, v9
	v_add_f32_e32 v6, v6, v10
	v_add_f32_e32 v7, v7, v8
	v_cvt_i32_f32_e32 v11, v0
	v_cvt_f32_i32_dpp v9, v9 row_shr:15 row_mask:0xf bank_mask:0xf bound_ctrl:1
	v_cvt_i32_f32_e32 v6, v6
	v_cvt_i32_f32_e32 v7, v7
	v_cvt_f32_i32_dpp v8, v11 row_bcast:15 row_mask:0xf bank_mask:0xf bound_ctrl:1
	v_cvt_i32_f32_e32 v10, v9
	v_cvt_f32_i32_dpp v6, v6 row_shr:15 row_mask:0xf bank_mask:0xf bound_ctrl:1
	v_cvt_f32_i32_dpp v7, v7 row_shr:15 row_mask:0xf bank_mask:0xf bound_ctrl:1
	v_add_f32_e32 v13, v0, v8
	v_cvt_f32_i32_dpp v8, v10 row_bcast:15 row_mask:0xf bank_mask:0xf bound_ctrl:1
	v_cvt_i32_f32_e32 v0, v6
	v_cvt_i32_f32_e32 v11, v7
	;; [unrolled: 1-line block ×3, first 2 shown]
	v_add_f32_e32 v10, v9, v8
	v_cvt_f32_i32_dpp v0, v0 row_bcast:15 row_mask:0xf bank_mask:0xf bound_ctrl:1
	v_cvt_f32_i32_dpp v9, v11 row_bcast:15 row_mask:0xf bank_mask:0xf bound_ctrl:1
	v_cvt_i32_f32_e32 v12, v13
	v_cvt_i32_f32_e32 v11, v10
	v_add_f32_e32 v8, v6, v0
	v_add_f32_e32 v6, v7, v9
	v_cvt_i32_f32_e32 v0, v8
	v_cvt_i32_f32_e32 v7, v6
	v_mov_b32_dpp v17, v25 row_bcast:31 row_mask:0xf bank_mask:0xf bound_ctrl:1
	v_mov_b32_dpp v16, v12 row_bcast:31 row_mask:0xf bank_mask:0xf bound_ctrl:1
	;; [unrolled: 1-line block ×5, first 2 shown]
	s_and_saveexec_b64 s[34:35], s[0:1]
	s_cbranch_execz .LBB201_93
; %bb.43:                               ;   in Loop: Header=BB201_19 Depth=1
	s_andn2_b64 vcc, exec, s[28:29]
	v_mov_b32_e32 v28, 0
	v_mov_b32_e32 v27, 0
	;; [unrolled: 1-line block ×8, first 2 shown]
	s_cbranch_vccnz .LBB201_45
; %bb.44:                               ;   in Loop: Header=BB201_19 Depth=1
	v_mul_hi_u32 v0, v86, v107
	v_mul_lo_u32 v0, v0, s22
	v_sub_u32_e32 v0, v86, v0
	v_subrev_u32_e32 v11, s22, v0
	v_cmp_le_u32_e32 vcc, s22, v0
	v_mov_b32_e32 v25, v1
	v_mov_b32_e32 v29, v1
	v_cndmask_b32_e32 v0, v0, v11, vcc
	v_subrev_u32_e32 v11, s22, v0
	v_cmp_le_u32_e32 vcc, s22, v0
	v_mov_b32_e32 v37, v1
	s_nop 0
	v_cndmask_b32_e32 v0, v0, v11, vcc
	v_mul_hi_u32 v11, v92, v107
	v_mul_lo_u32 v11, v11, s22
	v_sub_u32_e32 v11, v92, v11
	v_subrev_u32_e32 v15, s22, v11
	v_cmp_le_u32_e32 vcc, s22, v11
	v_lshl_add_u64 v[30:31], v[0:1], 1, s[16:17]
	v_add_u32_e32 v0, s23, v0
	v_cndmask_b32_e32 v11, v11, v15, vcc
	v_subrev_u32_e32 v15, s22, v11
	v_cmp_le_u32_e32 vcc, s22, v11
	v_lshl_add_u64 v[40:41], v[0:1], 1, s[16:17]
	s_nop 0
	v_cndmask_b32_e32 v24, v11, v15, vcc
	v_mul_hi_u32 v11, v90, v107
	v_mul_lo_u32 v11, v11, s22
	v_sub_u32_e32 v11, v90, v11
	v_subrev_u32_e32 v15, s22, v11
	v_cmp_le_u32_e32 vcc, s22, v11
	v_add_u32_e32 v0, s23, v24
	v_lshl_add_u64 v[42:43], v[0:1], 1, s[16:17]
	v_cndmask_b32_e32 v11, v11, v15, vcc
	v_subrev_u32_e32 v15, s22, v11
	v_cmp_le_u32_e32 vcc, s22, v11
	v_lshl_add_u64 v[32:33], v[24:25], 1, s[16:17]
	s_nop 0
	v_cndmask_b32_e32 v28, v11, v15, vcc
	v_mul_hi_u32 v11, v88, v107
	v_mul_lo_u32 v11, v11, s22
	v_sub_u32_e32 v11, v88, v11
	v_subrev_u32_e32 v15, s22, v11
	v_cmp_le_u32_e32 vcc, s22, v11
	v_add_u32_e32 v0, s23, v28
	v_lshl_add_u64 v[44:45], v[0:1], 1, s[16:17]
	v_cndmask_b32_e32 v11, v11, v15, vcc
	v_subrev_u32_e32 v15, s22, v11
	v_cmp_le_u32_e32 vcc, s22, v11
	v_lshl_add_u64 v[34:35], v[28:29], 1, s[16:17]
	s_nop 0
	v_cndmask_b32_e32 v36, v11, v15, vcc
	v_add_u32_e32 v0, s23, v36
	v_lshl_add_u64 v[38:39], v[36:37], 1, s[16:17]
	v_lshl_add_u64 v[36:37], v[0:1], 1, s[16:17]
	global_load_ushort v28, v[30:31], off
	global_load_ushort v27, v[32:33], off
	;; [unrolled: 1-line block ×8, first 2 shown]
.LBB201_45:                             ;   in Loop: Header=BB201_19 Depth=1
	v_cmp_ne_u32_e32 vcc, 0, v2
	s_and_saveexec_b64 s[6:7], vcc
	s_cbranch_execnz .LBB201_53
; %bb.46:                               ;   in Loop: Header=BB201_19 Depth=1
	s_or_b64 exec, exec, s[6:7]
	v_cmp_ne_u32_e64 s[4:5], 0, v3
	s_and_saveexec_b64 s[8:9], s[4:5]
	s_cbranch_execnz .LBB201_58
.LBB201_47:                             ;   in Loop: Header=BB201_19 Depth=1
	s_or_b64 exec, exec, s[8:9]
	v_cmp_ne_u32_e64 s[6:7], 0, v4
	s_and_saveexec_b64 s[10:11], s[6:7]
	s_cbranch_execnz .LBB201_63
.LBB201_48:                             ;   in Loop: Header=BB201_19 Depth=1
	s_or_b64 exec, exec, s[10:11]
	v_cmp_ne_u32_e64 s[8:9], 0, v5
	s_and_saveexec_b64 s[36:37], s[8:9]
	s_cbranch_execnz .LBB201_68
.LBB201_49:                             ;   in Loop: Header=BB201_19 Depth=1
	s_or_b64 exec, exec, s[36:37]
	s_waitcnt vmcnt(4)
	v_add_u32_e32 v0, s15, v86
	s_and_saveexec_b64 s[10:11], vcc
	s_cbranch_execnz .LBB201_73
.LBB201_50:                             ;   in Loop: Header=BB201_19 Depth=1
	s_or_b64 exec, exec, s[10:11]
	s_and_saveexec_b64 s[10:11], s[4:5]
	s_cbranch_execnz .LBB201_78
.LBB201_51:                             ;   in Loop: Header=BB201_19 Depth=1
	s_or_b64 exec, exec, s[10:11]
	s_and_saveexec_b64 s[4:5], s[6:7]
	s_cbranch_execnz .LBB201_83
.LBB201_52:                             ;   in Loop: Header=BB201_19 Depth=1
	s_or_b64 exec, exec, s[4:5]
	s_and_b64 exec, exec, s[8:9]
	s_cbranch_execnz .LBB201_88
	s_branch .LBB201_93
.LBB201_53:                             ;   in Loop: Header=BB201_19 Depth=1
	v_cvt_f32_i32_e32 v23, v23
	v_add_f32_e32 v23, v26, v23
	s_waitcnt vmcnt(7)
	v_lshlrev_b32_e32 v26, 16, v28
	v_add_f32_e32 v26, v23, v26
	v_and_b32_e32 v23, 0x7f800000, v26
	v_cmp_ne_u32_e64 s[4:5], s44, v23
                                        ; implicit-def: $vgpr23
	s_and_saveexec_b64 s[8:9], s[4:5]
	s_xor_b64 s[4:5], exec, s[8:9]
; %bb.54:                               ;   in Loop: Header=BB201_19 Depth=1
	v_bfe_u32 v23, v26, 16, 1
	v_add3_u32 v23, v26, v23, s43
                                        ; implicit-def: $vgpr26
; %bb.55:                               ;   in Loop: Header=BB201_19 Depth=1
	s_andn2_saveexec_b64 s[8:9], s[4:5]
; %bb.56:                               ;   in Loop: Header=BB201_19 Depth=1
	v_or_b32_e32 v23, 0x10000, v26
	v_cmp_eq_u32_sdwa s[4:5], v26, v1 src0_sel:WORD_0 src1_sel:DWORD
	s_nop 1
	v_cndmask_b32_e64 v23, v23, v26, s[4:5]
; %bb.57:                               ;   in Loop: Header=BB201_19 Depth=1
	s_or_b64 exec, exec, s[8:9]
	v_mov_b32_e32 v87, v1
	v_lshl_add_u64 v[28:29], v[86:87], 1, s[18:19]
	global_store_short_d16_hi v[28:29], v23, off
	s_or_b64 exec, exec, s[6:7]
	v_cmp_ne_u32_e64 s[4:5], 0, v3
	s_and_saveexec_b64 s[8:9], s[4:5]
	s_cbranch_execz .LBB201_47
.LBB201_58:                             ;   in Loop: Header=BB201_19 Depth=1
	v_cvt_f32_i32_e32 v20, v20
	v_add_f32_e32 v20, v22, v20
	s_waitcnt vmcnt(6)
	v_lshlrev_b32_e32 v22, 16, v27
	v_add_f32_e32 v22, v20, v22
	v_and_b32_e32 v20, 0x7f800000, v22
	v_cmp_ne_u32_e64 s[6:7], s44, v20
                                        ; implicit-def: $vgpr20
	s_and_saveexec_b64 s[10:11], s[6:7]
	s_xor_b64 s[6:7], exec, s[10:11]
; %bb.59:                               ;   in Loop: Header=BB201_19 Depth=1
	v_bfe_u32 v20, v22, 16, 1
	v_add3_u32 v20, v22, v20, s43
                                        ; implicit-def: $vgpr22
; %bb.60:                               ;   in Loop: Header=BB201_19 Depth=1
	s_andn2_saveexec_b64 s[10:11], s[6:7]
; %bb.61:                               ;   in Loop: Header=BB201_19 Depth=1
	v_or_b32_e32 v20, 0x10000, v22
	v_cmp_eq_u32_sdwa s[6:7], v22, v1 src0_sel:WORD_0 src1_sel:DWORD
	s_nop 1
	v_cndmask_b32_e64 v20, v20, v22, s[6:7]
; %bb.62:                               ;   in Loop: Header=BB201_19 Depth=1
	s_or_b64 exec, exec, s[10:11]
	v_mov_b32_e32 v93, v1
	v_lshl_add_u64 v[22:23], v[92:93], 1, s[18:19]
	global_store_short_d16_hi v[22:23], v20, off
	s_or_b64 exec, exec, s[8:9]
	v_cmp_ne_u32_e64 s[6:7], 0, v4
	s_and_saveexec_b64 s[10:11], s[6:7]
	s_cbranch_execz .LBB201_48
.LBB201_63:                             ;   in Loop: Header=BB201_19 Depth=1
	v_cvt_f32_i32_e32 v17, v17
	v_add_f32_e32 v17, v19, v17
	s_waitcnt vmcnt(5)
	v_lshlrev_b32_e32 v19, 16, v25
	v_add_f32_e32 v19, v17, v19
	v_and_b32_e32 v17, 0x7f800000, v19
	v_cmp_ne_u32_e64 s[8:9], s44, v17
                                        ; implicit-def: $vgpr17
	s_and_saveexec_b64 s[36:37], s[8:9]
	s_xor_b64 s[8:9], exec, s[36:37]
; %bb.64:                               ;   in Loop: Header=BB201_19 Depth=1
	v_bfe_u32 v17, v19, 16, 1
	v_add3_u32 v17, v19, v17, s43
                                        ; implicit-def: $vgpr19
; %bb.65:                               ;   in Loop: Header=BB201_19 Depth=1
	s_andn2_saveexec_b64 s[36:37], s[8:9]
; %bb.66:                               ;   in Loop: Header=BB201_19 Depth=1
	v_or_b32_e32 v17, 0x10000, v19
	v_cmp_eq_u32_sdwa s[8:9], v19, v1 src0_sel:WORD_0 src1_sel:DWORD
	s_nop 1
	v_cndmask_b32_e64 v17, v17, v19, s[8:9]
; %bb.67:                               ;   in Loop: Header=BB201_19 Depth=1
	s_or_b64 exec, exec, s[36:37]
	v_mov_b32_e32 v91, v1
	v_lshl_add_u64 v[22:23], v[90:91], 1, s[18:19]
	global_store_short_d16_hi v[22:23], v17, off
	s_or_b64 exec, exec, s[10:11]
	v_cmp_ne_u32_e64 s[8:9], 0, v5
	s_and_saveexec_b64 s[36:37], s[8:9]
	s_cbranch_execz .LBB201_49
.LBB201_68:                             ;   in Loop: Header=BB201_19 Depth=1
	v_cvt_f32_i32_e32 v14, v14
	s_waitcnt vmcnt(4)
	v_lshlrev_b32_e32 v0, 16, v0
	v_add_f32_e32 v14, v18, v14
	v_add_f32_e32 v14, v14, v0
	v_and_b32_e32 v0, 0x7f800000, v14
	v_cmp_ne_u32_e64 s[10:11], s44, v0
                                        ; implicit-def: $vgpr0
	s_and_saveexec_b64 s[38:39], s[10:11]
	s_xor_b64 s[10:11], exec, s[38:39]
; %bb.69:                               ;   in Loop: Header=BB201_19 Depth=1
	v_bfe_u32 v0, v14, 16, 1
	v_add3_u32 v0, v14, v0, s43
                                        ; implicit-def: $vgpr14
; %bb.70:                               ;   in Loop: Header=BB201_19 Depth=1
	s_andn2_saveexec_b64 s[38:39], s[10:11]
; %bb.71:                               ;   in Loop: Header=BB201_19 Depth=1
	v_or_b32_e32 v0, 0x10000, v14
	v_cmp_eq_u32_sdwa s[10:11], v14, v1 src0_sel:WORD_0 src1_sel:DWORD
	s_nop 1
	v_cndmask_b32_e64 v0, v0, v14, s[10:11]
; %bb.72:                               ;   in Loop: Header=BB201_19 Depth=1
	s_or_b64 exec, exec, s[38:39]
	v_mov_b32_e32 v89, v1
	v_lshl_add_u64 v[18:19], v[88:89], 1, s[18:19]
	global_store_short_d16_hi v[18:19], v0, off
	s_or_b64 exec, exec, s[36:37]
	v_add_u32_e32 v0, s15, v86
	s_and_saveexec_b64 s[10:11], vcc
	s_cbranch_execz .LBB201_50
.LBB201_73:                             ;   in Loop: Header=BB201_19 Depth=1
	v_cvt_f32_i32_e32 v14, v16
	v_add_f32_e32 v13, v13, v14
	s_waitcnt vmcnt(3)
	v_lshlrev_b32_e32 v14, 16, v24
	v_add_f32_e32 v14, v13, v14
	v_and_b32_e32 v13, 0x7f800000, v14
	v_cmp_ne_u32_e32 vcc, s44, v13
                                        ; implicit-def: $vgpr13
	s_and_saveexec_b64 s[36:37], vcc
	s_xor_b64 s[36:37], exec, s[36:37]
; %bb.74:                               ;   in Loop: Header=BB201_19 Depth=1
	v_bfe_u32 v13, v14, 16, 1
	v_add3_u32 v13, v14, v13, s43
                                        ; implicit-def: $vgpr14
; %bb.75:                               ;   in Loop: Header=BB201_19 Depth=1
	s_andn2_saveexec_b64 s[36:37], s[36:37]
; %bb.76:                               ;   in Loop: Header=BB201_19 Depth=1
	v_or_b32_e32 v13, 0x10000, v14
	v_cmp_eq_u32_sdwa vcc, v14, v1 src0_sel:WORD_0 src1_sel:DWORD
	s_nop 1
	v_cndmask_b32_e32 v13, v13, v14, vcc
; %bb.77:                               ;   in Loop: Header=BB201_19 Depth=1
	s_or_b64 exec, exec, s[36:37]
	v_lshl_add_u64 v[16:17], v[0:1], 1, s[18:19]
	global_store_short_d16_hi v[16:17], v13, off
	s_or_b64 exec, exec, s[10:11]
	s_and_saveexec_b64 s[10:11], s[4:5]
	s_cbranch_execz .LBB201_51
.LBB201_78:                             ;   in Loop: Header=BB201_19 Depth=1
	v_cvt_f32_i32_e32 v12, v12
	v_add_f32_e32 v10, v10, v12
	s_waitcnt vmcnt(2)
	v_lshlrev_b32_e32 v12, 16, v21
	v_add_f32_e32 v12, v10, v12
	v_and_b32_e32 v10, 0x7f800000, v12
	v_cmp_ne_u32_e32 vcc, s44, v10
                                        ; implicit-def: $vgpr10
	s_and_saveexec_b64 s[4:5], vcc
	s_xor_b64 s[4:5], exec, s[4:5]
; %bb.79:                               ;   in Loop: Header=BB201_19 Depth=1
	v_bfe_u32 v10, v12, 16, 1
	v_add3_u32 v10, v12, v10, s43
                                        ; implicit-def: $vgpr12
; %bb.80:                               ;   in Loop: Header=BB201_19 Depth=1
	s_andn2_saveexec_b64 s[4:5], s[4:5]
; %bb.81:                               ;   in Loop: Header=BB201_19 Depth=1
	v_or_b32_e32 v10, 0x10000, v12
	v_cmp_eq_u32_sdwa vcc, v12, v1 src0_sel:WORD_0 src1_sel:DWORD
	s_nop 1
	v_cndmask_b32_e32 v10, v10, v12, vcc
; %bb.82:                               ;   in Loop: Header=BB201_19 Depth=1
	s_or_b64 exec, exec, s[4:5]
	v_add_u32_e32 v12, 1, v0
	v_mov_b32_e32 v13, v1
	v_lshl_add_u64 v[12:13], v[12:13], 1, s[18:19]
	global_store_short_d16_hi v[12:13], v10, off
	s_or_b64 exec, exec, s[10:11]
	s_and_saveexec_b64 s[4:5], s[6:7]
	s_cbranch_execz .LBB201_52
.LBB201_83:                             ;   in Loop: Header=BB201_19 Depth=1
	v_cvt_f32_i32_e32 v9, v9
	v_add_f32_e32 v8, v8, v9
	s_waitcnt vmcnt(1)
	v_lshlrev_b32_e32 v9, 16, v15
	v_add_f32_e32 v9, v8, v9
	v_and_b32_e32 v8, 0x7f800000, v9
	v_cmp_ne_u32_e32 vcc, s44, v8
                                        ; implicit-def: $vgpr8
	s_and_saveexec_b64 s[6:7], vcc
	s_xor_b64 s[6:7], exec, s[6:7]
; %bb.84:                               ;   in Loop: Header=BB201_19 Depth=1
	v_bfe_u32 v8, v9, 16, 1
	v_add3_u32 v8, v9, v8, s43
                                        ; implicit-def: $vgpr9
; %bb.85:                               ;   in Loop: Header=BB201_19 Depth=1
	s_andn2_saveexec_b64 s[6:7], s[6:7]
; %bb.86:                               ;   in Loop: Header=BB201_19 Depth=1
	v_or_b32_e32 v8, 0x10000, v9
	v_cmp_eq_u32_sdwa vcc, v9, v1 src0_sel:WORD_0 src1_sel:DWORD
	s_nop 1
	v_cndmask_b32_e32 v8, v8, v9, vcc
; %bb.87:                               ;   in Loop: Header=BB201_19 Depth=1
	s_or_b64 exec, exec, s[6:7]
	v_add_u32_e32 v12, 2, v0
	v_mov_b32_e32 v13, v1
	v_lshl_add_u64 v[12:13], v[12:13], 1, s[18:19]
	global_store_short_d16_hi v[12:13], v8, off
	s_or_b64 exec, exec, s[4:5]
	s_and_b64 exec, exec, s[8:9]
	s_cbranch_execz .LBB201_93
.LBB201_88:                             ;   in Loop: Header=BB201_19 Depth=1
	v_cvt_f32_i32_e32 v7, v7
	v_add_f32_e32 v6, v6, v7
	s_waitcnt vmcnt(0)
	v_lshlrev_b32_e32 v7, 16, v11
	v_add_f32_e32 v7, v6, v7
	v_and_b32_e32 v6, 0x7f800000, v7
	v_cmp_ne_u32_e32 vcc, s44, v6
                                        ; implicit-def: $vgpr6
	s_and_saveexec_b64 s[4:5], vcc
	s_xor_b64 s[4:5], exec, s[4:5]
; %bb.89:                               ;   in Loop: Header=BB201_19 Depth=1
	v_bfe_u32 v6, v7, 16, 1
	v_add3_u32 v6, v7, v6, s43
                                        ; implicit-def: $vgpr7
; %bb.90:                               ;   in Loop: Header=BB201_19 Depth=1
	s_andn2_saveexec_b64 s[4:5], s[4:5]
; %bb.91:                               ;   in Loop: Header=BB201_19 Depth=1
	v_or_b32_e32 v6, 0x10000, v7
	v_cmp_eq_u32_sdwa vcc, v7, v1 src0_sel:WORD_0 src1_sel:DWORD
	s_nop 1
	v_cndmask_b32_e32 v6, v6, v7, vcc
; %bb.92:                               ;   in Loop: Header=BB201_19 Depth=1
	s_or_b64 exec, exec, s[4:5]
	v_add_u32_e32 v0, 3, v0
	v_lshl_add_u64 v[8:9], v[0:1], 1, s[18:19]
	global_store_short_d16_hi v[8:9], v6, off
.LBB201_93:                             ;   in Loop: Header=BB201_19 Depth=1
	s_or_b64 exec, exec, s[34:35]
	v_add_u32_e32 v86, s41, v86
	v_add_u32_e32 v0, 4, v86
	v_cmp_gt_u32_e32 vcc, s15, v86
	v_cmp_le_u32_e64 s[4:5], s15, v0
	s_and_b64 s[4:5], vcc, s[4:5]
	s_and_saveexec_b64 s[6:7], s[4:5]
	s_cbranch_execz .LBB201_18
; %bb.94:                               ;   in Loop: Header=BB201_19 Depth=1
	v_cmp_ne_u32_e32 vcc, s42, v86
	s_and_saveexec_b64 s[8:9], vcc
	s_cbranch_execz .LBB201_17
; %bb.95:                               ;   in Loop: Header=BB201_19 Depth=1
	v_subrev_u32_e32 v0, s42, v86
	v_cmp_lt_u32_e32 vcc, 1, v0
	s_mov_b64 s[10:11], 0
	s_mov_b64 s[34:35], 0
	v_cndmask_b32_e32 v0, 1, v0, vcc
.LBB201_96:                             ;   Parent Loop BB201_19 Depth=1
                                        ; =>  This Inner Loop Header: Depth=2
	s_cmp_lg_u32 s34, 3
	s_cselect_b64 vcc, -1, 0
	s_cmp_lg_u32 s34, 2
	v_cndmask_b32_e32 v5, 0, v5, vcc
	s_cselect_b64 vcc, -1, 0
	s_cmp_lg_u32 s34, 1
	v_cndmask_b32_e32 v4, 0, v4, vcc
	s_cselect_b64 vcc, -1, 0
	s_cmp_lg_u32 s34, 0
	v_cndmask_b32_e32 v3, 0, v3, vcc
	s_cselect_b64 vcc, -1, 0
	s_add_u32 s34, s34, 1
	s_addc_u32 s35, s35, 0
	v_cmp_eq_u32_e64 s[4:5], s34, v0
	s_or_b64 s[10:11], s[4:5], s[10:11]
	v_cndmask_b32_e32 v2, 0, v2, vcc
	s_andn2_b64 exec, exec, s[10:11]
	s_cbranch_execnz .LBB201_96
; %bb.97:                               ;   in Loop: Header=BB201_19 Depth=1
	s_or_b64 exec, exec, s[10:11]
	s_branch .LBB201_17
.LBB201_98:
	s_endpgm
	.section	.rodata,"a",@progbits
	.p2align	6, 0x0
	.amdhsa_kernel _Z12wvSplitK_hf_I14__hip_bfloat16Li32ELi4ELi16ELi8ELi2ELi2EEviiiiiiPKT_S3_S3_PS1_ii
		.amdhsa_group_segment_fixed_size 65536
		.amdhsa_private_segment_fixed_size 0
		.amdhsa_kernarg_size 64
		.amdhsa_user_sgpr_count 2
		.amdhsa_user_sgpr_dispatch_ptr 0
		.amdhsa_user_sgpr_queue_ptr 0
		.amdhsa_user_sgpr_kernarg_segment_ptr 1
		.amdhsa_user_sgpr_dispatch_id 0
		.amdhsa_user_sgpr_kernarg_preload_length 0
		.amdhsa_user_sgpr_kernarg_preload_offset 0
		.amdhsa_user_sgpr_private_segment_size 0
		.amdhsa_uses_dynamic_stack 0
		.amdhsa_enable_private_segment 0
		.amdhsa_system_sgpr_workgroup_id_x 1
		.amdhsa_system_sgpr_workgroup_id_y 0
		.amdhsa_system_sgpr_workgroup_id_z 0
		.amdhsa_system_sgpr_workgroup_info 0
		.amdhsa_system_vgpr_workitem_id 1
		.amdhsa_next_free_vgpr 108
		.amdhsa_next_free_sgpr 45
		.amdhsa_accum_offset 108
		.amdhsa_reserve_vcc 1
		.amdhsa_float_round_mode_32 0
		.amdhsa_float_round_mode_16_64 0
		.amdhsa_float_denorm_mode_32 3
		.amdhsa_float_denorm_mode_16_64 3
		.amdhsa_dx10_clamp 1
		.amdhsa_ieee_mode 1
		.amdhsa_fp16_overflow 0
		.amdhsa_tg_split 0
		.amdhsa_exception_fp_ieee_invalid_op 0
		.amdhsa_exception_fp_denorm_src 0
		.amdhsa_exception_fp_ieee_div_zero 0
		.amdhsa_exception_fp_ieee_overflow 0
		.amdhsa_exception_fp_ieee_underflow 0
		.amdhsa_exception_fp_ieee_inexact 0
		.amdhsa_exception_int_div_zero 0
	.end_amdhsa_kernel
	.section	.text._Z12wvSplitK_hf_I14__hip_bfloat16Li32ELi4ELi16ELi8ELi2ELi2EEviiiiiiPKT_S3_S3_PS1_ii,"axG",@progbits,_Z12wvSplitK_hf_I14__hip_bfloat16Li32ELi4ELi16ELi8ELi2ELi2EEviiiiiiPKT_S3_S3_PS1_ii,comdat
.Lfunc_end201:
	.size	_Z12wvSplitK_hf_I14__hip_bfloat16Li32ELi4ELi16ELi8ELi2ELi2EEviiiiiiPKT_S3_S3_PS1_ii, .Lfunc_end201-_Z12wvSplitK_hf_I14__hip_bfloat16Li32ELi4ELi16ELi8ELi2ELi2EEviiiiiiPKT_S3_S3_PS1_ii
                                        ; -- End function
	.section	.AMDGPU.csdata,"",@progbits
; Kernel info:
; codeLenInByte = 4836
; NumSgprs: 51
; NumVgprs: 108
; NumAgprs: 0
; TotalNumVgprs: 108
; ScratchSize: 0
; MemoryBound: 1
; FloatMode: 240
; IeeeMode: 1
; LDSByteSize: 65536 bytes/workgroup (compile time only)
; SGPRBlocks: 6
; VGPRBlocks: 13
; NumSGPRsForWavesPerEU: 51
; NumVGPRsForWavesPerEU: 108
; AccumOffset: 108
; Occupancy: 2
; WaveLimiterHint : 0
; COMPUTE_PGM_RSRC2:SCRATCH_EN: 0
; COMPUTE_PGM_RSRC2:USER_SGPR: 2
; COMPUTE_PGM_RSRC2:TRAP_HANDLER: 0
; COMPUTE_PGM_RSRC2:TGID_X_EN: 1
; COMPUTE_PGM_RSRC2:TGID_Y_EN: 0
; COMPUTE_PGM_RSRC2:TGID_Z_EN: 0
; COMPUTE_PGM_RSRC2:TIDIG_COMP_CNT: 1
; COMPUTE_PGM_RSRC3_GFX90A:ACCUM_OFFSET: 26
; COMPUTE_PGM_RSRC3_GFX90A:TG_SPLIT: 0
	.section	.text._Z16wvSplitK_hf_big_I14__hip_bfloat16Li32ELi4ELi16ELi8ELi2ELi2EEviiiiiiPKT_S3_S3_PS1_ii,"axG",@progbits,_Z16wvSplitK_hf_big_I14__hip_bfloat16Li32ELi4ELi16ELi8ELi2ELi2EEviiiiiiPKT_S3_S3_PS1_ii,comdat
	.protected	_Z16wvSplitK_hf_big_I14__hip_bfloat16Li32ELi4ELi16ELi8ELi2ELi2EEviiiiiiPKT_S3_S3_PS1_ii ; -- Begin function _Z16wvSplitK_hf_big_I14__hip_bfloat16Li32ELi4ELi16ELi8ELi2ELi2EEviiiiiiPKT_S3_S3_PS1_ii
	.globl	_Z16wvSplitK_hf_big_I14__hip_bfloat16Li32ELi4ELi16ELi8ELi2ELi2EEviiiiiiPKT_S3_S3_PS1_ii
	.p2align	8
	.type	_Z16wvSplitK_hf_big_I14__hip_bfloat16Li32ELi4ELi16ELi8ELi2ELi2EEviiiiiiPKT_S3_S3_PS1_ii,@function
_Z16wvSplitK_hf_big_I14__hip_bfloat16Li32ELi4ELi16ELi8ELi2ELi2EEviiiiiiPKT_S3_S3_PS1_ii: ; @_Z16wvSplitK_hf_big_I14__hip_bfloat16Li32ELi4ELi16ELi8ELi2ELi2EEviiiiiiPKT_S3_S3_PS1_ii
; %bb.0:
	s_load_dwordx2 s[8:9], s[0:1], 0x38
	v_bfe_u32 v7, v0, 10, 10
	s_waitcnt lgkmcnt(0)
	v_cmp_gt_u32_e32 vcc, s8, v7
	s_and_saveexec_b64 s[4:5], vcc
	s_cbranch_execz .LBB202_88
; %bb.1:
	s_load_dwordx4 s[24:27], s[0:1], 0x0
	s_mul_i32 s2, s2, s8
	v_add_lshl_u32 v86, s2, v7, 2
	s_mov_b32 s4, 1
	v_add_u32_e32 v1, 4, v86
	s_mov_b32 s5, s4
	s_waitcnt lgkmcnt(0)
	v_cmp_gt_u32_e32 vcc, s27, v86
	v_cmp_le_u32_e64 s[2:3], s27, v1
	s_mov_b32 s6, s4
	s_mov_b32 s7, s4
	v_mov_b64_e32 v[2:3], s[4:5]
	s_and_b64 s[10:11], vcc, s[2:3]
	v_mov_b64_e32 v[4:5], s[6:7]
	s_and_saveexec_b64 s[2:3], s[10:11]
	s_cbranch_execz .LBB202_7
; %bb.2:
	s_add_i32 s16, s27, -4
	v_mov_b64_e32 v[2:3], s[4:5]
	v_cmp_ne_u32_e32 vcc, s16, v86
	v_mov_b64_e32 v[4:5], s[6:7]
	s_and_saveexec_b64 s[10:11], vcc
	s_cbranch_execz .LBB202_6
; %bb.3:
	v_subrev_u32_e32 v1, s16, v86
	v_cmp_lt_u32_e32 vcc, 1, v1
	s_mov_b64 s[12:13], 0
	s_mov_b64 s[14:15], 0
	v_cndmask_b32_e32 v6, 1, v1, vcc
	s_mov_b32 s5, s4
	s_mov_b32 s6, s4
	s_mov_b32 s7, s4
.LBB202_4:                              ; =>This Inner Loop Header: Depth=1
	s_cmp_lg_u32 s14, 3
	s_cselect_b32 s7, s7, 0
	s_cmp_lg_u32 s14, 2
	s_cselect_b32 s6, s6, 0
	s_cmp_lg_u32 s14, 1
	s_cselect_b32 s5, s5, 0
	s_cmp_lg_u32 s14, 0
	s_cselect_b32 s4, s4, 0
	s_add_u32 s14, s14, 1
	s_addc_u32 s15, s15, 0
	v_cmp_eq_u32_e32 vcc, s14, v6
	v_mov_b64_e32 v[2:3], s[4:5]
	s_or_b64 s[12:13], vcc, s[12:13]
	v_mov_b64_e32 v[4:5], s[6:7]
	s_andn2_b64 exec, exec, s[12:13]
	s_cbranch_execnz .LBB202_4
; %bb.5:
	s_or_b64 exec, exec, s[12:13]
	v_mov_b32_e32 v86, s16
.LBB202_6:
	s_or_b64 exec, exec, s[10:11]
.LBB202_7:
	s_or_b64 exec, exec, s[2:3]
	s_lshl_b32 s2, s8, 2
	s_abs_i32 s3, s2
	v_cvt_f32_u32_e32 v1, s3
	s_sub_i32 s6, 0, s3
	s_abs_i32 s5, s27
	s_ashr_i32 s4, s27, 31
	v_rcp_iflag_f32_e32 v1, v1
	s_nop 0
	v_mul_f32_e32 v1, 0x4f7ffffe, v1
	v_cvt_u32_f32_e32 v1, v1
	s_nop 0
	v_readfirstlane_b32 s7, v1
	s_mul_i32 s6, s6, s7
	s_mul_hi_u32 s6, s7, s6
	s_add_i32 s7, s7, s6
	s_mul_hi_u32 s6, s5, s7
	s_mul_i32 s6, s6, s3
	s_sub_i32 s5, s5, s6
	s_sub_i32 s6, s5, s3
	s_cmp_ge_u32 s5, s3
	s_cselect_b32 s5, s6, s5
	s_sub_i32 s6, s5, s3
	s_cmp_ge_u32 s5, s3
	s_cselect_b32 s3, s6, s5
	s_xor_b32 s3, s3, s4
	s_sub_i32 s3, s3, s4
	s_add_i32 s2, s2, s27
	s_sub_i32 s2, s2, s3
	s_cmp_eq_u32 s3, 0
	s_cselect_b32 s33, s27, s2
	v_cmp_gt_u32_e32 vcc, s33, v86
	s_and_b64 exec, exec, vcc
	s_cbranch_execz .LBB202_88
; %bb.8:
	s_load_dwordx8 s[16:23], s[0:1], 0x10
	s_min_u32 s44, s26, 0x4000
	s_cmp_lg_u32 s24, 0
	s_load_dwordx2 s[14:15], s[0:1], 0x30
	s_cselect_b64 s[2:3], -1, 0
	s_waitcnt lgkmcnt(0)
	v_cvt_f32_u32_e32 v1, s16
	s_cmp_lg_u32 s26, 0
	s_mul_i32 s0, s9, s8
	s_cselect_b64 s[4:5], -1, 0
	v_rcp_iflag_f32_e32 v1, v1
	s_lshl_b32 s45, s8, 8
	s_add_i32 s46, s24, -8
	s_add_i32 s47, s27, -1
	v_mul_f32_e32 v1, 0x4f7ffffe, v1
	v_cvt_u32_f32_e32 v1, v1
	s_lshl_b32 s48, s0, 2
	s_cmp_lg_u64 s[22:23], 0
	s_cselect_b64 s[30:31], -1, 0
	s_sub_i32 s6, 0, s16
	v_mul_lo_u32 v6, s6, v1
	s_abs_i32 s6, s17
	s_add_i32 s49, s27, -4
	s_sub_i32 s7, 1, s6
	s_cmp_lt_u32 s6, 2
	v_and_b32_e32 v0, 0x3ff, v0
	s_cselect_b32 s7, s7, 1
	v_lshlrev_b32_e32 v96, 3, v0
	v_cmp_eq_u32_e64 s[0:1], 31, v0
	s_sub_i32 s9, s7, s6
	v_lshlrev_b32_e32 v0, 4, v0
	s_cmp_ge_u32 s7, s6
	v_lshl_add_u32 v98, v7, 9, v0
	v_cndmask_b32_e64 v0, 0, 1, s[2:3]
	v_mul_hi_u32 v6, v1, v6
	s_cselect_b32 s17, s9, s7
	s_add_u32 s34, s14, 2
	v_lshl_add_u32 v99, v7, 8, v96
	v_cmp_ne_u32_e64 s[2:3], 1, v0
	v_cndmask_b32_e64 v0, 0, 1, s[4:5]
	s_mov_b64 s[28:29], 0
	v_add_u32_e32 v97, v1, v6
	v_mov_b32_e32 v1, 0
	s_mul_i32 s17, s17, s16
	s_addc_u32 s35, s15, 0
	s_lshl_b32 s50, s44, 1
	s_lshl_b32 s51, s8, 9
	v_add_u32_e32 v100, s26, v99
	v_cmp_ne_u32_e64 s[4:5], 1, v0
	s_mov_b32 s52, 0x7f800000
	s_movk_i32 s53, 0x7fff
	s_branch .LBB202_12
.LBB202_9:                              ;   in Loop: Header=BB202_12 Depth=1
	s_or_b64 exec, exec, s[10:11]
	v_mov_b32_e32 v86, s49
.LBB202_10:                             ;   in Loop: Header=BB202_12 Depth=1
	s_or_b64 exec, exec, s[8:9]
.LBB202_11:                             ;   in Loop: Header=BB202_12 Depth=1
	s_or_b64 exec, exec, s[36:37]
	v_cmp_le_u32_e32 vcc, s33, v86
	s_or_b64 s[28:29], vcc, s[28:29]
	s_andn2_b64 exec, exec, s[28:29]
	s_cbranch_execz .LBB202_88
.LBB202_12:                             ; =>This Loop Header: Depth=1
                                        ;     Child Loop BB202_17 Depth 2
                                        ;       Child Loop BB202_22 Depth 3
                                        ;     Child Loop BB202_86 Depth 2
	s_and_b64 vcc, exec, s[2:3]
	v_mov_b32_e32 v9, v1
	v_mov_b32_e32 v8, v1
	s_waitcnt vmcnt(4)
	v_mov_b32_e32 v7, v1
	v_mov_b32_e32 v6, v1
	;; [unrolled: 1-line block ×9, first 2 shown]
	s_waitcnt vmcnt(0)
	v_mov_b32_e32 v14, v1
	v_mov_b32_e32 v21, v1
	;; [unrolled: 1-line block ×21, first 2 shown]
	s_cbranch_vccnz .LBB202_29
; %bb.13:                               ;   in Loop: Header=BB202_12 Depth=1
	v_add_u32_e32 v6, 1, v86
	v_add_u32_e32 v8, 2, v86
	v_add_u32_e32 v10, 3, v86
	v_min_u32_e32 v0, s47, v86
	v_min_u32_e32 v6, s47, v6
	;; [unrolled: 1-line block ×4, first 2 shown]
	v_mul_lo_u32 v0, v0, s25
	v_mul_lo_u32 v6, v6, s25
	v_mov_b32_e32 v7, v1
	v_mul_lo_u32 v8, v8, s25
	v_mov_b32_e32 v9, v1
	;; [unrolled: 2-line block ×3, first 2 shown]
	v_mov_b32_e32 v34, 0
	v_cmp_gt_u32_e64 s[6:7], s27, v86
	s_mov_b32 s36, 0
	v_lshlrev_b64 v[88:89], 1, v[0:1]
	v_lshlrev_b64 v[90:91], 1, v[6:7]
	;; [unrolled: 1-line block ×4, first 2 shown]
	s_mov_b32 s37, 0
	v_mov_b32_e32 v35, v34
	v_mov_b32_e32 v36, v34
	;; [unrolled: 1-line block ×31, first 2 shown]
	s_branch .LBB202_17
.LBB202_14:                             ;   in Loop: Header=BB202_17 Depth=2
	s_or_b64 exec, exec, s[12:13]
.LBB202_15:                             ;   in Loop: Header=BB202_17 Depth=2
	s_or_b64 exec, exec, s[10:11]
	s_waitcnt vmcnt(7) lgkmcnt(1)
	v_mfma_f32_4x4x4_16b_bf16 v[34:37], v[82:83], v[62:63], v[34:37]
	s_waitcnt vmcnt(6)
	v_mfma_f32_4x4x4_16b_bf16 v[30:33], v[82:83], v[58:59], v[30:33]
	s_waitcnt vmcnt(5)
	;; [unrolled: 2-line block ×3, first 2 shown]
	v_mfma_f32_4x4x4_16b_bf16 v[22:25], v[82:83], v[66:67], v[22:25]
	s_waitcnt lgkmcnt(0)
	v_mfma_f32_4x4x4_16b_bf16 v[18:21], v[78:79], v[62:63], v[18:21]
	v_mfma_f32_4x4x4_16b_bf16 v[14:17], v[78:79], v[58:59], v[14:17]
	;; [unrolled: 1-line block ×12, first 2 shown]
	s_waitcnt vmcnt(3)
	v_mfma_f32_4x4x4_16b_bf16 v[34:37], v[74:75], v[42:43], v[34:37]
	s_waitcnt vmcnt(2)
	v_mfma_f32_4x4x4_16b_bf16 v[30:33], v[74:75], v[38:39], v[30:33]
	;; [unrolled: 2-line block ×4, first 2 shown]
	v_mfma_f32_4x4x4_16b_bf16 v[18:21], v[54:55], v[42:43], v[18:21]
	v_mfma_f32_4x4x4_16b_bf16 v[14:17], v[54:55], v[38:39], v[14:17]
	;; [unrolled: 1-line block ×12, first 2 shown]
.LBB202_16:                             ;   in Loop: Header=BB202_17 Depth=2
	s_or_b64 exec, exec, s[8:9]
	s_addk_i32 s37, 0x200
	s_cmp_ge_u32 s37, s24
	s_cbranch_scc1 .LBB202_29
.LBB202_17:                             ;   Parent Loop BB202_12 Depth=1
                                        ; =>  This Loop Header: Depth=2
                                        ;       Child Loop BB202_22 Depth 3
	s_cmp_eq_u32 s37, 0
	s_cselect_b64 s[8:9], -1, 0
	s_add_i32 s10, s36, s44
	s_cmp_eq_u32 s37, s10
	s_cselect_b64 s[12:13], -1, 0
	s_or_b64 s[12:13], s[8:9], s[12:13]
	s_andn2_b64 vcc, exec, s[12:13]
	s_cbranch_vccz .LBB202_19
; %bb.18:                               ;   in Loop: Header=BB202_17 Depth=2
	s_and_saveexec_b64 s[8:9], s[6:7]
	s_cbranch_execz .LBB202_16
	s_branch .LBB202_26
.LBB202_19:                             ;   in Loop: Header=BB202_17 Depth=2
	s_and_b64 s[8:9], s[8:9], exec
	s_cselect_b32 s36, s36, s10
	s_and_b64 vcc, exec, s[4:5]
	s_barrier
	s_cbranch_vccnz .LBB202_25
; %bb.20:                               ;   in Loop: Header=BB202_17 Depth=2
	v_add_u32_e32 v38, s36, v100
	v_add_u32_e32 v39, s36, v99
	s_mov_b32 s38, 0
	s_mov_b64 s[10:11], 0
	v_mov_b32_e32 v40, v98
                                        ; implicit-def: $sgpr12_sgpr13
	s_branch .LBB202_22
.LBB202_21:                             ;   in Loop: Header=BB202_22 Depth=3
	s_or_b64 exec, exec, s[8:9]
	s_and_b64 s[8:9], exec, s[12:13]
	s_or_b64 s[10:11], s[8:9], s[10:11]
	s_andn2_b64 exec, exec, s[10:11]
	s_cbranch_execz .LBB202_24
.LBB202_22:                             ;   Parent Loop BB202_12 Depth=1
                                        ;     Parent Loop BB202_17 Depth=2
                                        ; =>    This Inner Loop Header: Depth=3
	v_add_u32_e32 v41, s38, v99
	v_add_u32_e32 v0, s38, v39
	v_cmp_gt_u32_e32 vcc, s26, v0
	v_cmp_gt_u32_e64 s[8:9], s44, v41
	s_and_b64 s[40:41], s[8:9], vcc
	s_or_b64 s[12:13], s[12:13], exec
	s_and_saveexec_b64 s[8:9], s[40:41]
	s_cbranch_execz .LBB202_21
; %bb.23:                               ;   in Loop: Header=BB202_22 Depth=3
	v_lshl_add_u64 v[42:43], v[0:1], 1, s[20:21]
	v_add_u32_e32 v0, s38, v38
	global_load_dwordx4 v[42:45], v[42:43], off
	v_lshl_add_u64 v[46:47], v[0:1], 1, s[20:21]
	global_load_dwordx4 v[46:49], v[46:47], off
	s_add_i32 s38, s38, s45
	s_cmp_ge_u32 s38, s44
	s_cselect_b64 s[40:41], -1, 0
	s_andn2_b64 s[12:13], s[12:13], exec
	s_and_b64 s[40:41], s[40:41], exec
	v_add_u32_e32 v0, s50, v40
	s_or_b64 s[12:13], s[12:13], s[40:41]
	s_waitcnt vmcnt(1)
	ds_write_b128 v40, v[42:45]
	v_add_u32_e32 v40, s51, v40
	s_waitcnt vmcnt(0)
	ds_write2_b64 v0, v[46:47], v[48:49] offset1:1
	s_branch .LBB202_21
.LBB202_24:                             ;   in Loop: Header=BB202_17 Depth=2
	s_or_b64 exec, exec, s[10:11]
.LBB202_25:                             ;   in Loop: Header=BB202_17 Depth=2
	s_waitcnt lgkmcnt(0)
	s_barrier
	s_and_saveexec_b64 s[8:9], s[6:7]
	s_cbranch_execz .LBB202_16
.LBB202_26:                             ;   in Loop: Header=BB202_17 Depth=2
	v_add_u32_e32 v87, s37, v96
	v_min_u32_e32 v0, s46, v87
	v_add_u32_e32 v101, 0x100, v87
	v_lshl_add_u64 v[38:39], v[0:1], 1, s[18:19]
	v_min_u32_e32 v0, s46, v101
	v_lshl_add_u64 v[40:41], v[38:39], 0, v[88:89]
	v_lshl_add_u64 v[46:47], v[0:1], 1, s[18:19]
	;; [unrolled: 1-line block ×3, first 2 shown]
	global_load_dwordx4 v[62:65], v[40:41], off nt
	global_load_dwordx4 v[58:61], v[42:43], off nt
	v_lshl_add_u64 v[40:41], v[38:39], 0, v[92:93]
	v_lshl_add_u64 v[38:39], v[38:39], 0, v[94:95]
	;; [unrolled: 1-line block ×5, first 2 shown]
	global_load_dwordx4 v[70:73], v[40:41], off nt
	global_load_dwordx4 v[66:69], v[38:39], off nt
	;; [unrolled: 1-line block ×3, first 2 shown]
	s_nop 0
	global_load_dwordx4 v[38:41], v[50:51], off nt
	v_lshl_add_u64 v[56:57], v[46:47], 0, v[94:95]
	global_load_dwordx4 v[50:53], v[54:55], off nt
	global_load_dwordx4 v[46:49], v[56:57], off nt
	v_cmp_gt_u32_e32 vcc, s24, v87
	v_mov_b32_e32 v56, 0
	v_mov_b32_e32 v57, 0
	;; [unrolled: 1-line block ×16, first 2 shown]
	s_and_saveexec_b64 s[10:11], vcc
	s_cbranch_execz .LBB202_15
; %bb.27:                               ;   in Loop: Header=BB202_17 Depth=2
	v_subrev_u32_e32 v0, s36, v87
	v_lshlrev_b32_e32 v87, 1, v0
	v_lshl_add_u32 v0, s44, 1, v87
	ds_read_b128 v[82:85], v87
	ds_read_b128 v[78:81], v0
	v_cmp_gt_u32_e32 vcc, s24, v101
	v_mov_b32_e32 v75, 0
	v_mov_b32_e32 v74, 0
	;; [unrolled: 1-line block ×8, first 2 shown]
	s_and_saveexec_b64 s[12:13], vcc
	s_cbranch_execz .LBB202_14
; %bb.28:                               ;   in Loop: Header=BB202_17 Depth=2
	ds_read_b128 v[74:77], v87 offset:512
	ds_read_b128 v[54:57], v0 offset:512
	s_branch .LBB202_14
.LBB202_29:                             ;   in Loop: Header=BB202_12 Depth=1
	v_cmp_le_u32_e32 vcc, s27, v86
	s_and_saveexec_b64 s[6:7], vcc
	s_xor_b64 s[6:7], exec, s[6:7]
; %bb.30:                               ;   in Loop: Header=BB202_12 Depth=1
	v_add_u32_e32 v86, s48, v86
                                        ; implicit-def: $vgpr9
                                        ; implicit-def: $vgpr13
                                        ; implicit-def: $vgpr17
                                        ; implicit-def: $vgpr21
                                        ; implicit-def: $vgpr25
                                        ; implicit-def: $vgpr29
                                        ; implicit-def: $vgpr33
                                        ; implicit-def: $vgpr37
; %bb.31:                               ;   in Loop: Header=BB202_12 Depth=1
	s_andn2_saveexec_b64 s[36:37], s[6:7]
	s_cbranch_execz .LBB202_11
; %bb.32:                               ;   in Loop: Header=BB202_12 Depth=1
	v_cvt_i32_f32_e32 v0, v35
	v_cvt_i32_f32_e32 v35, v36
	;; [unrolled: 1-line block ×4, first 2 shown]
	v_cvt_f32_i32_dpp v0, v0 row_shl:1 row_mask:0xf bank_mask:0xf bound_ctrl:1
	v_cvt_f32_i32_dpp v35, v35 row_shl:2 row_mask:0xf bank_mask:0xf bound_ctrl:1
	;; [unrolled: 1-line block ×3, first 2 shown]
	v_cvt_i32_f32_e32 v32, v32
	v_add_f32_e32 v0, v34, v0
	v_add_f32_e32 v0, v0, v35
	;; [unrolled: 1-line block ×3, first 2 shown]
	v_cvt_i32_f32_e32 v34, v0
	v_cvt_i32_f32_e32 v33, v33
	v_cvt_f32_i32_dpp v31, v31 row_shl:1 row_mask:0xf bank_mask:0xf bound_ctrl:1
	v_cvt_f32_i32_dpp v32, v32 row_shl:2 row_mask:0xf bank_mask:0xf bound_ctrl:1
	;; [unrolled: 1-line block ×4, first 2 shown]
	v_add_f32_e32 v30, v30, v31
	v_add_f32_e32 v30, v30, v32
	v_add_f32_e32 v0, v0, v34
	v_cvt_i32_f32_e32 v34, v0
	v_cvt_i32_f32_e32 v27, v27
	v_add_f32_e32 v30, v30, v33
	v_cvt_i32_f32_e32 v28, v28
	v_cvt_f32_i32_dpp v31, v34 row_shl:8 row_mask:0xf bank_mask:0xf bound_ctrl:1
	v_cvt_i32_f32_e32 v32, v30
	v_cvt_i32_f32_e32 v29, v29
	v_cvt_f32_i32_dpp v27, v27 row_shl:1 row_mask:0xf bank_mask:0xf bound_ctrl:1
	v_add_f32_e32 v0, v0, v31
	v_cvt_i32_f32_e32 v0, v0
	v_cvt_f32_i32_dpp v28, v28 row_shl:2 row_mask:0xf bank_mask:0xf bound_ctrl:1
	v_cvt_f32_i32_dpp v31, v32 row_shl:4 row_mask:0xf bank_mask:0xf bound_ctrl:1
	;; [unrolled: 1-line block ×3, first 2 shown]
	v_cvt_f32_i32_dpp v0, v0 row_shr:15 row_mask:0xf bank_mask:0xf bound_ctrl:1
	v_add_f32_e32 v26, v26, v27
	v_cvt_i32_f32_e32 v23, v23
	v_add_f32_e32 v27, v30, v31
	v_add_f32_e32 v26, v26, v28
	v_cvt_i32_f32_e32 v24, v24
	v_cvt_i32_f32_e32 v30, v27
	v_add_f32_e32 v28, v26, v29
	v_cvt_i32_f32_e32 v25, v25
	v_cvt_i32_f32_e32 v31, v0
	;; [unrolled: 1-line block ×3, first 2 shown]
	v_cvt_f32_i32_dpp v23, v23 row_shl:1 row_mask:0xf bank_mask:0xf bound_ctrl:1
	v_cvt_f32_i32_dpp v24, v24 row_shl:2 row_mask:0xf bank_mask:0xf bound_ctrl:1
	;; [unrolled: 1-line block ×4, first 2 shown]
	v_cvt_f32_i32_dpp v30, v31 row_bcast:15 row_mask:0xf bank_mask:0xf bound_ctrl:1
	v_cvt_f32_i32_dpp v31, v26 row_shl:4 row_mask:0xf bank_mask:0xf bound_ctrl:1
	v_add_f32_e32 v22, v22, v23
	v_add_f32_e32 v22, v22, v24
	;; [unrolled: 1-line block ×5, first 2 shown]
	v_cvt_i32_f32_e32 v0, v27
	v_add_f32_e32 v27, v28, v31
	v_cvt_i32_f32_e32 v23, v22
	v_cvt_i32_f32_e32 v28, v27
	v_cvt_f32_i32_dpp v0, v0 row_shr:15 row_mask:0xf bank_mask:0xf bound_ctrl:1
	v_cvt_i32_f32_e32 v19, v19
	v_cvt_f32_i32_dpp v23, v23 row_shl:4 row_mask:0xf bank_mask:0xf bound_ctrl:1
	v_cvt_f32_i32_dpp v28, v28 row_shl:8 row_mask:0xf bank_mask:0xf bound_ctrl:1
	v_cvt_i32_f32_e32 v20, v20
	v_cvt_i32_f32_e32 v21, v21
	v_add_f32_e32 v23, v22, v23
	v_add_f32_e32 v24, v27, v28
	v_cvt_i32_f32_e32 v22, v23
	v_cvt_i32_f32_e32 v24, v24
	;; [unrolled: 1-line block ×3, first 2 shown]
	v_cvt_f32_i32_dpp v19, v19 row_shl:1 row_mask:0xf bank_mask:0xf bound_ctrl:1
	v_cvt_f32_i32_dpp v29, v22 row_shl:8 row_mask:0xf bank_mask:0xf bound_ctrl:1
	v_cvt_f32_i32_dpp v24, v24 row_shr:15 row_mask:0xf bank_mask:0xf bound_ctrl:1
	v_cvt_i32_f32_e32 v15, v15
	v_cvt_f32_i32_dpp v20, v20 row_shl:2 row_mask:0xf bank_mask:0xf bound_ctrl:1
	v_cvt_i32_f32_e32 v16, v16
	v_add_f32_e32 v23, v23, v29
	v_cvt_f32_i32_dpp v21, v21 row_shl:3 row_mask:0xf bank_mask:0xf bound_ctrl:1
	v_cvt_i32_f32_e32 v17, v17
	v_cvt_i32_f32_e32 v11, v11
	v_cvt_f32_i32_dpp v27, v27 row_bcast:15 row_mask:0xf bank_mask:0xf bound_ctrl:1
	v_cvt_i32_f32_e32 v28, v24
	v_cvt_i32_f32_e32 v23, v23
	v_add_f32_e32 v18, v18, v19
	v_cvt_f32_i32_dpp v15, v15 row_shl:1 row_mask:0xf bank_mask:0xf bound_ctrl:1
	v_cvt_i32_f32_e32 v7, v7
	v_add_f32_e32 v18, v18, v20
	v_cvt_f32_i32_dpp v16, v16 row_shl:2 row_mask:0xf bank_mask:0xf bound_ctrl:1
	v_cvt_i32_f32_e32 v12, v12
	v_cvt_i32_f32_e32 v8, v8
	v_add_f32_e32 v20, v18, v21
	v_cvt_f32_i32_dpp v17, v17 row_shl:3 row_mask:0xf bank_mask:0xf bound_ctrl:1
	v_cvt_f32_i32_dpp v11, v11 row_shl:1 row_mask:0xf bank_mask:0xf bound_ctrl:1
	v_cvt_i32_f32_e32 v13, v13
	v_cvt_i32_f32_e32 v9, v9
	v_add_f32_e32 v22, v0, v27
	v_cvt_f32_i32_dpp v27, v28 row_bcast:15 row_mask:0xf bank_mask:0xf bound_ctrl:1
	v_cvt_f32_i32_dpp v28, v23 row_shr:15 row_mask:0xf bank_mask:0xf bound_ctrl:1
	v_cvt_i32_f32_e32 v18, v20
	v_add_f32_e32 v14, v14, v15
	v_cvt_f32_i32_dpp v7, v7 row_shl:1 row_mask:0xf bank_mask:0xf bound_ctrl:1
	v_add_f32_e32 v14, v14, v16
	v_cvt_f32_i32_dpp v12, v12 row_shl:2 row_mask:0xf bank_mask:0xf bound_ctrl:1
	v_cvt_f32_i32_dpp v8, v8 row_shl:2 row_mask:0xf bank_mask:0xf bound_ctrl:1
	v_add_f32_e32 v14, v14, v17
	v_add_f32_e32 v10, v10, v11
	v_cvt_f32_i32_dpp v11, v13 row_shl:3 row_mask:0xf bank_mask:0xf bound_ctrl:1
	v_cvt_f32_i32_dpp v9, v9 row_shl:3 row_mask:0xf bank_mask:0xf bound_ctrl:1
	v_cvt_i32_f32_e32 v0, v22
	v_cvt_i32_f32_e32 v29, v28
	v_cvt_f32_i32_dpp v21, v18 row_shl:4 row_mask:0xf bank_mask:0xf bound_ctrl:1
	v_cvt_i32_f32_e32 v16, v14
	v_add_f32_e32 v6, v6, v7
	v_add_f32_e32 v10, v10, v12
	;; [unrolled: 1-line block ×5, first 2 shown]
	v_mov_b32_dpp v23, v0 row_bcast:31 row_mask:0xf bank_mask:0xf bound_ctrl:1
	v_cvt_f32_i32_dpp v0, v29 row_bcast:15 row_mask:0xf bank_mask:0xf bound_ctrl:1
	v_add_f32_e32 v20, v20, v21
	v_cvt_f32_i32_dpp v16, v16 row_shl:4 row_mask:0xf bank_mask:0xf bound_ctrl:1
	v_cvt_i32_f32_e32 v11, v10
	v_cvt_i32_f32_e32 v7, v6
	;; [unrolled: 1-line block ×3, first 2 shown]
	v_add_f32_e32 v18, v28, v0
	v_add_f32_e32 v14, v14, v16
	v_cvt_f32_i32_dpp v9, v11 row_shl:4 row_mask:0xf bank_mask:0xf bound_ctrl:1
	v_cvt_f32_i32_dpp v7, v7 row_shl:4 row_mask:0xf bank_mask:0xf bound_ctrl:1
	v_add_f32_e32 v19, v24, v27
	v_cvt_i32_f32_e32 v0, v18
	v_cvt_f32_i32_dpp v27, v21 row_shl:8 row_mask:0xf bank_mask:0xf bound_ctrl:1
	v_cvt_i32_f32_e32 v16, v14
	v_add_f32_e32 v9, v10, v9
	v_add_f32_e32 v6, v6, v7
	v_mov_b32_dpp v15, v0 row_bcast:31 row_mask:0xf bank_mask:0xf bound_ctrl:1
	v_add_f32_e32 v0, v20, v27
	v_cvt_f32_i32_dpp v8, v16 row_shl:8 row_mask:0xf bank_mask:0xf bound_ctrl:1
	v_cvt_i32_f32_e32 v10, v9
	v_cvt_i32_f32_e32 v7, v6
	;; [unrolled: 1-line block ×3, first 2 shown]
	v_add_f32_e32 v8, v14, v8
	v_cvt_f32_i32_dpp v10, v10 row_shl:8 row_mask:0xf bank_mask:0xf bound_ctrl:1
	v_cvt_f32_i32_dpp v7, v7 row_shl:8 row_mask:0xf bank_mask:0xf bound_ctrl:1
	v_cvt_f32_i32_dpp v0, v0 row_shr:15 row_mask:0xf bank_mask:0xf bound_ctrl:1
	v_cvt_i32_f32_e32 v8, v8
	v_add_f32_e32 v9, v9, v10
	v_add_f32_e32 v6, v6, v7
	v_cvt_i32_f32_e32 v11, v0
	v_cvt_f32_i32_dpp v8, v8 row_shr:15 row_mask:0xf bank_mask:0xf bound_ctrl:1
	v_cvt_i32_f32_e32 v9, v9
	v_cvt_i32_f32_e32 v6, v6
	v_cvt_f32_i32_dpp v7, v11 row_bcast:15 row_mask:0xf bank_mask:0xf bound_ctrl:1
	v_cvt_i32_f32_e32 v10, v8
	v_cvt_f32_i32_dpp v9, v9 row_shr:15 row_mask:0xf bank_mask:0xf bound_ctrl:1
	v_cvt_f32_i32_dpp v6, v6 row_shr:15 row_mask:0xf bank_mask:0xf bound_ctrl:1
	v_add_f32_e32 v16, v0, v7
	v_cvt_f32_i32_dpp v7, v10 row_bcast:15 row_mask:0xf bank_mask:0xf bound_ctrl:1
	v_cvt_i32_f32_e32 v0, v9
	v_cvt_i32_f32_e32 v10, v6
	;; [unrolled: 1-line block ×3, first 2 shown]
	v_add_f32_e32 v12, v8, v7
	v_cvt_f32_i32_dpp v0, v0 row_bcast:15 row_mask:0xf bank_mask:0xf bound_ctrl:1
	v_cvt_f32_i32_dpp v7, v10 row_bcast:15 row_mask:0xf bank_mask:0xf bound_ctrl:1
	v_cvt_i32_f32_e32 v24, v19
	v_cvt_i32_f32_e32 v11, v16
	v_add_f32_e32 v10, v9, v0
	v_add_f32_e32 v8, v6, v7
	v_cvt_i32_f32_e32 v13, v12
	v_cvt_i32_f32_e32 v0, v10
	;; [unrolled: 1-line block ×3, first 2 shown]
	v_mov_b32_dpp v25, v25 row_bcast:31 row_mask:0xf bank_mask:0xf bound_ctrl:1
	v_mov_b32_dpp v21, v24 row_bcast:31 row_mask:0xf bank_mask:0xf bound_ctrl:1
	;; [unrolled: 1-line block ×6, first 2 shown]
	s_and_saveexec_b64 s[38:39], s[0:1]
	s_cbranch_execz .LBB202_83
; %bb.33:                               ;   in Loop: Header=BB202_12 Depth=1
	s_andn2_b64 vcc, exec, s[30:31]
	v_mov_b32_e32 v30, 0
	v_add_u32_e32 v0, 2, v86
	v_add_u32_e32 v6, 3, v86
	v_mov_b32_e32 v29, 0
	v_mov_b32_e32 v28, 0
	;; [unrolled: 1-line block ×7, first 2 shown]
	s_cbranch_vccnz .LBB202_35
; %bb.34:                               ;   in Loop: Header=BB202_12 Depth=1
	v_mul_hi_u32 v7, v86, v97
	v_mul_lo_u32 v7, v7, s16
	v_sub_u32_e32 v7, v86, v7
	v_subrev_u32_e32 v14, s16, v7
	v_cmp_le_u32_e32 vcc, s16, v7
	v_mov_b32_e32 v29, v1
	v_mov_b32_e32 v37, v1
	v_cndmask_b32_e32 v7, v7, v14, vcc
	v_subrev_u32_e32 v14, s16, v7
	v_cmp_le_u32_e32 vcc, s16, v7
	v_mov_b32_e32 v31, v1
	v_mov_b32_e32 v41, v1
	v_cndmask_b32_e32 v28, v7, v14, vcc
	v_add_u32_e32 v7, 1, v86
	v_mul_hi_u32 v14, v7, v97
	v_mul_lo_u32 v14, v14, s16
	v_sub_u32_e32 v7, v7, v14
	v_subrev_u32_e32 v14, s16, v7
	v_cmp_le_u32_e32 vcc, s16, v7
	v_lshl_add_u64 v[32:33], v[28:29], 1, s[22:23]
	v_add_u32_e32 v28, s17, v28
	v_cndmask_b32_e32 v7, v7, v14, vcc
	v_subrev_u32_e32 v14, s16, v7
	v_cmp_le_u32_e32 vcc, s16, v7
	v_lshl_add_u64 v[44:45], v[28:29], 1, s[22:23]
	s_nop 0
	v_cndmask_b32_e32 v30, v7, v14, vcc
	v_mul_hi_u32 v7, v0, v97
	v_mul_lo_u32 v7, v7, s16
	v_sub_u32_e32 v7, v0, v7
	v_subrev_u32_e32 v14, s16, v7
	v_cmp_le_u32_e32 vcc, s16, v7
	v_add_u32_e32 v28, s17, v30
	v_lshl_add_u64 v[46:47], v[28:29], 1, s[22:23]
	v_cndmask_b32_e32 v7, v7, v14, vcc
	v_subrev_u32_e32 v14, s16, v7
	v_cmp_le_u32_e32 vcc, s16, v7
	v_lshl_add_u64 v[34:35], v[30:31], 1, s[22:23]
	s_nop 0
	v_cndmask_b32_e32 v36, v7, v14, vcc
	v_mul_hi_u32 v7, v6, v97
	v_mul_lo_u32 v7, v7, s16
	v_sub_u32_e32 v7, v6, v7
	v_subrev_u32_e32 v14, s16, v7
	v_cmp_le_u32_e32 vcc, s16, v7
	v_add_u32_e32 v28, s17, v36
	v_lshl_add_u64 v[38:39], v[36:37], 1, s[22:23]
	v_cndmask_b32_e32 v7, v7, v14, vcc
	v_subrev_u32_e32 v14, s16, v7
	v_cmp_le_u32_e32 vcc, s16, v7
	v_lshl_add_u64 v[36:37], v[28:29], 1, s[22:23]
	s_nop 0
	v_cndmask_b32_e32 v40, v7, v14, vcc
	v_add_u32_e32 v28, s17, v40
	v_lshl_add_u64 v[42:43], v[40:41], 1, s[22:23]
	v_lshl_add_u64 v[40:41], v[28:29], 1, s[22:23]
	global_load_ushort v30, v[32:33], off
	global_load_ushort v29, v[34:35], off
	;; [unrolled: 1-line block ×8, first 2 shown]
.LBB202_35:                             ;   in Loop: Header=BB202_12 Depth=1
	v_cmp_ne_u32_e32 vcc, 0, v2
	s_and_saveexec_b64 s[8:9], vcc
	s_cbranch_execnz .LBB202_43
; %bb.36:                               ;   in Loop: Header=BB202_12 Depth=1
	s_or_b64 exec, exec, s[8:9]
	v_cmp_ne_u32_e64 s[6:7], 0, v3
	s_and_saveexec_b64 s[10:11], s[6:7]
	s_cbranch_execnz .LBB202_48
.LBB202_37:                             ;   in Loop: Header=BB202_12 Depth=1
	s_or_b64 exec, exec, s[10:11]
	v_cmp_ne_u32_e64 s[8:9], 0, v4
	s_and_saveexec_b64 s[12:13], s[8:9]
	s_cbranch_execnz .LBB202_53
.LBB202_38:                             ;   in Loop: Header=BB202_12 Depth=1
	s_or_b64 exec, exec, s[12:13]
	v_cmp_ne_u32_e64 s[10:11], 0, v5
	s_and_saveexec_b64 s[40:41], s[10:11]
	s_cbranch_execnz .LBB202_58
.LBB202_39:                             ;   in Loop: Header=BB202_12 Depth=1
	s_or_b64 exec, exec, s[40:41]
	v_add_u32_e32 v0, s27, v86
	s_and_saveexec_b64 s[12:13], vcc
	s_cbranch_execnz .LBB202_63
.LBB202_40:                             ;   in Loop: Header=BB202_12 Depth=1
	s_or_b64 exec, exec, s[12:13]
	s_and_saveexec_b64 s[12:13], s[6:7]
	s_cbranch_execnz .LBB202_68
.LBB202_41:                             ;   in Loop: Header=BB202_12 Depth=1
	s_or_b64 exec, exec, s[12:13]
	s_and_saveexec_b64 s[6:7], s[8:9]
	s_cbranch_execnz .LBB202_73
.LBB202_42:                             ;   in Loop: Header=BB202_12 Depth=1
	s_or_b64 exec, exec, s[6:7]
	s_and_b64 exec, exec, s[10:11]
	s_cbranch_execnz .LBB202_78
	s_branch .LBB202_83
.LBB202_43:                             ;   in Loop: Header=BB202_12 Depth=1
	v_cvt_f32_i32_e32 v25, v25
	v_add_f32_e32 v25, v26, v25
	s_waitcnt vmcnt(7)
	v_lshlrev_b32_e32 v26, 16, v30
	v_add_f32_e32 v26, v25, v26
	v_and_b32_e32 v25, 0x7f800000, v26
	v_cmp_ne_u32_e64 s[6:7], s52, v25
                                        ; implicit-def: $vgpr25
	s_and_saveexec_b64 s[10:11], s[6:7]
	s_xor_b64 s[6:7], exec, s[10:11]
; %bb.44:                               ;   in Loop: Header=BB202_12 Depth=1
	v_bfe_u32 v25, v26, 16, 1
	v_add3_u32 v25, v26, v25, s53
                                        ; implicit-def: $vgpr26
; %bb.45:                               ;   in Loop: Header=BB202_12 Depth=1
	s_andn2_saveexec_b64 s[10:11], s[6:7]
; %bb.46:                               ;   in Loop: Header=BB202_12 Depth=1
	v_or_b32_e32 v25, 0x10000, v26
	v_cmp_eq_u32_sdwa s[6:7], v26, v1 src0_sel:WORD_0 src1_sel:DWORD
	s_nop 1
	v_cndmask_b32_e64 v25, v25, v26, s[6:7]
; %bb.47:                               ;   in Loop: Header=BB202_12 Depth=1
	s_or_b64 exec, exec, s[10:11]
	v_mov_b32_e32 v87, v1
	v_lshl_add_u64 v[30:31], v[86:87], 1, s[14:15]
	global_store_short_d16_hi v[30:31], v25, off
	s_or_b64 exec, exec, s[8:9]
	v_cmp_ne_u32_e64 s[6:7], 0, v3
	s_and_saveexec_b64 s[10:11], s[6:7]
	s_cbranch_execz .LBB202_37
.LBB202_48:                             ;   in Loop: Header=BB202_12 Depth=1
	v_cvt_f32_i32_e32 v23, v23
	v_add_f32_e32 v22, v22, v23
	s_waitcnt vmcnt(6)
	v_lshlrev_b32_e32 v23, 16, v29
	v_add_f32_e32 v23, v22, v23
	v_and_b32_e32 v22, 0x7f800000, v23
	v_cmp_ne_u32_e64 s[8:9], s52, v22
                                        ; implicit-def: $vgpr22
	s_and_saveexec_b64 s[12:13], s[8:9]
	s_xor_b64 s[8:9], exec, s[12:13]
; %bb.49:                               ;   in Loop: Header=BB202_12 Depth=1
	v_bfe_u32 v22, v23, 16, 1
	v_add3_u32 v22, v23, v22, s53
                                        ; implicit-def: $vgpr23
; %bb.50:                               ;   in Loop: Header=BB202_12 Depth=1
	s_andn2_saveexec_b64 s[12:13], s[8:9]
; %bb.51:                               ;   in Loop: Header=BB202_12 Depth=1
	v_or_b32_e32 v22, 0x10000, v23
	v_cmp_eq_u32_sdwa s[8:9], v23, v1 src0_sel:WORD_0 src1_sel:DWORD
	s_nop 1
	v_cndmask_b32_e64 v22, v22, v23, s[8:9]
; %bb.52:                               ;   in Loop: Header=BB202_12 Depth=1
	s_or_b64 exec, exec, s[12:13]
	v_mov_b32_e32 v87, v1
	v_lshl_add_u64 v[30:31], v[86:87], 1, s[34:35]
	global_store_short_d16_hi v[30:31], v22, off
	s_or_b64 exec, exec, s[10:11]
	v_cmp_ne_u32_e64 s[8:9], 0, v4
	s_and_saveexec_b64 s[12:13], s[8:9]
	s_cbranch_execz .LBB202_38
.LBB202_53:                             ;   in Loop: Header=BB202_12 Depth=1
	v_cvt_f32_i32_e32 v21, v21
	v_add_f32_e32 v19, v19, v21
	s_waitcnt vmcnt(5)
	v_lshlrev_b32_e32 v21, 16, v28
	v_add_f32_e32 v21, v19, v21
	v_and_b32_e32 v19, 0x7f800000, v21
	v_cmp_ne_u32_e64 s[10:11], s52, v19
                                        ; implicit-def: $vgpr19
	s_and_saveexec_b64 s[40:41], s[10:11]
	s_xor_b64 s[10:11], exec, s[40:41]
; %bb.54:                               ;   in Loop: Header=BB202_12 Depth=1
	v_bfe_u32 v19, v21, 16, 1
	v_add3_u32 v19, v21, v19, s53
                                        ; implicit-def: $vgpr21
; %bb.55:                               ;   in Loop: Header=BB202_12 Depth=1
	s_andn2_saveexec_b64 s[40:41], s[10:11]
; %bb.56:                               ;   in Loop: Header=BB202_12 Depth=1
	v_or_b32_e32 v19, 0x10000, v21
	v_cmp_eq_u32_sdwa s[10:11], v21, v1 src0_sel:WORD_0 src1_sel:DWORD
	s_nop 1
	v_cndmask_b32_e64 v19, v19, v21, s[10:11]
; %bb.57:                               ;   in Loop: Header=BB202_12 Depth=1
	s_or_b64 exec, exec, s[40:41]
	v_lshl_add_u64 v[22:23], v[0:1], 1, s[14:15]
	global_store_short_d16_hi v[22:23], v19, off
	s_or_b64 exec, exec, s[12:13]
	v_cmp_ne_u32_e64 s[10:11], 0, v5
	s_and_saveexec_b64 s[40:41], s[10:11]
	s_cbranch_execz .LBB202_39
.LBB202_58:                             ;   in Loop: Header=BB202_12 Depth=1
	v_cvt_f32_i32_e32 v0, v15
	s_waitcnt vmcnt(4)
	v_lshlrev_b32_e32 v7, 16, v7
	v_add_f32_e32 v0, v18, v0
	v_add_f32_e32 v7, v0, v7
	v_and_b32_e32 v0, 0x7f800000, v7
	v_cmp_ne_u32_e64 s[12:13], s52, v0
                                        ; implicit-def: $vgpr0
	s_and_saveexec_b64 s[42:43], s[12:13]
	s_xor_b64 s[12:13], exec, s[42:43]
; %bb.59:                               ;   in Loop: Header=BB202_12 Depth=1
	v_bfe_u32 v0, v7, 16, 1
	v_add3_u32 v0, v7, v0, s53
                                        ; implicit-def: $vgpr7
; %bb.60:                               ;   in Loop: Header=BB202_12 Depth=1
	s_andn2_saveexec_b64 s[42:43], s[12:13]
; %bb.61:                               ;   in Loop: Header=BB202_12 Depth=1
	v_or_b32_e32 v0, 0x10000, v7
	v_cmp_eq_u32_sdwa s[12:13], v7, v1 src0_sel:WORD_0 src1_sel:DWORD
	s_nop 1
	v_cndmask_b32_e64 v0, v0, v7, s[12:13]
; %bb.62:                               ;   in Loop: Header=BB202_12 Depth=1
	s_or_b64 exec, exec, s[42:43]
	v_mov_b32_e32 v7, v1
	v_lshl_add_u64 v[6:7], v[6:7], 1, s[14:15]
	global_store_short_d16_hi v[6:7], v0, off
	s_or_b64 exec, exec, s[40:41]
	v_add_u32_e32 v0, s27, v86
	s_and_saveexec_b64 s[12:13], vcc
	s_cbranch_execz .LBB202_40
.LBB202_63:                             ;   in Loop: Header=BB202_12 Depth=1
	v_cvt_f32_i32_e32 v6, v17
	s_waitcnt vmcnt(3)
	v_lshlrev_b32_e32 v7, 16, v27
	v_add_f32_e32 v6, v16, v6
	v_add_f32_e32 v7, v6, v7
	v_and_b32_e32 v6, 0x7f800000, v7
	v_cmp_ne_u32_e32 vcc, s52, v6
                                        ; implicit-def: $vgpr6
	s_and_saveexec_b64 s[40:41], vcc
	s_xor_b64 s[40:41], exec, s[40:41]
; %bb.64:                               ;   in Loop: Header=BB202_12 Depth=1
	v_bfe_u32 v6, v7, 16, 1
	v_add3_u32 v6, v7, v6, s53
                                        ; implicit-def: $vgpr7
; %bb.65:                               ;   in Loop: Header=BB202_12 Depth=1
	s_andn2_saveexec_b64 s[40:41], s[40:41]
; %bb.66:                               ;   in Loop: Header=BB202_12 Depth=1
	v_or_b32_e32 v6, 0x10000, v7
	v_cmp_eq_u32_sdwa vcc, v7, v1 src0_sel:WORD_0 src1_sel:DWORD
	s_nop 1
	v_cndmask_b32_e32 v6, v6, v7, vcc
; %bb.67:                               ;   in Loop: Header=BB202_12 Depth=1
	s_or_b64 exec, exec, s[40:41]
	v_lshl_add_u64 v[16:17], v[0:1], 1, s[14:15]
	global_store_short_d16_hi v[16:17], v6, off
	s_or_b64 exec, exec, s[12:13]
	s_and_saveexec_b64 s[12:13], s[6:7]
	s_cbranch_execz .LBB202_41
.LBB202_68:                             ;   in Loop: Header=BB202_12 Depth=1
	v_cvt_f32_i32_e32 v6, v13
	s_waitcnt vmcnt(2)
	v_lshlrev_b32_e32 v7, 16, v24
	v_add_f32_e32 v6, v12, v6
	v_add_f32_e32 v7, v6, v7
	v_and_b32_e32 v6, 0x7f800000, v7
	v_cmp_ne_u32_e32 vcc, s52, v6
                                        ; implicit-def: $vgpr6
	s_and_saveexec_b64 s[6:7], vcc
	s_xor_b64 s[6:7], exec, s[6:7]
; %bb.69:                               ;   in Loop: Header=BB202_12 Depth=1
	v_bfe_u32 v6, v7, 16, 1
	v_add3_u32 v6, v7, v6, s53
                                        ; implicit-def: $vgpr7
; %bb.70:                               ;   in Loop: Header=BB202_12 Depth=1
	s_andn2_saveexec_b64 s[6:7], s[6:7]
; %bb.71:                               ;   in Loop: Header=BB202_12 Depth=1
	v_or_b32_e32 v6, 0x10000, v7
	v_cmp_eq_u32_sdwa vcc, v7, v1 src0_sel:WORD_0 src1_sel:DWORD
	s_nop 1
	v_cndmask_b32_e32 v6, v6, v7, vcc
; %bb.72:                               ;   in Loop: Header=BB202_12 Depth=1
	s_or_b64 exec, exec, s[6:7]
	v_add_u32_e32 v12, 1, v0
	v_mov_b32_e32 v13, v1
	v_lshl_add_u64 v[12:13], v[12:13], 1, s[14:15]
	global_store_short_d16_hi v[12:13], v6, off
	s_or_b64 exec, exec, s[12:13]
	s_and_saveexec_b64 s[6:7], s[8:9]
	s_cbranch_execz .LBB202_42
.LBB202_73:                             ;   in Loop: Header=BB202_12 Depth=1
	v_cvt_f32_i32_e32 v6, v11
	s_waitcnt vmcnt(1)
	v_lshlrev_b32_e32 v7, 16, v20
	v_add_f32_e32 v6, v10, v6
	v_add_f32_e32 v7, v6, v7
	v_and_b32_e32 v6, 0x7f800000, v7
	v_cmp_ne_u32_e32 vcc, s52, v6
                                        ; implicit-def: $vgpr6
	s_and_saveexec_b64 s[8:9], vcc
	s_xor_b64 s[8:9], exec, s[8:9]
; %bb.74:                               ;   in Loop: Header=BB202_12 Depth=1
	v_bfe_u32 v6, v7, 16, 1
	v_add3_u32 v6, v7, v6, s53
                                        ; implicit-def: $vgpr7
; %bb.75:                               ;   in Loop: Header=BB202_12 Depth=1
	s_andn2_saveexec_b64 s[8:9], s[8:9]
; %bb.76:                               ;   in Loop: Header=BB202_12 Depth=1
	v_or_b32_e32 v6, 0x10000, v7
	v_cmp_eq_u32_sdwa vcc, v7, v1 src0_sel:WORD_0 src1_sel:DWORD
	s_nop 1
	v_cndmask_b32_e32 v6, v6, v7, vcc
; %bb.77:                               ;   in Loop: Header=BB202_12 Depth=1
	s_or_b64 exec, exec, s[8:9]
	v_add_u32_e32 v10, 2, v0
	v_mov_b32_e32 v11, v1
	v_lshl_add_u64 v[10:11], v[10:11], 1, s[14:15]
	global_store_short_d16_hi v[10:11], v6, off
	s_or_b64 exec, exec, s[6:7]
	s_and_b64 exec, exec, s[10:11]
	s_cbranch_execz .LBB202_83
.LBB202_78:                             ;   in Loop: Header=BB202_12 Depth=1
	v_cvt_f32_i32_e32 v6, v9
	s_waitcnt vmcnt(0)
	v_lshlrev_b32_e32 v7, 16, v14
	v_add_f32_e32 v6, v8, v6
	v_add_f32_e32 v7, v6, v7
	v_and_b32_e32 v6, 0x7f800000, v7
	v_cmp_ne_u32_e32 vcc, s52, v6
                                        ; implicit-def: $vgpr6
	s_and_saveexec_b64 s[6:7], vcc
	s_xor_b64 s[6:7], exec, s[6:7]
; %bb.79:                               ;   in Loop: Header=BB202_12 Depth=1
	v_bfe_u32 v6, v7, 16, 1
	v_add3_u32 v6, v7, v6, s53
                                        ; implicit-def: $vgpr7
; %bb.80:                               ;   in Loop: Header=BB202_12 Depth=1
	s_andn2_saveexec_b64 s[6:7], s[6:7]
; %bb.81:                               ;   in Loop: Header=BB202_12 Depth=1
	v_or_b32_e32 v6, 0x10000, v7
	v_cmp_eq_u32_sdwa vcc, v7, v1 src0_sel:WORD_0 src1_sel:DWORD
	s_nop 1
	v_cndmask_b32_e32 v6, v6, v7, vcc
; %bb.82:                               ;   in Loop: Header=BB202_12 Depth=1
	s_or_b64 exec, exec, s[6:7]
	v_add_u32_e32 v0, 3, v0
	v_lshl_add_u64 v[8:9], v[0:1], 1, s[14:15]
	global_store_short_d16_hi v[8:9], v6, off
.LBB202_83:                             ;   in Loop: Header=BB202_12 Depth=1
	s_or_b64 exec, exec, s[38:39]
	v_add_u32_e32 v86, s48, v86
	v_add_u32_e32 v0, 4, v86
	v_cmp_gt_u32_e32 vcc, s27, v86
	v_cmp_le_u32_e64 s[6:7], s27, v0
	s_and_b64 s[6:7], vcc, s[6:7]
	s_and_saveexec_b64 s[8:9], s[6:7]
	s_cbranch_execz .LBB202_10
; %bb.84:                               ;   in Loop: Header=BB202_12 Depth=1
	v_cmp_ne_u32_e32 vcc, s49, v86
	s_and_saveexec_b64 s[10:11], vcc
	s_cbranch_execz .LBB202_9
; %bb.85:                               ;   in Loop: Header=BB202_12 Depth=1
	v_subrev_u32_e32 v0, s49, v86
	v_cmp_lt_u32_e32 vcc, 1, v0
	s_mov_b64 s[12:13], 0
	s_mov_b64 s[38:39], 0
	v_cndmask_b32_e32 v0, 1, v0, vcc
.LBB202_86:                             ;   Parent Loop BB202_12 Depth=1
                                        ; =>  This Inner Loop Header: Depth=2
	s_cmp_lg_u32 s38, 3
	s_cselect_b64 vcc, -1, 0
	s_cmp_lg_u32 s38, 2
	v_cndmask_b32_e32 v5, 0, v5, vcc
	s_cselect_b64 vcc, -1, 0
	s_cmp_lg_u32 s38, 1
	v_cndmask_b32_e32 v4, 0, v4, vcc
	;; [unrolled: 3-line block ×3, first 2 shown]
	s_cselect_b64 vcc, -1, 0
	s_add_u32 s38, s38, 1
	s_addc_u32 s39, s39, 0
	v_cmp_eq_u32_e64 s[6:7], s38, v0
	s_or_b64 s[12:13], s[6:7], s[12:13]
	v_cndmask_b32_e32 v2, 0, v2, vcc
	s_andn2_b64 exec, exec, s[12:13]
	s_cbranch_execnz .LBB202_86
; %bb.87:                               ;   in Loop: Header=BB202_12 Depth=1
	s_or_b64 exec, exec, s[12:13]
	s_branch .LBB202_9
.LBB202_88:
	s_endpgm
	.section	.rodata,"a",@progbits
	.p2align	6, 0x0
	.amdhsa_kernel _Z16wvSplitK_hf_big_I14__hip_bfloat16Li32ELi4ELi16ELi8ELi2ELi2EEviiiiiiPKT_S3_S3_PS1_ii
		.amdhsa_group_segment_fixed_size 65536
		.amdhsa_private_segment_fixed_size 0
		.amdhsa_kernarg_size 64
		.amdhsa_user_sgpr_count 2
		.amdhsa_user_sgpr_dispatch_ptr 0
		.amdhsa_user_sgpr_queue_ptr 0
		.amdhsa_user_sgpr_kernarg_segment_ptr 1
		.amdhsa_user_sgpr_dispatch_id 0
		.amdhsa_user_sgpr_kernarg_preload_length 0
		.amdhsa_user_sgpr_kernarg_preload_offset 0
		.amdhsa_user_sgpr_private_segment_size 0
		.amdhsa_uses_dynamic_stack 0
		.amdhsa_enable_private_segment 0
		.amdhsa_system_sgpr_workgroup_id_x 1
		.amdhsa_system_sgpr_workgroup_id_y 0
		.amdhsa_system_sgpr_workgroup_id_z 0
		.amdhsa_system_sgpr_workgroup_info 0
		.amdhsa_system_vgpr_workitem_id 1
		.amdhsa_next_free_vgpr 102
		.amdhsa_next_free_sgpr 54
		.amdhsa_accum_offset 104
		.amdhsa_reserve_vcc 1
		.amdhsa_float_round_mode_32 0
		.amdhsa_float_round_mode_16_64 0
		.amdhsa_float_denorm_mode_32 3
		.amdhsa_float_denorm_mode_16_64 3
		.amdhsa_dx10_clamp 1
		.amdhsa_ieee_mode 1
		.amdhsa_fp16_overflow 0
		.amdhsa_tg_split 0
		.amdhsa_exception_fp_ieee_invalid_op 0
		.amdhsa_exception_fp_denorm_src 0
		.amdhsa_exception_fp_ieee_div_zero 0
		.amdhsa_exception_fp_ieee_overflow 0
		.amdhsa_exception_fp_ieee_underflow 0
		.amdhsa_exception_fp_ieee_inexact 0
		.amdhsa_exception_int_div_zero 0
	.end_amdhsa_kernel
	.section	.text._Z16wvSplitK_hf_big_I14__hip_bfloat16Li32ELi4ELi16ELi8ELi2ELi2EEviiiiiiPKT_S3_S3_PS1_ii,"axG",@progbits,_Z16wvSplitK_hf_big_I14__hip_bfloat16Li32ELi4ELi16ELi8ELi2ELi2EEviiiiiiPKT_S3_S3_PS1_ii,comdat
.Lfunc_end202:
	.size	_Z16wvSplitK_hf_big_I14__hip_bfloat16Li32ELi4ELi16ELi8ELi2ELi2EEviiiiiiPKT_S3_S3_PS1_ii, .Lfunc_end202-_Z16wvSplitK_hf_big_I14__hip_bfloat16Li32ELi4ELi16ELi8ELi2ELi2EEviiiiiiPKT_S3_S3_PS1_ii
                                        ; -- End function
	.section	.AMDGPU.csdata,"",@progbits
; Kernel info:
; codeLenInByte = 4676
; NumSgprs: 60
; NumVgprs: 102
; NumAgprs: 0
; TotalNumVgprs: 102
; ScratchSize: 0
; MemoryBound: 0
; FloatMode: 240
; IeeeMode: 1
; LDSByteSize: 65536 bytes/workgroup (compile time only)
; SGPRBlocks: 7
; VGPRBlocks: 12
; NumSGPRsForWavesPerEU: 60
; NumVGPRsForWavesPerEU: 102
; AccumOffset: 104
; Occupancy: 2
; WaveLimiterHint : 0
; COMPUTE_PGM_RSRC2:SCRATCH_EN: 0
; COMPUTE_PGM_RSRC2:USER_SGPR: 2
; COMPUTE_PGM_RSRC2:TRAP_HANDLER: 0
; COMPUTE_PGM_RSRC2:TGID_X_EN: 1
; COMPUTE_PGM_RSRC2:TGID_Y_EN: 0
; COMPUTE_PGM_RSRC2:TGID_Z_EN: 0
; COMPUTE_PGM_RSRC2:TIDIG_COMP_CNT: 1
; COMPUTE_PGM_RSRC3_GFX90A:ACCUM_OFFSET: 25
; COMPUTE_PGM_RSRC3_GFX90A:TG_SPLIT: 0
	.section	.text._Z16wvSplitK_hf_sml_I14__hip_bfloat16Li64ELi1ELi16ELi8ELi4ELi2EEviiiiiiPKT_S3_S3_PS1_ii,"axG",@progbits,_Z16wvSplitK_hf_sml_I14__hip_bfloat16Li64ELi1ELi16ELi8ELi4ELi2EEviiiiiiPKT_S3_S3_PS1_ii,comdat
	.protected	_Z16wvSplitK_hf_sml_I14__hip_bfloat16Li64ELi1ELi16ELi8ELi4ELi2EEviiiiiiPKT_S3_S3_PS1_ii ; -- Begin function _Z16wvSplitK_hf_sml_I14__hip_bfloat16Li64ELi1ELi16ELi8ELi4ELi2EEviiiiiiPKT_S3_S3_PS1_ii
	.globl	_Z16wvSplitK_hf_sml_I14__hip_bfloat16Li64ELi1ELi16ELi8ELi4ELi2EEviiiiiiPKT_S3_S3_PS1_ii
	.p2align	8
	.type	_Z16wvSplitK_hf_sml_I14__hip_bfloat16Li64ELi1ELi16ELi8ELi4ELi2EEviiiiiiPKT_S3_S3_PS1_ii,@function
_Z16wvSplitK_hf_sml_I14__hip_bfloat16Li64ELi1ELi16ELi8ELi4ELi2EEviiiiiiPKT_S3_S3_PS1_ii: ; @_Z16wvSplitK_hf_sml_I14__hip_bfloat16Li64ELi1ELi16ELi8ELi4ELi2EEviiiiiiPKT_S3_S3_PS1_ii
; %bb.0:
	s_load_dwordx4 s[4:7], s[0:1], 0x0
	s_load_dwordx2 s[8:9], s[0:1], 0x10
	s_load_dwordx2 s[10:11], s[0:1], 0x28
	v_and_b32_e32 v2, 0x3ff, v0
	v_bfe_u32 v3, v0, 10, 10
	v_lshlrev_b32_e32 v62, 3, v2
	s_waitcnt lgkmcnt(0)
	s_lshl_b32 s6, s6, 1
	v_lshl_add_u32 v4, v3, 9, v62
	s_min_u32 s3, s6, 0x8000
	v_cmp_gt_u32_e32 vcc, s3, v4
	s_and_saveexec_b64 s[12:13], vcc
	s_cbranch_execz .LBB203_3
; %bb.1:
	s_load_dwordx2 s[14:15], s[0:1], 0x20
	v_mov_b32_e32 v7, 0
	v_lshlrev_b32_e32 v6, 10, v3
	v_lshlrev_b32_e32 v8, 4, v2
	v_mov_b32_e32 v9, v7
	v_lshl_add_u64 v[0:1], v[6:7], 0, v[8:9]
	s_waitcnt lgkmcnt(0)
	v_lshl_add_u64 v[0:1], s[14:15], 0, v[0:1]
	v_add_u32_e32 v5, v6, v8
	s_mov_b64 s[14:15], 0
	s_mov_b64 s[16:17], 0x4000
.LBB203_2:                              ; =>This Inner Loop Header: Depth=1
	global_load_dwordx4 v[6:9], v[0:1], off
	v_add_u32_e32 v4, 0x2000, v4
	v_cmp_le_u32_e32 vcc, s3, v4
	v_lshl_add_u64 v[0:1], v[0:1], 0, s[16:17]
	s_or_b64 s[14:15], vcc, s[14:15]
	s_waitcnt vmcnt(0)
	ds_write_b128 v5, v[6:9]
	v_add_u32_e32 v5, 0x4000, v5
	s_andn2_b64 exec, exec, s[14:15]
	s_cbranch_execnz .LBB203_2
.LBB203_3:
	s_or_b64 exec, exec, s[12:13]
	s_load_dwordx2 s[20:21], s[0:1], 0x38
	s_waitcnt lgkmcnt(0)
	s_barrier
	v_cmp_gt_u32_e32 vcc, s20, v3
	s_and_saveexec_b64 s[12:13], vcc
	s_cbranch_execz .LBB203_30
; %bb.4:
	s_mul_i32 s2, s2, s20
	v_add_u32_e32 v56, s2, v3
	v_cmp_gt_u32_e32 vcc, s7, v56
	s_and_b64 exec, exec, vcc
	s_cbranch_execz .LBB203_30
; %bb.5:
	v_cvt_f32_u32_e32 v0, s8
	s_cmp_lg_u32 s4, 0
	s_cselect_b64 s[2:3], -1, 0
	s_add_i32 s28, s4, -8
	v_rcp_iflag_f32_e32 v0, v0
	s_add_i32 s29, s7, -1
	s_cmp_lg_u64 s[10:11], 0
	s_cselect_b64 s[18:19], -1, 0
	v_mul_f32_e32 v0, 0x4f7ffffe, v0
	v_cvt_u32_f32_e32 v0, v0
	s_mul_i32 s30, s21, s20
	s_sub_i32 s20, 0, s8
	s_abs_i32 s9, s9
	v_mul_lo_u32 v1, s20, v0
	s_sub_i32 s20, 1, s9
	s_cmp_lt_u32 s9, 2
	s_load_dwordx2 s[12:13], s[0:1], 0x18
	s_load_dwordx2 s[14:15], s[0:1], 0x30
	s_cselect_b32 s20, s20, 1
	s_sub_i32 s21, s20, s9
	v_mul_hi_u32 v1, v0, v1
	s_cmp_ge_u32 s20, s9
	v_add_u32_e32 v63, v0, v1
	s_cselect_b32 s9, s21, s20
	v_cndmask_b32_e64 v0, 0, 1, s[2:3]
	v_cmp_eq_u32_e64 s[0:1], 63, v2
	s_mov_b64 s[16:17], 0
	v_mov_b32_e32 v59, 0
	s_mul_i32 s9, s9, s8
	v_lshlrev_b32_e32 v64, 4, v2
	v_cmp_ne_u32_e64 s[2:3], 1, v0
	s_mov_b32 s31, 0x7f800000
	s_movk_i32 s33, 0x7fff
	s_branch .LBB203_8
.LBB203_6:                              ;   in Loop: Header=BB203_8 Depth=1
	s_or_b64 exec, exec, s[22:23]
	v_add_u32_e32 v58, s7, v56
	v_lshl_add_u64 v[2:3], v[58:59], 1, s[14:15]
	global_store_short_d16_hi v[2:3], v0, off
.LBB203_7:                              ;   in Loop: Header=BB203_8 Depth=1
	s_or_b64 exec, exec, s[20:21]
	v_add_u32_e32 v56, s30, v56
	v_cmp_le_u32_e32 vcc, s7, v56
	s_or_b64 s[16:17], vcc, s[16:17]
	s_andn2_b64 exec, exec, s[16:17]
	s_cbranch_execz .LBB203_30
.LBB203_8:                              ; =>This Loop Header: Depth=1
                                        ;     Child Loop BB203_14 Depth 2
	s_and_b64 vcc, exec, s[2:3]
	v_mov_b32_e32 v7, v59
	v_mov_b32_e32 v6, v59
	;; [unrolled: 1-line block ×8, first 2 shown]
	s_cbranch_vccnz .LBB203_19
; %bb.9:                                ;   in Loop: Header=BB203_8 Depth=1
	v_min_u32_e32 v0, s29, v56
	v_mul_lo_u32 v58, v0, s5
	v_mov_b32_e32 v0, 0
	s_waitcnt lgkmcnt(0)
	v_lshl_add_u64 v[60:61], v[58:59], 1, s[12:13]
	s_mov_b32 s34, 0
	v_mov_b32_e32 v57, v64
	v_mov_b32_e32 v1, v0
	v_mov_b32_e32 v2, v0
	v_mov_b32_e32 v3, v0
	v_mov_b32_e32 v4, v0
	v_mov_b32_e32 v5, v0
	v_mov_b32_e32 v6, v0
	v_mov_b32_e32 v7, v0
	s_branch .LBB203_14
.LBB203_10:                             ;   in Loop: Header=BB203_14 Depth=2
	s_or_b64 exec, exec, s[26:27]
.LBB203_11:                             ;   in Loop: Header=BB203_14 Depth=2
	s_or_b64 exec, exec, s[24:25]
.LBB203_12:                             ;   in Loop: Header=BB203_14 Depth=2
	s_or_b64 exec, exec, s[22:23]
.LBB203_13:                             ;   in Loop: Header=BB203_14 Depth=2
	s_or_b64 exec, exec, s[20:21]
	s_waitcnt vmcnt(3) lgkmcnt(1)
	v_mfma_f32_4x4x4_16b_bf16 v[0:3], v[52:53], v[20:21], v[0:3]
	s_addk_i32 s34, 0x800
	s_waitcnt lgkmcnt(0)
	v_mfma_f32_4x4x4_16b_bf16 v[4:7], v[28:29], v[20:21], v[4:7]
	v_add_u32_e32 v57, 0x1000, v57
	v_mfma_f32_4x4x4_16b_bf16 v[0:3], v[54:55], v[22:23], v[0:3]
	s_cmp_ge_u32 s34, s4
	v_mfma_f32_4x4x4_16b_bf16 v[4:7], v[30:31], v[22:23], v[4:7]
	s_waitcnt vmcnt(2)
	v_mfma_f32_4x4x4_16b_bf16 v[0:3], v[44:45], v[12:13], v[0:3]
	v_mfma_f32_4x4x4_16b_bf16 v[4:7], v[32:33], v[12:13], v[4:7]
	s_nop 0
	v_mfma_f32_4x4x4_16b_bf16 v[0:3], v[46:47], v[14:15], v[0:3]
	v_mfma_f32_4x4x4_16b_bf16 v[4:7], v[34:35], v[14:15], v[4:7]
	s_waitcnt vmcnt(1)
	v_mfma_f32_4x4x4_16b_bf16 v[0:3], v[36:37], v[16:17], v[0:3]
	v_mfma_f32_4x4x4_16b_bf16 v[4:7], v[48:49], v[16:17], v[4:7]
	s_nop 0
	v_mfma_f32_4x4x4_16b_bf16 v[0:3], v[38:39], v[18:19], v[0:3]
	;; [unrolled: 6-line block ×3, first 2 shown]
	v_mfma_f32_4x4x4_16b_bf16 v[4:7], v[26:27], v[10:11], v[4:7]
	s_cbranch_scc1 .LBB203_19
.LBB203_14:                             ;   Parent Loop BB203_8 Depth=1
                                        ; =>  This Inner Loop Header: Depth=2
	v_add_u32_e32 v28, s34, v62
	v_min_u32_e32 v58, s28, v28
	v_add_u32_e32 v67, 0x200, v28
	v_lshl_add_u64 v[8:9], v[58:59], 1, v[60:61]
	v_min_u32_e32 v58, s28, v67
	v_add_u32_e32 v66, 0x400, v28
	v_lshl_add_u64 v[10:11], v[58:59], 1, v[60:61]
	;; [unrolled: 3-line block ×3, first 2 shown]
	v_min_u32_e32 v58, s28, v65
	global_load_dwordx4 v[20:23], v[8:9], off nt
	global_load_dwordx4 v[12:15], v[10:11], off nt
	v_lshl_add_u64 v[26:27], v[58:59], 1, v[60:61]
	global_load_dwordx4 v[16:19], v[24:25], off nt
	global_load_dwordx4 v[8:11], v[26:27], off nt
	v_cmp_gt_u32_e32 vcc, s4, v28
	v_mov_b32_e32 v50, 0
	v_mov_b32_e32 v51, 0
	;; [unrolled: 1-line block ×32, first 2 shown]
	s_and_saveexec_b64 s[20:21], vcc
	s_cbranch_execz .LBB203_13
; %bb.15:                               ;   in Loop: Header=BB203_14 Depth=2
	v_add_u32_e32 v58, s6, v57
	ds_read_b128 v[52:55], v57
	ds_read_b128 v[28:31], v58
	v_cmp_gt_u32_e32 vcc, s4, v67
	v_mov_b32_e32 v27, 0
	v_mov_b32_e32 v26, 0
	;; [unrolled: 1-line block ×24, first 2 shown]
	s_and_saveexec_b64 s[22:23], vcc
	s_cbranch_execz .LBB203_12
; %bb.16:                               ;   in Loop: Header=BB203_14 Depth=2
	ds_read_b128 v[44:47], v57 offset:1024
	ds_read_b128 v[32:35], v58 offset:1024
	v_cmp_gt_u32_e32 vcc, s4, v66
	v_mov_b32_e32 v27, 0
	v_mov_b32_e32 v26, 0
	;; [unrolled: 1-line block ×16, first 2 shown]
	s_and_saveexec_b64 s[24:25], vcc
	s_cbranch_execz .LBB203_11
; %bb.17:                               ;   in Loop: Header=BB203_14 Depth=2
	ds_read_b128 v[36:39], v57 offset:2048
	ds_read_b128 v[48:51], v58 offset:2048
	v_cmp_gt_u32_e32 vcc, s4, v65
	v_mov_b32_e32 v27, 0
	v_mov_b32_e32 v26, 0
	;; [unrolled: 1-line block ×8, first 2 shown]
	s_and_saveexec_b64 s[26:27], vcc
	s_cbranch_execz .LBB203_10
; %bb.18:                               ;   in Loop: Header=BB203_14 Depth=2
	ds_read_b128 v[40:43], v57 offset:3072
	ds_read_b128 v[24:27], v58 offset:3072
	s_branch .LBB203_10
.LBB203_19:                             ;   in Loop: Header=BB203_8 Depth=1
	; sched_barrier mask(0x00000000)
	s_nop 2
	v_cvt_i32_f32_e32 v1, v1
	v_cvt_i32_f32_e32 v2, v2
	;; [unrolled: 1-line block ×4, first 2 shown]
	v_cvt_f32_i32_dpp v1, v1 row_shl:1 row_mask:0xf bank_mask:0xf bound_ctrl:1
	v_cvt_f32_i32_dpp v2, v2 row_shl:2 row_mask:0xf bank_mask:0xf bound_ctrl:1
	v_cvt_i32_f32_e32 v6, v6
	v_cvt_f32_i32_dpp v3, v3 row_shl:3 row_mask:0xf bank_mask:0xf bound_ctrl:1
	v_add_f32_e32 v0, v0, v1
	v_cvt_i32_f32_e32 v1, v7
	v_add_f32_e32 v0, v0, v2
	v_cvt_f32_i32_dpp v2, v5 row_shl:1 row_mask:0xf bank_mask:0xf bound_ctrl:1
	v_add_f32_e32 v0, v0, v3
	v_cvt_f32_i32_dpp v3, v6 row_shl:2 row_mask:0xf bank_mask:0xf bound_ctrl:1
	v_cvt_f32_i32_dpp v1, v1 row_shl:3 row_mask:0xf bank_mask:0xf bound_ctrl:1
	v_add_f32_e32 v2, v4, v2
	v_cvt_i32_f32_e32 v5, v0
	v_add_f32_e32 v2, v2, v3
	v_add_f32_e32 v1, v2, v1
	v_cvt_i32_f32_e32 v2, v1
	v_cvt_f32_i32_dpp v3, v5 row_shl:4 row_mask:0xf bank_mask:0xf bound_ctrl:1
	v_add_f32_e32 v0, v0, v3
	v_cvt_f32_i32_dpp v2, v2 row_shl:4 row_mask:0xf bank_mask:0xf bound_ctrl:1
	v_cvt_i32_f32_e32 v3, v0
	v_add_f32_e32 v1, v1, v2
	v_cvt_i32_f32_e32 v2, v1
	v_cvt_f32_i32_dpp v3, v3 row_shl:8 row_mask:0xf bank_mask:0xf bound_ctrl:1
	v_add_f32_e32 v0, v0, v3
	v_cvt_f32_i32_dpp v2, v2 row_shl:8 row_mask:0xf bank_mask:0xf bound_ctrl:1
	v_cvt_i32_f32_e32 v0, v0
	v_add_f32_e32 v1, v1, v2
	v_cvt_i32_f32_e32 v1, v1
	v_cvt_f32_i32_dpp v0, v0 row_shr:15 row_mask:0xf bank_mask:0xf bound_ctrl:1
	v_cvt_i32_f32_e32 v2, v0
	v_cvt_f32_i32_dpp v1, v1 row_shr:15 row_mask:0xf bank_mask:0xf bound_ctrl:1
	s_nop 0
	v_cvt_f32_i32_dpp v2, v2 row_bcast:15 row_mask:0xf bank_mask:0xf bound_ctrl:1
	v_cvt_i32_f32_e32 v3, v1
	s_nop 1
	v_cvt_f32_i32_dpp v4, v3 row_bcast:15 row_mask:0xf bank_mask:0xf bound_ctrl:1
	v_add_f32_e32 v3, v0, v2
	v_add_f32_e32 v0, v1, v4
	v_cvt_i32_f32_e32 v1, v3
	v_cvt_i32_f32_e32 v2, v0
	s_nop 0
	v_mov_b32_dpp v4, v1 row_bcast:31 row_mask:0xf bank_mask:0xf bound_ctrl:1
	v_mov_b32_dpp v1, v2 row_bcast:31 row_mask:0xf bank_mask:0xf bound_ctrl:1
	s_and_saveexec_b64 s[20:21], s[0:1]
	s_cbranch_execz .LBB203_7
; %bb.20:                               ;   in Loop: Header=BB203_8 Depth=1
	s_andn2_b64 vcc, exec, s[18:19]
	v_mov_b32_e32 v2, 0
	v_mov_b32_e32 v5, 0
	s_cbranch_vccnz .LBB203_22
; %bb.21:                               ;   in Loop: Header=BB203_8 Depth=1
	v_mul_hi_u32 v2, v56, v63
	v_mul_lo_u32 v2, v2, s8
	v_sub_u32_e32 v2, v56, v2
	v_subrev_u32_e32 v5, s8, v2
	v_cmp_le_u32_e32 vcc, s8, v2
	s_nop 1
	v_cndmask_b32_e32 v2, v2, v5, vcc
	v_subrev_u32_e32 v5, s8, v2
	v_cmp_le_u32_e32 vcc, s8, v2
	s_nop 1
	v_cndmask_b32_e32 v58, v2, v5, vcc
	v_lshl_add_u64 v[6:7], v[58:59], 1, s[10:11]
	v_add_u32_e32 v58, s9, v58
	v_lshl_add_u64 v[8:9], v[58:59], 1, s[10:11]
	global_load_ushort v5, v[6:7], off
	global_load_ushort v2, v[8:9], off
.LBB203_22:                             ;   in Loop: Header=BB203_8 Depth=1
	v_cvt_f32_i32_e32 v4, v4
	v_add_f32_e32 v3, v3, v4
	s_waitcnt vmcnt(1)
	v_lshlrev_b32_e32 v4, 16, v5
	v_add_f32_e32 v4, v3, v4
	v_and_b32_e32 v3, 0x7f800000, v4
	v_cmp_ne_u32_e32 vcc, s31, v3
                                        ; implicit-def: $vgpr3
	s_and_saveexec_b64 s[22:23], vcc
	s_xor_b64 s[22:23], exec, s[22:23]
; %bb.23:                               ;   in Loop: Header=BB203_8 Depth=1
	v_bfe_u32 v3, v4, 16, 1
	v_add3_u32 v3, v4, v3, s33
                                        ; implicit-def: $vgpr4
; %bb.24:                               ;   in Loop: Header=BB203_8 Depth=1
	s_andn2_saveexec_b64 s[22:23], s[22:23]
; %bb.25:                               ;   in Loop: Header=BB203_8 Depth=1
	v_or_b32_e32 v3, 0x10000, v4
	v_cmp_eq_u32_sdwa vcc, v4, v59 src0_sel:WORD_0 src1_sel:DWORD
	s_nop 1
	v_cndmask_b32_e32 v3, v3, v4, vcc
; %bb.26:                               ;   in Loop: Header=BB203_8 Depth=1
	s_or_b64 exec, exec, s[22:23]
	v_cvt_f32_i32_e32 v1, v1
	v_mov_b32_e32 v57, v59
	s_waitcnt lgkmcnt(0)
	v_lshl_add_u64 v[4:5], v[56:57], 1, s[14:15]
	global_store_short_d16_hi v[4:5], v3, off
	v_add_f32_e32 v0, v0, v1
	s_waitcnt vmcnt(1)
	v_lshlrev_b32_e32 v1, 16, v2
	v_add_f32_e32 v1, v0, v1
	v_and_b32_e32 v0, 0x7f800000, v1
	v_cmp_ne_u32_e32 vcc, s31, v0
                                        ; implicit-def: $vgpr0
	s_and_saveexec_b64 s[22:23], vcc
	s_xor_b64 s[22:23], exec, s[22:23]
; %bb.27:                               ;   in Loop: Header=BB203_8 Depth=1
	v_bfe_u32 v0, v1, 16, 1
	v_add3_u32 v0, v1, v0, s33
                                        ; implicit-def: $vgpr1
; %bb.28:                               ;   in Loop: Header=BB203_8 Depth=1
	s_andn2_saveexec_b64 s[22:23], s[22:23]
	s_cbranch_execz .LBB203_6
; %bb.29:                               ;   in Loop: Header=BB203_8 Depth=1
	v_or_b32_e32 v0, 0x10000, v1
	v_cmp_eq_u32_sdwa vcc, v1, v59 src0_sel:WORD_0 src1_sel:DWORD
	s_nop 1
	v_cndmask_b32_e32 v0, v0, v1, vcc
	s_branch .LBB203_6
.LBB203_30:
	s_endpgm
	.section	.rodata,"a",@progbits
	.p2align	6, 0x0
	.amdhsa_kernel _Z16wvSplitK_hf_sml_I14__hip_bfloat16Li64ELi1ELi16ELi8ELi4ELi2EEviiiiiiPKT_S3_S3_PS1_ii
		.amdhsa_group_segment_fixed_size 65536
		.amdhsa_private_segment_fixed_size 0
		.amdhsa_kernarg_size 64
		.amdhsa_user_sgpr_count 2
		.amdhsa_user_sgpr_dispatch_ptr 0
		.amdhsa_user_sgpr_queue_ptr 0
		.amdhsa_user_sgpr_kernarg_segment_ptr 1
		.amdhsa_user_sgpr_dispatch_id 0
		.amdhsa_user_sgpr_kernarg_preload_length 0
		.amdhsa_user_sgpr_kernarg_preload_offset 0
		.amdhsa_user_sgpr_private_segment_size 0
		.amdhsa_uses_dynamic_stack 0
		.amdhsa_enable_private_segment 0
		.amdhsa_system_sgpr_workgroup_id_x 1
		.amdhsa_system_sgpr_workgroup_id_y 0
		.amdhsa_system_sgpr_workgroup_id_z 0
		.amdhsa_system_sgpr_workgroup_info 0
		.amdhsa_system_vgpr_workitem_id 1
		.amdhsa_next_free_vgpr 68
		.amdhsa_next_free_sgpr 35
		.amdhsa_accum_offset 68
		.amdhsa_reserve_vcc 1
		.amdhsa_float_round_mode_32 0
		.amdhsa_float_round_mode_16_64 0
		.amdhsa_float_denorm_mode_32 3
		.amdhsa_float_denorm_mode_16_64 3
		.amdhsa_dx10_clamp 1
		.amdhsa_ieee_mode 1
		.amdhsa_fp16_overflow 0
		.amdhsa_tg_split 0
		.amdhsa_exception_fp_ieee_invalid_op 0
		.amdhsa_exception_fp_denorm_src 0
		.amdhsa_exception_fp_ieee_div_zero 0
		.amdhsa_exception_fp_ieee_overflow 0
		.amdhsa_exception_fp_ieee_underflow 0
		.amdhsa_exception_fp_ieee_inexact 0
		.amdhsa_exception_int_div_zero 0
	.end_amdhsa_kernel
	.section	.text._Z16wvSplitK_hf_sml_I14__hip_bfloat16Li64ELi1ELi16ELi8ELi4ELi2EEviiiiiiPKT_S3_S3_PS1_ii,"axG",@progbits,_Z16wvSplitK_hf_sml_I14__hip_bfloat16Li64ELi1ELi16ELi8ELi4ELi2EEviiiiiiPKT_S3_S3_PS1_ii,comdat
.Lfunc_end203:
	.size	_Z16wvSplitK_hf_sml_I14__hip_bfloat16Li64ELi1ELi16ELi8ELi4ELi2EEviiiiiiPKT_S3_S3_PS1_ii, .Lfunc_end203-_Z16wvSplitK_hf_sml_I14__hip_bfloat16Li64ELi1ELi16ELi8ELi4ELi2EEviiiiiiPKT_S3_S3_PS1_ii
                                        ; -- End function
	.section	.AMDGPU.csdata,"",@progbits
; Kernel info:
; codeLenInByte = 1900
; NumSgprs: 41
; NumVgprs: 68
; NumAgprs: 0
; TotalNumVgprs: 68
; ScratchSize: 0
; MemoryBound: 0
; FloatMode: 240
; IeeeMode: 1
; LDSByteSize: 65536 bytes/workgroup (compile time only)
; SGPRBlocks: 5
; VGPRBlocks: 8
; NumSGPRsForWavesPerEU: 41
; NumVGPRsForWavesPerEU: 68
; AccumOffset: 68
; Occupancy: 4
; WaveLimiterHint : 0
; COMPUTE_PGM_RSRC2:SCRATCH_EN: 0
; COMPUTE_PGM_RSRC2:USER_SGPR: 2
; COMPUTE_PGM_RSRC2:TRAP_HANDLER: 0
; COMPUTE_PGM_RSRC2:TGID_X_EN: 1
; COMPUTE_PGM_RSRC2:TGID_Y_EN: 0
; COMPUTE_PGM_RSRC2:TGID_Z_EN: 0
; COMPUTE_PGM_RSRC2:TIDIG_COMP_CNT: 1
; COMPUTE_PGM_RSRC3_GFX90A:ACCUM_OFFSET: 16
; COMPUTE_PGM_RSRC3_GFX90A:TG_SPLIT: 0
	.section	.text._Z12wvSplitK_hf_I14__hip_bfloat16Li64ELi1ELi16ELi8ELi4ELi2EEviiiiiiPKT_S3_S3_PS1_ii,"axG",@progbits,_Z12wvSplitK_hf_I14__hip_bfloat16Li64ELi1ELi16ELi8ELi4ELi2EEviiiiiiPKT_S3_S3_PS1_ii,comdat
	.protected	_Z12wvSplitK_hf_I14__hip_bfloat16Li64ELi1ELi16ELi8ELi4ELi2EEviiiiiiPKT_S3_S3_PS1_ii ; -- Begin function _Z12wvSplitK_hf_I14__hip_bfloat16Li64ELi1ELi16ELi8ELi4ELi2EEviiiiiiPKT_S3_S3_PS1_ii
	.globl	_Z12wvSplitK_hf_I14__hip_bfloat16Li64ELi1ELi16ELi8ELi4ELi2EEviiiiiiPKT_S3_S3_PS1_ii
	.p2align	8
	.type	_Z12wvSplitK_hf_I14__hip_bfloat16Li64ELi1ELi16ELi8ELi4ELi2EEviiiiiiPKT_S3_S3_PS1_ii,@function
_Z12wvSplitK_hf_I14__hip_bfloat16Li64ELi1ELi16ELi8ELi4ELi2EEviiiiiiPKT_S3_S3_PS1_ii: ; @_Z12wvSplitK_hf_I14__hip_bfloat16Li64ELi1ELi16ELi8ELi4ELi2EEviiiiiiPKT_S3_S3_PS1_ii
; %bb.0:
	s_load_dwordx2 s[4:5], s[0:1], 0x38
	s_load_dwordx4 s[8:11], s[0:1], 0x0
	s_load_dwordx2 s[16:17], s[0:1], 0x10
	v_bfe_u32 v3, v0, 10, 10
	v_mov_b32_e32 v70, 1
	s_waitcnt lgkmcnt(0)
	s_mul_i32 s2, s2, s4
	v_add_u32_e32 v56, s2, v3
	v_add_u32_e32 v1, 1, v56
	v_cmp_gt_u32_e32 vcc, s11, v56
	v_cmp_le_u32_e64 s[2:3], s11, v1
	s_and_b64 s[6:7], vcc, s[2:3]
	s_and_saveexec_b64 s[2:3], s[6:7]
; %bb.1:
	v_subrev_u32_e32 v1, s11, v56
	v_cmp_eq_u32_e32 vcc, -1, v1
	s_add_i32 s6, s11, -1
	v_mov_b32_e32 v56, s6
	v_cndmask_b32_e64 v70, 0, 1, vcc
; %bb.2:
	s_or_b64 exec, exec, s[2:3]
	s_load_dwordx4 s[12:15], s[0:1], 0x20
	v_and_b32_e32 v2, 0x3ff, v0
	v_lshlrev_b32_e32 v71, 3, v2
	s_lshl_b32 s33, s10, 1
	v_lshl_add_u32 v4, v3, 9, v71
	s_min_u32 s20, s33, 0x8000
	v_cmp_gt_u32_e32 vcc, s20, v4
	s_and_saveexec_b64 s[2:3], vcc
	s_cbranch_execz .LBB204_5
; %bb.3:
	v_mov_b32_e32 v7, 0
	v_lshlrev_b32_e32 v6, 10, v3
	v_lshlrev_b32_e32 v8, 4, v2
	v_mov_b32_e32 v9, v7
	v_lshl_add_u64 v[0:1], v[6:7], 0, v[8:9]
	s_waitcnt lgkmcnt(0)
	v_lshl_add_u64 v[0:1], s[12:13], 0, v[0:1]
	v_add_u32_e32 v5, v6, v8
	s_mov_b64 s[6:7], 0
	s_mov_b64 s[18:19], 0x4000
.LBB204_4:                              ; =>This Inner Loop Header: Depth=1
	global_load_dwordx4 v[6:9], v[0:1], off
	v_add_u32_e32 v4, 0x2000, v4
	v_cmp_le_u32_e32 vcc, s20, v4
	v_lshl_add_u64 v[0:1], v[0:1], 0, s[18:19]
	s_or_b64 s[6:7], vcc, s[6:7]
	s_waitcnt vmcnt(0)
	ds_write_b128 v5, v[6:9]
	v_add_u32_e32 v5, 0x4000, v5
	s_andn2_b64 exec, exec, s[6:7]
	s_cbranch_execnz .LBB204_4
.LBB204_5:
	s_or_b64 exec, exec, s[2:3]
	v_cmp_gt_u32_e32 vcc, s4, v3
	v_cmp_gt_u32_e64 s[2:3], s11, v56
	s_and_b64 s[2:3], vcc, s[2:3]
	s_waitcnt lgkmcnt(0)
	s_barrier
	s_and_saveexec_b64 s[6:7], s[2:3]
	s_cbranch_execz .LBB204_64
; %bb.6:
	v_cvt_f32_u32_e32 v0, s16
	s_cmp_lg_u32 s8, 0
	s_cselect_b64 s[2:3], -1, 0
	s_add_i32 s38, s8, -8
	v_rcp_iflag_f32_e32 v0, v0
	s_add_i32 s39, s11, -1
	s_cmp_lg_u64 s[14:15], 0
	s_cselect_b64 s[24:25], -1, 0
	v_mul_f32_e32 v0, 0x4f7ffffe, v0
	v_cvt_u32_f32_e32 v0, v0
	s_mul_i32 s40, s5, s4
	s_sub_i32 s4, 0, s16
	s_sub_i32 s41, s40, s11
	v_mul_lo_u32 v1, s4, v0
	s_abs_i32 s4, s17
	s_add_i32 s41, s41, 2
	s_sub_i32 s5, 1, s4
	s_cmp_lt_u32 s4, 2
	s_load_dwordx2 s[18:19], s[0:1], 0x18
	s_load_dwordx2 s[20:21], s[0:1], 0x30
	s_cselect_b32 s5, s5, 1
	s_sub_i32 s6, s5, s4
	v_mul_hi_u32 v1, v0, v1
	s_cmp_ge_u32 s5, s4
	v_add_u32_e32 v72, v0, v1
	s_cselect_b32 s17, s6, s5
	v_cndmask_b32_e64 v0, 0, 1, s[2:3]
	v_cmp_eq_u32_e64 s[0:1], 63, v2
	s_mov_b64 s[22:23], 0
	v_mov_b32_e32 v59, 0
	s_mul_i32 s17, s17, s16
	v_lshlrev_b32_e32 v73, 4, v2
	v_add_u32_e32 v74, s10, v71
	v_cmp_ne_u32_e64 s[2:3], 1, v0
	s_movk_i32 s10, 0x7fff
	s_mov_b32 s42, 0x7f800000
	s_mov_b32 s26, 0
	s_branch .LBB204_9
.LBB204_7:                              ;   in Loop: Header=BB204_9 Depth=1
	s_or_b64 exec, exec, s[6:7]
	v_add_u32_e32 v58, s11, v56
	v_lshl_add_u64 v[2:3], v[58:59], 1, s[20:21]
	global_store_short_d16_hi v[2:3], v0, off
.LBB204_8:                              ;   in Loop: Header=BB204_9 Depth=1
	s_or_b64 exec, exec, s[4:5]
	v_add_u32_e32 v0, s40, v56
	v_add_u32_e32 v1, 1, v0
	v_cmp_le_u32_e32 vcc, s11, v0
	v_cmp_gt_u32_e64 s[4:5], s11, v1
	v_add_u32_e32 v1, s41, v56
	v_cmp_eq_u32_e64 s[6:7], 1, v1
	v_mov_b32_e32 v1, s39
	s_or_b64 vcc, vcc, s[4:5]
	v_cndmask_b32_e32 v56, v1, v0, vcc
	v_cmp_le_u32_e64 s[4:5], s11, v56
	s_or_b64 vcc, vcc, s[6:7]
	s_or_b64 s[22:23], s[4:5], s[22:23]
	v_cndmask_b32_e32 v70, 0, v70, vcc
	s_andn2_b64 exec, exec, s[22:23]
	s_cbranch_execz .LBB204_64
.LBB204_9:                              ; =>This Loop Header: Depth=1
                                        ;     Child Loop BB204_16 Depth 2
	s_and_b64 vcc, exec, s[2:3]
	v_mov_b32_e32 v3, v59
	s_waitcnt vmcnt(0)
	v_mov_b32_e32 v2, v59
	v_mov_b32_e32 v1, v59
	;; [unrolled: 1-line block ×7, first 2 shown]
	s_cbranch_vccnz .LBB204_52
; %bb.10:                               ;   in Loop: Header=BB204_9 Depth=1
	v_min_u32_e32 v0, s39, v56
	v_mul_lo_u32 v58, v0, s9
	v_mov_b32_e32 v4, 0
	s_waitcnt lgkmcnt(0)
	v_lshl_add_u64 v[60:61], v[58:59], 1, s[18:19]
	s_mov_b32 s4, 0
	v_mov_b32_e32 v57, v73
	s_mov_b32 s43, 0
	v_mov_b32_e32 v5, v4
	v_mov_b32_e32 v6, v4
	;; [unrolled: 1-line block ×7, first 2 shown]
	s_branch .LBB204_16
.LBB204_11:                             ;   in Loop: Header=BB204_16 Depth=2
	s_or_b64 exec, exec, s[36:37]
.LBB204_12:                             ;   in Loop: Header=BB204_16 Depth=2
	s_or_b64 exec, exec, s[34:35]
.LBB204_13:                             ;   in Loop: Header=BB204_16 Depth=2
	s_or_b64 exec, exec, s[30:31]
.LBB204_14:                             ;   in Loop: Header=BB204_16 Depth=2
	s_or_b64 exec, exec, s[28:29]
.LBB204_15:                             ;   in Loop: Header=BB204_16 Depth=2
	s_or_b64 exec, exec, s[6:7]
	s_waitcnt vmcnt(0) lgkmcnt(0)
	v_mfma_f32_4x4x4_16b_bf16 v[4:7], v[24:25], v[16:17], v[4:7]
	s_addk_i32 s43, 0x800
	v_mfma_f32_4x4x4_16b_bf16 v[0:3], v[28:29], v[16:17], v[0:3]
	v_add_u32_e32 v57, 0x1000, v57
	v_mfma_f32_4x4x4_16b_bf16 v[4:7], v[26:27], v[18:19], v[4:7]
	s_cmp_ge_u32 s43, s8
	v_mfma_f32_4x4x4_16b_bf16 v[0:3], v[30:31], v[18:19], v[0:3]
	v_mfma_f32_4x4x4_16b_bf16 v[4:7], v[32:33], v[12:13], v[4:7]
	s_nop 0
	v_mfma_f32_4x4x4_16b_bf16 v[0:3], v[36:37], v[12:13], v[0:3]
	v_mfma_f32_4x4x4_16b_bf16 v[4:7], v[34:35], v[14:15], v[4:7]
	s_nop 0
	;; [unrolled: 3-line block ×6, first 2 shown]
	v_mfma_f32_4x4x4_16b_bf16 v[0:3], v[54:55], v[10:11], v[0:3]
	s_cbranch_scc1 .LBB204_52
.LBB204_16:                             ;   Parent Loop BB204_9 Depth=1
                                        ; =>  This Inner Loop Header: Depth=2
	v_add_u32_e32 v68, s43, v71
	v_min_u32_e32 v58, s38, v68
	v_add_u32_e32 v66, 0x200, v68
	v_lshl_add_u64 v[8:9], v[58:59], 1, v[60:61]
	v_min_u32_e32 v58, s38, v66
	v_add_u32_e32 v64, 0x400, v68
	v_lshl_add_u64 v[10:11], v[58:59], 1, v[60:61]
	;; [unrolled: 3-line block ×3, first 2 shown]
	v_min_u32_e32 v58, s38, v62
	global_load_dwordx4 v[16:19], v[8:9], off nt
	global_load_dwordx4 v[12:15], v[10:11], off nt
	v_lshl_add_u64 v[26:27], v[58:59], 1, v[60:61]
	global_load_dwordx4 v[20:23], v[24:25], off nt
	global_load_dwordx4 v[8:11], v[26:27], off nt
	s_mov_b32 s5, s4
	v_cmp_gt_u32_e32 vcc, s8, v68
	v_mov_b64_e32 v[24:25], s[4:5]
	v_mov_b32_e32 v55, 0
	v_mov_b32_e32 v54, 0
	;; [unrolled: 1-line block ×4, first 2 shown]
	v_mov_b64_e32 v[26:27], s[4:5]
	v_mov_b64_e32 v[32:33], s[4:5]
	v_mov_b64_e32 v[34:35], s[4:5]
	v_mov_b64_e32 v[40:41], s[4:5]
	v_mov_b64_e32 v[42:43], s[4:5]
	v_mov_b64_e32 v[48:49], s[4:5]
	v_mov_b64_e32 v[50:51], s[4:5]
	v_mov_b64_e32 v[28:29], s[4:5]
	v_mov_b64_e32 v[30:31], s[4:5]
	v_mov_b64_e32 v[36:37], s[4:5]
	v_mov_b64_e32 v[38:39], s[4:5]
	v_mov_b64_e32 v[44:45], s[4:5]
	v_mov_b64_e32 v[46:47], s[4:5]
	s_and_saveexec_b64 s[6:7], vcc
	s_cbranch_execz .LBB204_15
; %bb.17:                               ;   in Loop: Header=BB204_16 Depth=2
	v_cmp_lt_u32_e32 vcc, s10, v68
                                        ; implicit-def: $vgpr24_vgpr25
	s_and_saveexec_b64 s[28:29], vcc
	s_xor_b64 s[28:29], exec, s[28:29]
	s_cbranch_execz .LBB204_19
; %bb.18:                               ;   in Loop: Header=BB204_16 Depth=2
	v_mov_b32_e32 v69, v59
	v_lshl_add_u64 v[24:25], v[68:69], 1, s[12:13]
	global_load_dwordx4 v[24:27], v[24:25], off
.LBB204_19:                             ;   in Loop: Header=BB204_16 Depth=2
	s_andn2_saveexec_b64 s[28:29], s[28:29]
	s_cbranch_execz .LBB204_21
; %bb.20:                               ;   in Loop: Header=BB204_16 Depth=2
	s_waitcnt vmcnt(0)
	ds_read_b128 v[24:27], v57
.LBB204_21:                             ;   in Loop: Header=BB204_16 Depth=2
	s_or_b64 exec, exec, s[28:29]
	v_add_u32_e32 v58, s43, v74
	v_cmp_lt_u32_e32 vcc, s10, v58
                                        ; implicit-def: $vgpr28_vgpr29
	s_and_saveexec_b64 s[28:29], vcc
	s_xor_b64 s[28:29], exec, s[28:29]
	s_cbranch_execz .LBB204_23
; %bb.22:                               ;   in Loop: Header=BB204_16 Depth=2
	v_lshl_add_u64 v[28:29], v[58:59], 1, s[12:13]
	global_load_dwordx4 v[28:31], v[28:29], off
.LBB204_23:                             ;   in Loop: Header=BB204_16 Depth=2
	s_andn2_saveexec_b64 s[28:29], s[28:29]
	s_cbranch_execz .LBB204_25
; %bb.24:                               ;   in Loop: Header=BB204_16 Depth=2
	s_waitcnt vmcnt(0)
	v_add_u32_e32 v28, s33, v57
	ds_read_b128 v[28:31], v28
.LBB204_25:                             ;   in Loop: Header=BB204_16 Depth=2
	s_or_b64 exec, exec, s[28:29]
	s_mov_b32 s27, s26
	v_cmp_gt_u32_e32 vcc, s8, v66
	v_mov_b32_e32 v55, 0
	v_mov_b64_e32 v[32:33], s[26:27]
	v_mov_b32_e32 v54, 0
	v_mov_b32_e32 v53, 0
	;; [unrolled: 1-line block ×3, first 2 shown]
	v_mov_b64_e32 v[34:35], s[26:27]
	v_mov_b64_e32 v[40:41], s[26:27]
	;; [unrolled: 1-line block ×9, first 2 shown]
	s_and_saveexec_b64 s[28:29], vcc
	s_cbranch_execz .LBB204_14
; %bb.26:                               ;   in Loop: Header=BB204_16 Depth=2
	v_cmp_lt_u32_e32 vcc, s10, v66
                                        ; implicit-def: $vgpr32_vgpr33
	s_and_saveexec_b64 s[30:31], vcc
	s_xor_b64 s[30:31], exec, s[30:31]
	s_cbranch_execz .LBB204_28
; %bb.27:                               ;   in Loop: Header=BB204_16 Depth=2
	v_mov_b32_e32 v67, v59
	v_lshl_add_u64 v[32:33], v[66:67], 1, s[12:13]
	global_load_dwordx4 v[32:35], v[32:33], off
.LBB204_28:                             ;   in Loop: Header=BB204_16 Depth=2
	s_andn2_saveexec_b64 s[30:31], s[30:31]
	s_cbranch_execz .LBB204_30
; %bb.29:                               ;   in Loop: Header=BB204_16 Depth=2
	s_waitcnt vmcnt(0)
	ds_read_b128 v[32:35], v57 offset:1024
.LBB204_30:                             ;   in Loop: Header=BB204_16 Depth=2
	s_or_b64 exec, exec, s[30:31]
	v_add_u32_e32 v38, 0x200, v58
	v_cmp_lt_u32_e32 vcc, s10, v38
                                        ; implicit-def: $vgpr36_vgpr37
	s_and_saveexec_b64 s[30:31], vcc
	s_xor_b64 s[30:31], exec, s[30:31]
	s_cbranch_execz .LBB204_32
; %bb.31:                               ;   in Loop: Header=BB204_16 Depth=2
	v_mov_b32_e32 v39, v59
	v_lshl_add_u64 v[36:37], v[38:39], 1, s[12:13]
	global_load_dwordx4 v[36:39], v[36:37], off
.LBB204_32:                             ;   in Loop: Header=BB204_16 Depth=2
	s_andn2_saveexec_b64 s[30:31], s[30:31]
	s_cbranch_execz .LBB204_34
; %bb.33:                               ;   in Loop: Header=BB204_16 Depth=2
	s_waitcnt vmcnt(0)
	v_add_u32_e32 v36, s33, v57
	ds_read_b128 v[36:39], v36 offset:1024
.LBB204_34:                             ;   in Loop: Header=BB204_16 Depth=2
	s_or_b64 exec, exec, s[30:31]
	s_mov_b32 s27, s26
	v_cmp_gt_u32_e32 vcc, s8, v64
	v_mov_b32_e32 v55, 0
	v_mov_b64_e32 v[40:41], s[26:27]
	v_mov_b32_e32 v54, 0
	v_mov_b32_e32 v53, 0
	;; [unrolled: 1-line block ×3, first 2 shown]
	v_mov_b64_e32 v[42:43], s[26:27]
	v_mov_b64_e32 v[48:49], s[26:27]
	;; [unrolled: 1-line block ×5, first 2 shown]
	s_and_saveexec_b64 s[30:31], vcc
	s_cbranch_execz .LBB204_13
; %bb.35:                               ;   in Loop: Header=BB204_16 Depth=2
	v_cmp_lt_u32_e32 vcc, s10, v64
                                        ; implicit-def: $vgpr40_vgpr41
	s_and_saveexec_b64 s[34:35], vcc
	s_xor_b64 s[34:35], exec, s[34:35]
	s_cbranch_execz .LBB204_37
; %bb.36:                               ;   in Loop: Header=BB204_16 Depth=2
	v_mov_b32_e32 v65, v59
	v_lshl_add_u64 v[40:41], v[64:65], 1, s[12:13]
	global_load_dwordx4 v[40:43], v[40:41], off
.LBB204_37:                             ;   in Loop: Header=BB204_16 Depth=2
	s_andn2_saveexec_b64 s[34:35], s[34:35]
	s_cbranch_execz .LBB204_39
; %bb.38:                               ;   in Loop: Header=BB204_16 Depth=2
	s_waitcnt vmcnt(0)
	ds_read_b128 v[40:43], v57 offset:2048
.LBB204_39:                             ;   in Loop: Header=BB204_16 Depth=2
	s_or_b64 exec, exec, s[34:35]
	v_add_u32_e32 v46, 0x400, v58
	v_cmp_lt_u32_e32 vcc, s10, v46
                                        ; implicit-def: $vgpr44_vgpr45
	s_and_saveexec_b64 s[34:35], vcc
	s_xor_b64 s[34:35], exec, s[34:35]
	s_cbranch_execz .LBB204_41
; %bb.40:                               ;   in Loop: Header=BB204_16 Depth=2
	v_mov_b32_e32 v47, v59
	v_lshl_add_u64 v[44:45], v[46:47], 1, s[12:13]
	global_load_dwordx4 v[44:47], v[44:45], off
.LBB204_41:                             ;   in Loop: Header=BB204_16 Depth=2
	s_andn2_saveexec_b64 s[34:35], s[34:35]
	s_cbranch_execz .LBB204_43
; %bb.42:                               ;   in Loop: Header=BB204_16 Depth=2
	s_waitcnt vmcnt(0)
	v_add_u32_e32 v44, s33, v57
	ds_read_b128 v[44:47], v44 offset:2048
.LBB204_43:                             ;   in Loop: Header=BB204_16 Depth=2
	s_or_b64 exec, exec, s[34:35]
	s_mov_b32 s27, s26
	v_cmp_gt_u32_e32 vcc, s8, v62
	v_mov_b32_e32 v55, 0
	v_mov_b64_e32 v[48:49], s[26:27]
	v_mov_b32_e32 v54, 0
	v_mov_b32_e32 v53, 0
	;; [unrolled: 1-line block ×3, first 2 shown]
	v_mov_b64_e32 v[50:51], s[26:27]
	s_and_saveexec_b64 s[34:35], vcc
	s_cbranch_execz .LBB204_12
; %bb.44:                               ;   in Loop: Header=BB204_16 Depth=2
	v_cmp_lt_u32_e32 vcc, s10, v62
                                        ; implicit-def: $vgpr48_vgpr49
	s_and_saveexec_b64 s[36:37], vcc
	s_xor_b64 s[36:37], exec, s[36:37]
	s_cbranch_execz .LBB204_46
; %bb.45:                               ;   in Loop: Header=BB204_16 Depth=2
	v_mov_b32_e32 v63, v59
	v_lshl_add_u64 v[48:49], v[62:63], 1, s[12:13]
	global_load_dwordx4 v[48:51], v[48:49], off
.LBB204_46:                             ;   in Loop: Header=BB204_16 Depth=2
	s_andn2_saveexec_b64 s[36:37], s[36:37]
	s_cbranch_execz .LBB204_48
; %bb.47:                               ;   in Loop: Header=BB204_16 Depth=2
	s_waitcnt vmcnt(0)
	ds_read_b128 v[48:51], v57 offset:3072
.LBB204_48:                             ;   in Loop: Header=BB204_16 Depth=2
	s_or_b64 exec, exec, s[36:37]
	v_add_u32_e32 v58, 0x600, v58
	v_cmp_lt_u32_e32 vcc, s10, v58
                                        ; implicit-def: $vgpr55
	s_and_saveexec_b64 s[36:37], vcc
	s_xor_b64 s[36:37], exec, s[36:37]
	s_cbranch_execz .LBB204_50
; %bb.49:                               ;   in Loop: Header=BB204_16 Depth=2
	v_lshl_add_u64 v[52:53], v[58:59], 1, s[12:13]
	global_load_dwordx4 v[52:55], v[52:53], off
.LBB204_50:                             ;   in Loop: Header=BB204_16 Depth=2
	s_andn2_saveexec_b64 s[36:37], s[36:37]
	s_cbranch_execz .LBB204_11
; %bb.51:                               ;   in Loop: Header=BB204_16 Depth=2
	s_waitcnt vmcnt(0)
	v_add_u32_e32 v52, s33, v57
	ds_read_b128 v[52:55], v52 offset:3072
	s_branch .LBB204_11
.LBB204_52:                             ;   in Loop: Header=BB204_9 Depth=1
	s_nop 1
	v_cvt_i32_f32_e32 v5, v5
	s_nop 0
	v_cvt_i32_f32_e32 v1, v1
	v_cvt_i32_f32_e32 v6, v6
	;; [unrolled: 1-line block ×5, first 2 shown]
	v_cvt_f32_i32_dpp v5, v5 row_shl:1 row_mask:0xf bank_mask:0xf bound_ctrl:1
	v_cvt_f32_i32_dpp v1, v1 row_shl:1 row_mask:0xf bank_mask:0xf bound_ctrl:1
	;; [unrolled: 1-line block ×6, first 2 shown]
	v_add_f32_e32 v4, v4, v5
	v_add_f32_e32 v0, v0, v1
	;; [unrolled: 1-line block ×6, first 2 shown]
	v_cvt_i32_f32_e32 v5, v4
	v_cvt_i32_f32_e32 v1, v0
	s_nop 0
	v_cvt_f32_i32_dpp v2, v5 row_shl:4 row_mask:0xf bank_mask:0xf bound_ctrl:1
	v_cvt_f32_i32_dpp v1, v1 row_shl:4 row_mask:0xf bank_mask:0xf bound_ctrl:1
	v_add_f32_e32 v2, v4, v2
	v_add_f32_e32 v0, v0, v1
	v_cvt_i32_f32_e32 v3, v2
	v_cvt_i32_f32_e32 v1, v0
	s_nop 0
	v_cvt_f32_i32_dpp v3, v3 row_shl:8 row_mask:0xf bank_mask:0xf bound_ctrl:1
	v_cvt_f32_i32_dpp v1, v1 row_shl:8 row_mask:0xf bank_mask:0xf bound_ctrl:1
	v_add_f32_e32 v2, v2, v3
	v_add_f32_e32 v0, v0, v1
	v_cvt_i32_f32_e32 v2, v2
	v_cvt_i32_f32_e32 v0, v0
	s_nop 0
	v_cvt_f32_i32_dpp v1, v2 row_shr:15 row_mask:0xf bank_mask:0xf bound_ctrl:1
	v_cvt_f32_i32_dpp v0, v0 row_shr:15 row_mask:0xf bank_mask:0xf bound_ctrl:1
	v_cvt_i32_f32_e32 v2, v1
	v_cvt_i32_f32_e32 v3, v0
	s_nop 0
	v_cvt_f32_i32_dpp v2, v2 row_bcast:15 row_mask:0xf bank_mask:0xf bound_ctrl:1
	v_cvt_f32_i32_dpp v4, v3 row_bcast:15 row_mask:0xf bank_mask:0xf bound_ctrl:1
	v_add_f32_e32 v3, v1, v2
	v_add_f32_e32 v0, v0, v4
	v_cvt_i32_f32_e32 v1, v3
	v_cvt_i32_f32_e32 v2, v0
	s_nop 0
	v_mov_b32_dpp v4, v1 row_bcast:31 row_mask:0xf bank_mask:0xf bound_ctrl:1
	v_mov_b32_dpp v1, v2 row_bcast:31 row_mask:0xf bank_mask:0xf bound_ctrl:1
	s_and_saveexec_b64 s[4:5], s[0:1]
	s_cbranch_execz .LBB204_8
; %bb.53:                               ;   in Loop: Header=BB204_9 Depth=1
	s_andn2_b64 vcc, exec, s[24:25]
	v_mov_b32_e32 v2, 0
	v_mov_b32_e32 v5, 0
	s_cbranch_vccnz .LBB204_55
; %bb.54:                               ;   in Loop: Header=BB204_9 Depth=1
	v_mul_hi_u32 v2, v56, v72
	v_mul_lo_u32 v2, v2, s16
	v_sub_u32_e32 v2, v56, v2
	v_subrev_u32_e32 v5, s16, v2
	v_cmp_le_u32_e32 vcc, s16, v2
	s_nop 1
	v_cndmask_b32_e32 v2, v2, v5, vcc
	v_subrev_u32_e32 v5, s16, v2
	v_cmp_le_u32_e32 vcc, s16, v2
	s_nop 1
	v_cndmask_b32_e32 v58, v2, v5, vcc
	v_lshl_add_u64 v[6:7], v[58:59], 1, s[14:15]
	v_add_u32_e32 v58, s17, v58
	v_lshl_add_u64 v[8:9], v[58:59], 1, s[14:15]
	global_load_ushort v5, v[6:7], off
	global_load_ushort v2, v[8:9], off
.LBB204_55:                             ;   in Loop: Header=BB204_9 Depth=1
	v_cmp_ne_u32_e32 vcc, 0, v70
	s_and_b64 exec, exec, vcc
	s_cbranch_execz .LBB204_8
; %bb.56:                               ;   in Loop: Header=BB204_9 Depth=1
	v_cvt_f32_i32_e32 v4, v4
	v_add_f32_e32 v3, v3, v4
	s_waitcnt vmcnt(1)
	v_lshlrev_b32_e32 v4, 16, v5
	v_add_f32_e32 v4, v3, v4
	v_and_b32_e32 v3, 0x7f800000, v4
	v_cmp_ne_u32_e32 vcc, s42, v3
                                        ; implicit-def: $vgpr3
	s_and_saveexec_b64 s[6:7], vcc
	s_xor_b64 s[6:7], exec, s[6:7]
; %bb.57:                               ;   in Loop: Header=BB204_9 Depth=1
	v_bfe_u32 v3, v4, 16, 1
	v_add3_u32 v3, v4, v3, s10
                                        ; implicit-def: $vgpr4
; %bb.58:                               ;   in Loop: Header=BB204_9 Depth=1
	s_andn2_saveexec_b64 s[6:7], s[6:7]
; %bb.59:                               ;   in Loop: Header=BB204_9 Depth=1
	v_or_b32_e32 v3, 0x10000, v4
	v_cmp_eq_u32_sdwa vcc, v4, v59 src0_sel:WORD_0 src1_sel:DWORD
	s_nop 1
	v_cndmask_b32_e32 v3, v3, v4, vcc
; %bb.60:                               ;   in Loop: Header=BB204_9 Depth=1
	s_or_b64 exec, exec, s[6:7]
	v_cvt_f32_i32_e32 v1, v1
	v_mov_b32_e32 v57, v59
	s_waitcnt lgkmcnt(0)
	v_lshl_add_u64 v[4:5], v[56:57], 1, s[20:21]
	global_store_short_d16_hi v[4:5], v3, off
	v_add_f32_e32 v0, v0, v1
	s_waitcnt vmcnt(1)
	v_lshlrev_b32_e32 v1, 16, v2
	v_add_f32_e32 v1, v0, v1
	v_and_b32_e32 v0, 0x7f800000, v1
	v_cmp_ne_u32_e32 vcc, s42, v0
                                        ; implicit-def: $vgpr0
	s_and_saveexec_b64 s[6:7], vcc
	s_xor_b64 s[6:7], exec, s[6:7]
; %bb.61:                               ;   in Loop: Header=BB204_9 Depth=1
	v_bfe_u32 v0, v1, 16, 1
	v_add3_u32 v0, v1, v0, s10
                                        ; implicit-def: $vgpr1
; %bb.62:                               ;   in Loop: Header=BB204_9 Depth=1
	s_andn2_saveexec_b64 s[6:7], s[6:7]
	s_cbranch_execz .LBB204_7
; %bb.63:                               ;   in Loop: Header=BB204_9 Depth=1
	v_or_b32_e32 v0, 0x10000, v1
	v_cmp_eq_u32_sdwa vcc, v1, v59 src0_sel:WORD_0 src1_sel:DWORD
	s_nop 1
	v_cndmask_b32_e32 v0, v0, v1, vcc
	s_branch .LBB204_7
.LBB204_64:
	s_endpgm
	.section	.rodata,"a",@progbits
	.p2align	6, 0x0
	.amdhsa_kernel _Z12wvSplitK_hf_I14__hip_bfloat16Li64ELi1ELi16ELi8ELi4ELi2EEviiiiiiPKT_S3_S3_PS1_ii
		.amdhsa_group_segment_fixed_size 65536
		.amdhsa_private_segment_fixed_size 0
		.amdhsa_kernarg_size 64
		.amdhsa_user_sgpr_count 2
		.amdhsa_user_sgpr_dispatch_ptr 0
		.amdhsa_user_sgpr_queue_ptr 0
		.amdhsa_user_sgpr_kernarg_segment_ptr 1
		.amdhsa_user_sgpr_dispatch_id 0
		.amdhsa_user_sgpr_kernarg_preload_length 0
		.amdhsa_user_sgpr_kernarg_preload_offset 0
		.amdhsa_user_sgpr_private_segment_size 0
		.amdhsa_uses_dynamic_stack 0
		.amdhsa_enable_private_segment 0
		.amdhsa_system_sgpr_workgroup_id_x 1
		.amdhsa_system_sgpr_workgroup_id_y 0
		.amdhsa_system_sgpr_workgroup_id_z 0
		.amdhsa_system_sgpr_workgroup_info 0
		.amdhsa_system_vgpr_workitem_id 1
		.amdhsa_next_free_vgpr 75
		.amdhsa_next_free_sgpr 44
		.amdhsa_accum_offset 76
		.amdhsa_reserve_vcc 1
		.amdhsa_float_round_mode_32 0
		.amdhsa_float_round_mode_16_64 0
		.amdhsa_float_denorm_mode_32 3
		.amdhsa_float_denorm_mode_16_64 3
		.amdhsa_dx10_clamp 1
		.amdhsa_ieee_mode 1
		.amdhsa_fp16_overflow 0
		.amdhsa_tg_split 0
		.amdhsa_exception_fp_ieee_invalid_op 0
		.amdhsa_exception_fp_denorm_src 0
		.amdhsa_exception_fp_ieee_div_zero 0
		.amdhsa_exception_fp_ieee_overflow 0
		.amdhsa_exception_fp_ieee_underflow 0
		.amdhsa_exception_fp_ieee_inexact 0
		.amdhsa_exception_int_div_zero 0
	.end_amdhsa_kernel
	.section	.text._Z12wvSplitK_hf_I14__hip_bfloat16Li64ELi1ELi16ELi8ELi4ELi2EEviiiiiiPKT_S3_S3_PS1_ii,"axG",@progbits,_Z12wvSplitK_hf_I14__hip_bfloat16Li64ELi1ELi16ELi8ELi4ELi2EEviiiiiiPKT_S3_S3_PS1_ii,comdat
.Lfunc_end204:
	.size	_Z12wvSplitK_hf_I14__hip_bfloat16Li64ELi1ELi16ELi8ELi4ELi2EEviiiiiiPKT_S3_S3_PS1_ii, .Lfunc_end204-_Z12wvSplitK_hf_I14__hip_bfloat16Li64ELi1ELi16ELi8ELi4ELi2EEviiiiiiPKT_S3_S3_PS1_ii
                                        ; -- End function
	.section	.AMDGPU.csdata,"",@progbits
; Kernel info:
; codeLenInByte = 2380
; NumSgprs: 50
; NumVgprs: 75
; NumAgprs: 0
; TotalNumVgprs: 75
; ScratchSize: 0
; MemoryBound: 1
; FloatMode: 240
; IeeeMode: 1
; LDSByteSize: 65536 bytes/workgroup (compile time only)
; SGPRBlocks: 6
; VGPRBlocks: 9
; NumSGPRsForWavesPerEU: 50
; NumVGPRsForWavesPerEU: 75
; AccumOffset: 76
; Occupancy: 4
; WaveLimiterHint : 0
; COMPUTE_PGM_RSRC2:SCRATCH_EN: 0
; COMPUTE_PGM_RSRC2:USER_SGPR: 2
; COMPUTE_PGM_RSRC2:TRAP_HANDLER: 0
; COMPUTE_PGM_RSRC2:TGID_X_EN: 1
; COMPUTE_PGM_RSRC2:TGID_Y_EN: 0
; COMPUTE_PGM_RSRC2:TGID_Z_EN: 0
; COMPUTE_PGM_RSRC2:TIDIG_COMP_CNT: 1
; COMPUTE_PGM_RSRC3_GFX90A:ACCUM_OFFSET: 18
; COMPUTE_PGM_RSRC3_GFX90A:TG_SPLIT: 0
	.section	.text._Z16wvSplitK_hf_big_I14__hip_bfloat16Li64ELi1ELi16ELi8ELi4ELi2EEviiiiiiPKT_S3_S3_PS1_ii,"axG",@progbits,_Z16wvSplitK_hf_big_I14__hip_bfloat16Li64ELi1ELi16ELi8ELi4ELi2EEviiiiiiPKT_S3_S3_PS1_ii,comdat
	.protected	_Z16wvSplitK_hf_big_I14__hip_bfloat16Li64ELi1ELi16ELi8ELi4ELi2EEviiiiiiPKT_S3_S3_PS1_ii ; -- Begin function _Z16wvSplitK_hf_big_I14__hip_bfloat16Li64ELi1ELi16ELi8ELi4ELi2EEviiiiiiPKT_S3_S3_PS1_ii
	.globl	_Z16wvSplitK_hf_big_I14__hip_bfloat16Li64ELi1ELi16ELi8ELi4ELi2EEviiiiiiPKT_S3_S3_PS1_ii
	.p2align	8
	.type	_Z16wvSplitK_hf_big_I14__hip_bfloat16Li64ELi1ELi16ELi8ELi4ELi2EEviiiiiiPKT_S3_S3_PS1_ii,@function
_Z16wvSplitK_hf_big_I14__hip_bfloat16Li64ELi1ELi16ELi8ELi4ELi2EEviiiiiiPKT_S3_S3_PS1_ii: ; @_Z16wvSplitK_hf_big_I14__hip_bfloat16Li64ELi1ELi16ELi8ELi4ELi2EEviiiiiiPKT_S3_S3_PS1_ii
; %bb.0:
	s_load_dwordx2 s[4:5], s[0:1], 0x38
	v_bfe_u32 v1, v0, 10, 10
	s_waitcnt lgkmcnt(0)
	v_cmp_gt_u32_e32 vcc, s4, v1
	s_and_saveexec_b64 s[6:7], vcc
	s_cbranch_execz .LBB205_46
; %bb.1:
	s_load_dwordx4 s[20:23], s[0:1], 0x0
	s_mul_i32 s2, s2, s4
	v_add_u32_e32 v56, s2, v1
	v_add_u32_e32 v2, 1, v56
	v_mov_b32_e32 v62, 1
	s_waitcnt lgkmcnt(0)
	v_cmp_gt_u32_e32 vcc, s23, v56
	v_cmp_le_u32_e64 s[2:3], s23, v2
	s_and_b64 s[6:7], vcc, s[2:3]
	s_and_saveexec_b64 s[2:3], s[6:7]
; %bb.2:
	v_subrev_u32_e32 v2, s23, v56
	v_cmp_eq_u32_e32 vcc, -1, v2
	s_add_i32 s6, s23, -1
	v_mov_b32_e32 v56, s6
	v_cndmask_b32_e64 v62, 0, 1, vcc
; %bb.3:
	s_or_b64 exec, exec, s[2:3]
	s_abs_i32 s2, s4
	v_cvt_f32_u32_e32 v2, s2
	s_sub_i32 s7, 0, s2
	s_abs_i32 s6, s23
	s_ashr_i32 s3, s23, 31
	v_rcp_iflag_f32_e32 v2, v2
	s_nop 0
	v_mul_f32_e32 v2, 0x4f7ffffe, v2
	v_cvt_u32_f32_e32 v2, v2
	s_nop 0
	v_readfirstlane_b32 s8, v2
	s_mul_i32 s7, s7, s8
	s_mul_hi_u32 s7, s8, s7
	s_add_i32 s8, s8, s7
	s_mul_hi_u32 s7, s6, s8
	s_mul_i32 s7, s7, s2
	s_sub_i32 s6, s6, s7
	s_sub_i32 s7, s6, s2
	s_cmp_ge_u32 s6, s2
	s_cselect_b32 s6, s7, s6
	s_sub_i32 s7, s6, s2
	s_cmp_ge_u32 s6, s2
	s_cselect_b32 s2, s7, s6
	s_xor_b32 s2, s2, s3
	s_sub_i32 s2, s2, s3
	s_add_i32 s3, s4, s23
	s_sub_i32 s3, s3, s2
	s_cmp_eq_u32 s2, 0
	s_cselect_b32 s33, s23, s3
	v_cmp_gt_u32_e32 vcc, s33, v56
	s_and_b64 exec, exec, vcc
	s_cbranch_execz .LBB205_46
; %bb.4:
	s_load_dwordx8 s[12:19], s[0:1], 0x10
	s_min_u32 s38, s22, 0x4000
	s_cmp_lg_u32 s20, 0
	s_cselect_b64 s[2:3], -1, 0
	s_cmp_lg_u32 s22, 0
	s_waitcnt lgkmcnt(0)
	v_cvt_f32_u32_e32 v2, s12
	s_cselect_b64 s[6:7], -1, 0
	s_lshl_b32 s39, s4, 9
	s_add_i32 s40, s20, -8
	v_rcp_iflag_f32_e32 v2, v2
	s_add_i32 s41, s23, -1
	s_cmp_lg_u64 s[18:19], 0
	s_mul_i32 s42, s5, s4
	v_mul_f32_e32 v2, 0x4f7ffffe, v2
	v_cvt_u32_f32_e32 v2, v2
	s_cselect_b64 s[26:27], -1, 0
	s_sub_i32 s5, 0, s12
	s_sub_i32 s43, s42, s23
	v_mul_lo_u32 v3, s5, v2
	s_abs_i32 s5, s13
	s_add_i32 s43, s43, 2
	s_sub_i32 s8, 1, s5
	s_cmp_lt_u32 s5, 2
	s_load_dwordx2 s[10:11], s[0:1], 0x30
	v_and_b32_e32 v0, 0x3ff, v0
	s_cselect_b32 s8, s8, 1
	v_lshlrev_b32_e32 v63, 3, v0
	v_cmp_eq_u32_e64 s[0:1], 63, v0
	s_sub_i32 s9, s8, s5
	v_lshlrev_b32_e32 v0, 4, v0
	s_cmp_ge_u32 s8, s5
	v_lshl_add_u32 v65, v1, 10, v0
	v_cndmask_b32_e64 v0, 0, 1, s[2:3]
	v_mul_hi_u32 v3, v2, v3
	s_cselect_b32 s13, s9, s8
	v_lshl_add_u32 v66, v1, 9, v63
	v_cmp_ne_u32_e64 s[2:3], 1, v0
	v_cndmask_b32_e64 v0, 0, 1, s[6:7]
	s_mov_b64 s[24:25], 0
	v_add_u32_e32 v64, v2, v3
	v_mov_b32_e32 v59, 0
	s_mul_i32 s13, s13, s12
	s_lshl_b32 s44, s38, 1
	s_lshl_b32 s45, s4, 10
	v_add_u32_e32 v67, s22, v66
	v_cmp_ne_u32_e64 s[4:5], 1, v0
	s_mov_b32 s46, 0x7f800000
	s_movk_i32 s47, 0x7fff
	s_branch .LBB205_7
.LBB205_5:                              ;   in Loop: Header=BB205_7 Depth=1
	s_or_b64 exec, exec, s[6:7]
.LBB205_6:                              ;   in Loop: Header=BB205_7 Depth=1
	s_or_b64 exec, exec, s[8:9]
	v_cmp_le_u32_e32 vcc, s33, v8
	s_or_b64 s[24:25], vcc, s[24:25]
	v_mov_b32_e32 v56, v8
	s_andn2_b64 exec, exec, s[24:25]
	s_cbranch_execz .LBB205_46
.LBB205_7:                              ; =>This Loop Header: Depth=1
                                        ;     Child Loop BB205_14 Depth 2
                                        ;       Child Loop BB205_19 Depth 3
	s_and_b64 vcc, exec, s[2:3]
	v_mov_b32_e32 v3, v59
	s_waitcnt vmcnt(0)
	v_mov_b32_e32 v2, v59
	v_mov_b32_e32 v1, v59
	;; [unrolled: 1-line block ×7, first 2 shown]
	s_cbranch_vccnz .LBB205_28
; %bb.8:                                ;   in Loop: Header=BB205_7 Depth=1
	v_min_u32_e32 v0, s41, v56
	v_mul_lo_u32 v58, v0, s21
	v_mov_b32_e32 v4, 0
	v_cmp_gt_u32_e64 s[6:7], s23, v56
	v_lshl_add_u64 v[60:61], v[58:59], 1, s[14:15]
	s_mov_b32 s48, 0
	s_mov_b32 s49, 0
	v_mov_b32_e32 v5, v4
	v_mov_b32_e32 v6, v4
	v_mov_b32_e32 v7, v4
	v_mov_b32_e32 v0, v4
	v_mov_b32_e32 v1, v4
	v_mov_b32_e32 v2, v4
	v_mov_b32_e32 v3, v4
	s_branch .LBB205_14
.LBB205_9:                              ;   in Loop: Header=BB205_14 Depth=2
	s_or_b64 exec, exec, s[36:37]
.LBB205_10:                             ;   in Loop: Header=BB205_14 Depth=2
	s_or_b64 exec, exec, s[34:35]
.LBB205_11:                             ;   in Loop: Header=BB205_14 Depth=2
	s_or_b64 exec, exec, s[30:31]
.LBB205_12:                             ;   in Loop: Header=BB205_14 Depth=2
	s_or_b64 exec, exec, s[28:29]
	s_waitcnt vmcnt(3) lgkmcnt(0)
	v_mfma_f32_4x4x4_16b_bf16 v[4:7], v[52:53], v[20:21], v[4:7]
	v_mfma_f32_4x4x4_16b_bf16 v[0:3], v[24:25], v[20:21], v[0:3]
	s_nop 0
	v_mfma_f32_4x4x4_16b_bf16 v[4:7], v[54:55], v[22:23], v[4:7]
	v_mfma_f32_4x4x4_16b_bf16 v[0:3], v[26:27], v[22:23], v[0:3]
	s_waitcnt vmcnt(2)
	v_mfma_f32_4x4x4_16b_bf16 v[4:7], v[48:49], v[12:13], v[4:7]
	v_mfma_f32_4x4x4_16b_bf16 v[0:3], v[32:33], v[12:13], v[0:3]
	s_nop 0
	v_mfma_f32_4x4x4_16b_bf16 v[4:7], v[50:51], v[14:15], v[4:7]
	v_mfma_f32_4x4x4_16b_bf16 v[0:3], v[34:35], v[14:15], v[0:3]
	s_waitcnt vmcnt(1)
	;; [unrolled: 6-line block ×3, first 2 shown]
	v_mfma_f32_4x4x4_16b_bf16 v[4:7], v[40:41], v[8:9], v[4:7]
	v_mfma_f32_4x4x4_16b_bf16 v[0:3], v[28:29], v[8:9], v[0:3]
	s_nop 0
	v_mfma_f32_4x4x4_16b_bf16 v[4:7], v[42:43], v[10:11], v[4:7]
	v_mfma_f32_4x4x4_16b_bf16 v[0:3], v[30:31], v[10:11], v[0:3]
.LBB205_13:                             ;   in Loop: Header=BB205_14 Depth=2
	s_or_b64 exec, exec, s[8:9]
	s_addk_i32 s49, 0x800
	s_cmp_ge_u32 s49, s20
	s_cbranch_scc1 .LBB205_28
.LBB205_14:                             ;   Parent Loop BB205_7 Depth=1
                                        ; =>  This Loop Header: Depth=2
                                        ;       Child Loop BB205_19 Depth 3
	s_cmp_eq_u32 s49, 0
	s_cselect_b64 s[8:9], -1, 0
	s_add_i32 s28, s48, s38
	s_cmp_eq_u32 s49, s28
	s_cselect_b64 s[30:31], -1, 0
	s_or_b64 s[30:31], s[8:9], s[30:31]
	s_andn2_b64 vcc, exec, s[30:31]
	s_cbranch_vccz .LBB205_16
; %bb.15:                               ;   in Loop: Header=BB205_14 Depth=2
	s_and_saveexec_b64 s[8:9], s[6:7]
	s_cbranch_execz .LBB205_13
	s_branch .LBB205_23
.LBB205_16:                             ;   in Loop: Header=BB205_14 Depth=2
	s_and_b64 s[8:9], s[8:9], exec
	s_cselect_b32 s48, s48, s28
	s_and_b64 vcc, exec, s[4:5]
	s_waitcnt lgkmcnt(0)
	s_barrier
	s_cbranch_vccnz .LBB205_22
; %bb.17:                               ;   in Loop: Header=BB205_14 Depth=2
	v_add_u32_e32 v8, s48, v67
	v_add_u32_e32 v9, s48, v66
	s_mov_b32 s34, 0
	s_mov_b64 s[28:29], 0
	v_mov_b32_e32 v10, v65
                                        ; implicit-def: $sgpr30_sgpr31
	s_branch .LBB205_19
.LBB205_18:                             ;   in Loop: Header=BB205_19 Depth=3
	s_or_b64 exec, exec, s[8:9]
	s_and_b64 s[8:9], exec, s[30:31]
	s_or_b64 s[28:29], s[8:9], s[28:29]
	s_andn2_b64 exec, exec, s[28:29]
	s_cbranch_execz .LBB205_21
.LBB205_19:                             ;   Parent Loop BB205_7 Depth=1
                                        ;     Parent Loop BB205_14 Depth=2
                                        ; =>    This Inner Loop Header: Depth=3
	v_add_u32_e32 v11, s34, v66
	v_add_u32_e32 v58, s34, v9
	v_cmp_gt_u32_e32 vcc, s22, v58
	v_cmp_gt_u32_e64 s[8:9], s38, v11
	s_and_b64 s[36:37], s[8:9], vcc
	s_or_b64 s[30:31], s[30:31], exec
	s_and_saveexec_b64 s[8:9], s[36:37]
	s_cbranch_execz .LBB205_18
; %bb.20:                               ;   in Loop: Header=BB205_19 Depth=3
	v_lshl_add_u64 v[12:13], v[58:59], 1, s[16:17]
	v_add_u32_e32 v58, s34, v8
	global_load_dwordx4 v[12:15], v[12:13], off
	v_lshl_add_u64 v[16:17], v[58:59], 1, s[16:17]
	global_load_dwordx4 v[16:19], v[16:17], off
	s_add_i32 s34, s34, s39
	s_cmp_ge_u32 s34, s38
	s_cselect_b64 s[36:37], -1, 0
	s_andn2_b64 s[30:31], s[30:31], exec
	s_and_b64 s[36:37], s[36:37], exec
	v_add_u32_e32 v11, s44, v10
	s_or_b64 s[30:31], s[30:31], s[36:37]
	s_waitcnt vmcnt(1)
	ds_write_b128 v10, v[12:15]
	v_add_u32_e32 v10, s45, v10
	s_waitcnt vmcnt(0)
	ds_write2_b64 v11, v[16:17], v[18:19] offset1:1
	s_branch .LBB205_18
.LBB205_21:                             ;   in Loop: Header=BB205_14 Depth=2
	s_or_b64 exec, exec, s[28:29]
.LBB205_22:                             ;   in Loop: Header=BB205_14 Depth=2
	s_waitcnt lgkmcnt(0)
	s_barrier
	s_and_saveexec_b64 s[8:9], s[6:7]
	s_cbranch_execz .LBB205_13
.LBB205_23:                             ;   in Loop: Header=BB205_14 Depth=2
	v_add_u32_e32 v69, s49, v63
	v_min_u32_e32 v58, s40, v69
	v_add_u32_e32 v70, 0x200, v69
	v_lshl_add_u64 v[8:9], v[58:59], 1, v[60:61]
	v_min_u32_e32 v58, s40, v70
	v_add_u32_e32 v68, 0x400, v69
	v_lshl_add_u64 v[10:11], v[58:59], 1, v[60:61]
	;; [unrolled: 3-line block ×3, first 2 shown]
	v_min_u32_e32 v58, s40, v57
	global_load_dwordx4 v[20:23], v[8:9], off nt
	global_load_dwordx4 v[12:15], v[10:11], off nt
	v_lshl_add_u64 v[26:27], v[58:59], 1, v[60:61]
	global_load_dwordx4 v[16:19], v[24:25], off nt
	global_load_dwordx4 v[8:11], v[26:27], off nt
	v_cmp_gt_u32_e32 vcc, s20, v69
	v_mov_b32_e32 v46, 0
	v_mov_b32_e32 v47, 0
	;; [unrolled: 1-line block ×32, first 2 shown]
	s_and_saveexec_b64 s[28:29], vcc
	s_cbranch_execz .LBB205_12
; %bb.24:                               ;   in Loop: Header=BB205_14 Depth=2
	v_subrev_u32_e32 v24, s48, v69
	v_lshlrev_b32_e32 v69, 1, v24
	v_lshl_add_u32 v58, s38, 1, v69
	ds_read_b128 v[52:55], v69
	ds_read_b128 v[24:27], v58
	v_cmp_gt_u32_e32 vcc, s20, v70
	v_mov_b32_e32 v31, 0
	v_mov_b32_e32 v30, 0
	;; [unrolled: 1-line block ×24, first 2 shown]
	s_and_saveexec_b64 s[30:31], vcc
	s_cbranch_execz .LBB205_11
; %bb.25:                               ;   in Loop: Header=BB205_14 Depth=2
	ds_read_b128 v[48:51], v69 offset:1024
	ds_read_b128 v[32:35], v58 offset:1024
	v_cmp_gt_u32_e32 vcc, s20, v68
	v_mov_b32_e32 v31, 0
	v_mov_b32_e32 v30, 0
	;; [unrolled: 1-line block ×16, first 2 shown]
	s_and_saveexec_b64 s[34:35], vcc
	s_cbranch_execz .LBB205_10
; %bb.26:                               ;   in Loop: Header=BB205_14 Depth=2
	ds_read_b128 v[36:39], v69 offset:2048
	ds_read_b128 v[44:47], v58 offset:2048
	v_cmp_gt_u32_e32 vcc, s20, v57
	v_mov_b32_e32 v31, 0
	v_mov_b32_e32 v30, 0
	;; [unrolled: 1-line block ×8, first 2 shown]
	s_and_saveexec_b64 s[36:37], vcc
	s_cbranch_execz .LBB205_9
; %bb.27:                               ;   in Loop: Header=BB205_14 Depth=2
	ds_read_b128 v[40:43], v69 offset:3072
	ds_read_b128 v[28:31], v58 offset:3072
	s_branch .LBB205_9
.LBB205_28:                             ;   in Loop: Header=BB205_7 Depth=1
	v_cmp_le_u32_e32 vcc, s23, v56
                                        ; implicit-def: $vgpr8
	s_and_saveexec_b64 s[6:7], vcc
	s_xor_b64 s[6:7], exec, s[6:7]
; %bb.29:                               ;   in Loop: Header=BB205_7 Depth=1
	v_add_u32_e32 v8, s42, v56
                                        ; implicit-def: $vgpr56
                                        ; implicit-def: $vgpr3
                                        ; implicit-def: $vgpr7
; %bb.30:                               ;   in Loop: Header=BB205_7 Depth=1
	s_andn2_saveexec_b64 s[8:9], s[6:7]
	s_cbranch_execz .LBB205_6
; %bb.31:                               ;   in Loop: Header=BB205_7 Depth=1
	v_cvt_i32_f32_e32 v5, v5
	v_cvt_i32_f32_e32 v1, v1
	;; [unrolled: 1-line block ×6, first 2 shown]
	v_cvt_f32_i32_dpp v5, v5 row_shl:1 row_mask:0xf bank_mask:0xf bound_ctrl:1
	v_cvt_f32_i32_dpp v1, v1 row_shl:1 row_mask:0xf bank_mask:0xf bound_ctrl:1
	;; [unrolled: 1-line block ×6, first 2 shown]
	v_add_f32_e32 v4, v4, v5
	v_add_f32_e32 v0, v0, v1
	;; [unrolled: 1-line block ×6, first 2 shown]
	v_cvt_i32_f32_e32 v5, v4
	v_cvt_i32_f32_e32 v1, v0
	s_nop 0
	v_cvt_f32_i32_dpp v2, v5 row_shl:4 row_mask:0xf bank_mask:0xf bound_ctrl:1
	v_cvt_f32_i32_dpp v1, v1 row_shl:4 row_mask:0xf bank_mask:0xf bound_ctrl:1
	v_add_f32_e32 v2, v4, v2
	v_add_f32_e32 v0, v0, v1
	v_cvt_i32_f32_e32 v3, v2
	v_cvt_i32_f32_e32 v1, v0
	s_nop 0
	v_cvt_f32_i32_dpp v3, v3 row_shl:8 row_mask:0xf bank_mask:0xf bound_ctrl:1
	v_cvt_f32_i32_dpp v1, v1 row_shl:8 row_mask:0xf bank_mask:0xf bound_ctrl:1
	v_add_f32_e32 v2, v2, v3
	v_add_f32_e32 v0, v0, v1
	v_cvt_i32_f32_e32 v2, v2
	v_cvt_i32_f32_e32 v0, v0
	s_nop 0
	v_cvt_f32_i32_dpp v1, v2 row_shr:15 row_mask:0xf bank_mask:0xf bound_ctrl:1
	v_cvt_f32_i32_dpp v0, v0 row_shr:15 row_mask:0xf bank_mask:0xf bound_ctrl:1
	v_cvt_i32_f32_e32 v2, v1
	v_cvt_i32_f32_e32 v3, v0
	s_nop 0
	v_cvt_f32_i32_dpp v2, v2 row_bcast:15 row_mask:0xf bank_mask:0xf bound_ctrl:1
	v_cvt_f32_i32_dpp v4, v3 row_bcast:15 row_mask:0xf bank_mask:0xf bound_ctrl:1
	v_add_f32_e32 v3, v1, v2
	v_add_f32_e32 v0, v0, v4
	v_cvt_i32_f32_e32 v1, v3
	v_cvt_i32_f32_e32 v2, v0
	s_nop 0
	v_mov_b32_dpp v4, v1 row_bcast:31 row_mask:0xf bank_mask:0xf bound_ctrl:1
	v_mov_b32_dpp v1, v2 row_bcast:31 row_mask:0xf bank_mask:0xf bound_ctrl:1
	s_and_saveexec_b64 s[6:7], s[0:1]
	s_cbranch_execz .LBB205_44
; %bb.32:                               ;   in Loop: Header=BB205_7 Depth=1
	s_andn2_b64 vcc, exec, s[26:27]
	v_mov_b32_e32 v2, 0
	v_mov_b32_e32 v5, 0
	s_cbranch_vccnz .LBB205_34
; %bb.33:                               ;   in Loop: Header=BB205_7 Depth=1
	v_mul_hi_u32 v2, v56, v64
	v_mul_lo_u32 v2, v2, s12
	v_sub_u32_e32 v2, v56, v2
	v_subrev_u32_e32 v5, s12, v2
	v_cmp_le_u32_e32 vcc, s12, v2
	s_nop 1
	v_cndmask_b32_e32 v2, v2, v5, vcc
	v_subrev_u32_e32 v5, s12, v2
	v_cmp_le_u32_e32 vcc, s12, v2
	s_nop 1
	v_cndmask_b32_e32 v58, v2, v5, vcc
	v_lshl_add_u64 v[6:7], v[58:59], 1, s[18:19]
	v_add_u32_e32 v58, s13, v58
	v_lshl_add_u64 v[8:9], v[58:59], 1, s[18:19]
	global_load_ushort v5, v[6:7], off
	global_load_ushort v2, v[8:9], off
.LBB205_34:                             ;   in Loop: Header=BB205_7 Depth=1
	v_cmp_ne_u32_e32 vcc, 0, v62
	s_and_b64 exec, exec, vcc
	s_cbranch_execz .LBB205_44
; %bb.35:                               ;   in Loop: Header=BB205_7 Depth=1
	v_cvt_f32_i32_e32 v4, v4
	v_add_f32_e32 v3, v3, v4
	s_waitcnt vmcnt(1)
	v_lshlrev_b32_e32 v4, 16, v5
	v_add_f32_e32 v4, v3, v4
	v_and_b32_e32 v3, 0x7f800000, v4
	v_cmp_ne_u32_e32 vcc, s46, v3
                                        ; implicit-def: $vgpr3
	s_and_saveexec_b64 s[28:29], vcc
	s_xor_b64 s[28:29], exec, s[28:29]
; %bb.36:                               ;   in Loop: Header=BB205_7 Depth=1
	v_bfe_u32 v3, v4, 16, 1
	v_add3_u32 v3, v4, v3, s47
                                        ; implicit-def: $vgpr4
; %bb.37:                               ;   in Loop: Header=BB205_7 Depth=1
	s_andn2_saveexec_b64 s[28:29], s[28:29]
; %bb.38:                               ;   in Loop: Header=BB205_7 Depth=1
	v_or_b32_e32 v3, 0x10000, v4
	v_cmp_eq_u32_sdwa vcc, v4, v59 src0_sel:WORD_0 src1_sel:DWORD
	s_nop 1
	v_cndmask_b32_e32 v3, v3, v4, vcc
; %bb.39:                               ;   in Loop: Header=BB205_7 Depth=1
	s_or_b64 exec, exec, s[28:29]
	v_cvt_f32_i32_e32 v1, v1
	v_mov_b32_e32 v57, v59
	s_waitcnt lgkmcnt(0)
	v_lshl_add_u64 v[4:5], v[56:57], 1, s[10:11]
	global_store_short_d16_hi v[4:5], v3, off
	v_add_f32_e32 v0, v0, v1
	s_waitcnt vmcnt(1)
	v_lshlrev_b32_e32 v1, 16, v2
	v_add_f32_e32 v1, v0, v1
	v_and_b32_e32 v0, 0x7f800000, v1
	v_cmp_ne_u32_e32 vcc, s46, v0
                                        ; implicit-def: $vgpr0
	s_and_saveexec_b64 s[28:29], vcc
	s_xor_b64 s[28:29], exec, s[28:29]
; %bb.40:                               ;   in Loop: Header=BB205_7 Depth=1
	v_bfe_u32 v0, v1, 16, 1
	v_add3_u32 v0, v1, v0, s47
                                        ; implicit-def: $vgpr1
; %bb.41:                               ;   in Loop: Header=BB205_7 Depth=1
	s_andn2_saveexec_b64 s[28:29], s[28:29]
; %bb.42:                               ;   in Loop: Header=BB205_7 Depth=1
	v_or_b32_e32 v0, 0x10000, v1
	v_cmp_eq_u32_sdwa vcc, v1, v59 src0_sel:WORD_0 src1_sel:DWORD
	s_nop 1
	v_cndmask_b32_e32 v0, v0, v1, vcc
; %bb.43:                               ;   in Loop: Header=BB205_7 Depth=1
	s_or_b64 exec, exec, s[28:29]
	v_add_u32_e32 v58, s23, v56
	v_lshl_add_u64 v[2:3], v[58:59], 1, s[10:11]
	global_store_short_d16_hi v[2:3], v0, off
.LBB205_44:                             ;   in Loop: Header=BB205_7 Depth=1
	s_or_b64 exec, exec, s[6:7]
	v_add_u32_e32 v8, s42, v56
	v_add_u32_e32 v0, 1, v8
	v_cmp_gt_u32_e32 vcc, s23, v8
	v_cmp_le_u32_e64 s[6:7], s23, v0
	s_and_b64 s[28:29], vcc, s[6:7]
	s_and_saveexec_b64 s[6:7], s[28:29]
	s_cbranch_execz .LBB205_5
; %bb.45:                               ;   in Loop: Header=BB205_7 Depth=1
	v_add_u32_e32 v0, s43, v56
	v_cmp_eq_u32_e32 vcc, 1, v0
	v_mov_b32_e32 v8, s41
	s_nop 0
	v_cndmask_b32_e32 v62, 0, v62, vcc
	s_branch .LBB205_5
.LBB205_46:
	s_endpgm
	.section	.rodata,"a",@progbits
	.p2align	6, 0x0
	.amdhsa_kernel _Z16wvSplitK_hf_big_I14__hip_bfloat16Li64ELi1ELi16ELi8ELi4ELi2EEviiiiiiPKT_S3_S3_PS1_ii
		.amdhsa_group_segment_fixed_size 65536
		.amdhsa_private_segment_fixed_size 0
		.amdhsa_kernarg_size 64
		.amdhsa_user_sgpr_count 2
		.amdhsa_user_sgpr_dispatch_ptr 0
		.amdhsa_user_sgpr_queue_ptr 0
		.amdhsa_user_sgpr_kernarg_segment_ptr 1
		.amdhsa_user_sgpr_dispatch_id 0
		.amdhsa_user_sgpr_kernarg_preload_length 0
		.amdhsa_user_sgpr_kernarg_preload_offset 0
		.amdhsa_user_sgpr_private_segment_size 0
		.amdhsa_uses_dynamic_stack 0
		.amdhsa_enable_private_segment 0
		.amdhsa_system_sgpr_workgroup_id_x 1
		.amdhsa_system_sgpr_workgroup_id_y 0
		.amdhsa_system_sgpr_workgroup_id_z 0
		.amdhsa_system_sgpr_workgroup_info 0
		.amdhsa_system_vgpr_workitem_id 1
		.amdhsa_next_free_vgpr 71
		.amdhsa_next_free_sgpr 50
		.amdhsa_accum_offset 72
		.amdhsa_reserve_vcc 1
		.amdhsa_float_round_mode_32 0
		.amdhsa_float_round_mode_16_64 0
		.amdhsa_float_denorm_mode_32 3
		.amdhsa_float_denorm_mode_16_64 3
		.amdhsa_dx10_clamp 1
		.amdhsa_ieee_mode 1
		.amdhsa_fp16_overflow 0
		.amdhsa_tg_split 0
		.amdhsa_exception_fp_ieee_invalid_op 0
		.amdhsa_exception_fp_denorm_src 0
		.amdhsa_exception_fp_ieee_div_zero 0
		.amdhsa_exception_fp_ieee_overflow 0
		.amdhsa_exception_fp_ieee_underflow 0
		.amdhsa_exception_fp_ieee_inexact 0
		.amdhsa_exception_int_div_zero 0
	.end_amdhsa_kernel
	.section	.text._Z16wvSplitK_hf_big_I14__hip_bfloat16Li64ELi1ELi16ELi8ELi4ELi2EEviiiiiiPKT_S3_S3_PS1_ii,"axG",@progbits,_Z16wvSplitK_hf_big_I14__hip_bfloat16Li64ELi1ELi16ELi8ELi4ELi2EEviiiiiiPKT_S3_S3_PS1_ii,comdat
.Lfunc_end205:
	.size	_Z16wvSplitK_hf_big_I14__hip_bfloat16Li64ELi1ELi16ELi8ELi4ELi2EEviiiiiiPKT_S3_S3_PS1_ii, .Lfunc_end205-_Z16wvSplitK_hf_big_I14__hip_bfloat16Li64ELi1ELi16ELi8ELi4ELi2EEviiiiiiPKT_S3_S3_PS1_ii
                                        ; -- End function
	.section	.AMDGPU.csdata,"",@progbits
; Kernel info:
; codeLenInByte = 2352
; NumSgprs: 56
; NumVgprs: 71
; NumAgprs: 0
; TotalNumVgprs: 71
; ScratchSize: 0
; MemoryBound: 0
; FloatMode: 240
; IeeeMode: 1
; LDSByteSize: 65536 bytes/workgroup (compile time only)
; SGPRBlocks: 6
; VGPRBlocks: 8
; NumSGPRsForWavesPerEU: 56
; NumVGPRsForWavesPerEU: 71
; AccumOffset: 72
; Occupancy: 4
; WaveLimiterHint : 0
; COMPUTE_PGM_RSRC2:SCRATCH_EN: 0
; COMPUTE_PGM_RSRC2:USER_SGPR: 2
; COMPUTE_PGM_RSRC2:TRAP_HANDLER: 0
; COMPUTE_PGM_RSRC2:TGID_X_EN: 1
; COMPUTE_PGM_RSRC2:TGID_Y_EN: 0
; COMPUTE_PGM_RSRC2:TGID_Z_EN: 0
; COMPUTE_PGM_RSRC2:TIDIG_COMP_CNT: 1
; COMPUTE_PGM_RSRC3_GFX90A:ACCUM_OFFSET: 17
; COMPUTE_PGM_RSRC3_GFX90A:TG_SPLIT: 0
	.section	.text._Z16wvSplitK_hf_sml_I14__hip_bfloat16Li64ELi2ELi16ELi8ELi2ELi2EEviiiiiiPKT_S3_S3_PS1_ii,"axG",@progbits,_Z16wvSplitK_hf_sml_I14__hip_bfloat16Li64ELi2ELi16ELi8ELi2ELi2EEviiiiiiPKT_S3_S3_PS1_ii,comdat
	.protected	_Z16wvSplitK_hf_sml_I14__hip_bfloat16Li64ELi2ELi16ELi8ELi2ELi2EEviiiiiiPKT_S3_S3_PS1_ii ; -- Begin function _Z16wvSplitK_hf_sml_I14__hip_bfloat16Li64ELi2ELi16ELi8ELi2ELi2EEviiiiiiPKT_S3_S3_PS1_ii
	.globl	_Z16wvSplitK_hf_sml_I14__hip_bfloat16Li64ELi2ELi16ELi8ELi2ELi2EEviiiiiiPKT_S3_S3_PS1_ii
	.p2align	8
	.type	_Z16wvSplitK_hf_sml_I14__hip_bfloat16Li64ELi2ELi16ELi8ELi2ELi2EEviiiiiiPKT_S3_S3_PS1_ii,@function
_Z16wvSplitK_hf_sml_I14__hip_bfloat16Li64ELi2ELi16ELi8ELi2ELi2EEviiiiiiPKT_S3_S3_PS1_ii: ; @_Z16wvSplitK_hf_sml_I14__hip_bfloat16Li64ELi2ELi16ELi8ELi2ELi2EEviiiiiiPKT_S3_S3_PS1_ii
; %bb.0:
	s_load_dwordx4 s[4:7], s[0:1], 0x0
	s_load_dwordx2 s[8:9], s[0:1], 0x10
	s_load_dwordx2 s[10:11], s[0:1], 0x28
	v_and_b32_e32 v2, 0x3ff, v0
	v_bfe_u32 v3, v0, 10, 10
	v_lshlrev_b32_e32 v56, 3, v2
	s_waitcnt lgkmcnt(0)
	s_lshl_b32 s6, s6, 1
	v_lshl_add_u32 v4, v3, 9, v56
	s_min_u32 s3, s6, 0x8000
	v_cmp_gt_u32_e32 vcc, s3, v4
	s_and_saveexec_b64 s[12:13], vcc
	s_cbranch_execz .LBB206_3
; %bb.1:
	s_load_dwordx2 s[14:15], s[0:1], 0x20
	v_mov_b32_e32 v7, 0
	v_lshlrev_b32_e32 v6, 10, v3
	v_lshlrev_b32_e32 v8, 4, v2
	v_mov_b32_e32 v9, v7
	v_lshl_add_u64 v[0:1], v[6:7], 0, v[8:9]
	s_waitcnt lgkmcnt(0)
	v_lshl_add_u64 v[0:1], s[14:15], 0, v[0:1]
	v_add_u32_e32 v5, v6, v8
	s_mov_b64 s[14:15], 0
	s_mov_b64 s[16:17], 0x4000
.LBB206_2:                              ; =>This Inner Loop Header: Depth=1
	global_load_dwordx4 v[6:9], v[0:1], off
	v_add_u32_e32 v4, 0x2000, v4
	v_cmp_le_u32_e32 vcc, s3, v4
	v_lshl_add_u64 v[0:1], v[0:1], 0, s[16:17]
	s_or_b64 s[14:15], vcc, s[14:15]
	s_waitcnt vmcnt(0)
	ds_write_b128 v5, v[6:9]
	v_add_u32_e32 v5, 0x4000, v5
	s_andn2_b64 exec, exec, s[14:15]
	s_cbranch_execnz .LBB206_2
.LBB206_3:
	s_or_b64 exec, exec, s[12:13]
	s_load_dwordx2 s[16:17], s[0:1], 0x38
	s_waitcnt lgkmcnt(0)
	s_barrier
	v_cmp_gt_u32_e32 vcc, s16, v3
	s_and_saveexec_b64 s[12:13], vcc
	s_cbranch_execz .LBB206_34
; %bb.4:
	s_mul_i32 s2, s2, s16
	v_add_lshl_u32 v48, s2, v3, 1
	v_cmp_gt_u32_e32 vcc, s7, v48
	s_and_b64 exec, exec, vcc
	s_cbranch_execz .LBB206_34
; %bb.5:
	v_cvt_f32_u32_e32 v0, s8
	s_cmp_lg_u32 s4, 0
	s_cselect_b64 s[2:3], -1, 0
	s_add_i32 s24, s4, -8
	v_rcp_iflag_f32_e32 v0, v0
	s_add_i32 s25, s7, -1
	s_mul_i32 s20, s16, s17
	s_cmp_lg_u64 s[10:11], 0
	v_mul_f32_e32 v0, 0x4f7ffffe, v0
	v_cvt_u32_f32_e32 v0, v0
	s_cselect_b64 s[18:19], -1, 0
	s_lshl_b32 s26, s20, 1
	s_sub_i32 s20, 0, s8
	s_abs_i32 s9, s9
	v_mul_lo_u32 v1, s20, v0
	s_sub_i32 s20, 1, s9
	s_cmp_lt_u32 s9, 2
	s_load_dwordx2 s[12:13], s[0:1], 0x18
	s_load_dwordx2 s[14:15], s[0:1], 0x30
	s_cselect_b32 s20, s20, 1
	s_sub_i32 s21, s20, s9
	v_mul_hi_u32 v1, v0, v1
	s_cmp_ge_u32 s20, s9
	v_add_u32_e32 v57, v0, v1
	s_cselect_b32 s9, s21, s20
	v_cndmask_b32_e64 v0, 0, 1, s[2:3]
	v_cmp_eq_u32_e64 s[0:1], 63, v2
	s_mov_b64 s[16:17], 0
	v_mov_b32_e32 v51, 0
	s_mul_i32 s9, s9, s8
	v_lshlrev_b32_e32 v58, 4, v2
	v_cmp_ne_u32_e64 s[2:3], 1, v0
	s_mov_b32 s27, 0x7f800000
	s_movk_i32 s28, 0x7fff
	s_branch .LBB206_8
.LBB206_6:                              ;   in Loop: Header=BB206_8 Depth=1
	s_or_b64 exec, exec, s[22:23]
	v_add_u32_e32 v50, 1, v50
	v_lshl_add_u64 v[2:3], v[50:51], 1, s[14:15]
	global_store_short_d16_hi v[2:3], v0, off
.LBB206_7:                              ;   in Loop: Header=BB206_8 Depth=1
	s_or_b64 exec, exec, s[20:21]
	v_add_u32_e32 v48, s26, v48
	v_cmp_le_u32_e32 vcc, s7, v48
	s_or_b64 s[16:17], vcc, s[16:17]
	s_andn2_b64 exec, exec, s[16:17]
	s_cbranch_execz .LBB206_34
.LBB206_8:                              ; =>This Loop Header: Depth=1
                                        ;     Child Loop BB206_12 Depth 2
	s_and_b64 vcc, exec, s[2:3]
	v_mov_b32_e32 v3, v51
	v_mov_b32_e32 v2, v51
	v_mov_b32_e32 v1, v51
	v_mov_b32_e32 v0, v51
	v_mov_b32_e32 v7, v51
	v_mov_b32_e32 v6, v51
	v_mov_b32_e32 v5, v51
	v_mov_b32_e32 v4, v51
	v_mov_b32_e32 v11, v51
	v_mov_b32_e32 v10, v51
	v_mov_b32_e32 v9, v51
	v_mov_b32_e32 v8, v51
	v_mov_b32_e32 v15, v51
	v_mov_b32_e32 v14, v51
	v_mov_b32_e32 v13, v51
	v_mov_b32_e32 v12, v51
	s_cbranch_vccnz .LBB206_15
; %bb.9:                                ;   in Loop: Header=BB206_8 Depth=1
	v_min_u32_e32 v0, s25, v48
	v_mul_lo_u32 v50, v0, s5
	v_or_b32_e32 v0, 1, v48
	v_min_u32_e32 v0, s25, v0
	v_mul_lo_u32 v0, v0, s5
	v_mov_b32_e32 v1, v51
	v_mov_b32_e32 v12, 0
	s_mov_b32 s29, 0
	v_lshlrev_b64 v[52:53], 1, v[50:51]
	v_lshlrev_b64 v[54:55], 1, v[0:1]
	v_mov_b32_e32 v49, v58
	v_mov_b32_e32 v13, v12
	;; [unrolled: 1-line block ×16, first 2 shown]
	s_branch .LBB206_12
.LBB206_10:                             ;   in Loop: Header=BB206_12 Depth=2
	s_or_b64 exec, exec, s[22:23]
.LBB206_11:                             ;   in Loop: Header=BB206_12 Depth=2
	s_or_b64 exec, exec, s[20:21]
	s_waitcnt vmcnt(3) lgkmcnt(1)
	v_mfma_f32_4x4x4_16b_bf16 v[12:15], v[44:45], v[32:33], v[12:15]
	s_addk_i32 s29, 0x400
	s_waitcnt vmcnt(2)
	v_mfma_f32_4x4x4_16b_bf16 v[8:11], v[44:45], v[28:29], v[8:11]
	v_add_u32_e32 v49, 0x800, v49
	s_waitcnt lgkmcnt(0)
	v_mfma_f32_4x4x4_16b_bf16 v[4:7], v[40:41], v[32:33], v[4:7]
	s_cmp_ge_u32 s29, s4
	v_mfma_f32_4x4x4_16b_bf16 v[0:3], v[40:41], v[28:29], v[0:3]
	v_mfma_f32_4x4x4_16b_bf16 v[12:15], v[46:47], v[34:35], v[12:15]
	;; [unrolled: 1-line block ×5, first 2 shown]
	s_waitcnt vmcnt(1)
	v_mfma_f32_4x4x4_16b_bf16 v[12:15], v[36:37], v[24:25], v[12:15]
	s_waitcnt vmcnt(0)
	v_mfma_f32_4x4x4_16b_bf16 v[8:11], v[36:37], v[16:17], v[8:11]
	v_mfma_f32_4x4x4_16b_bf16 v[4:7], v[20:21], v[24:25], v[4:7]
	;; [unrolled: 1-line block ×7, first 2 shown]
	s_cbranch_scc1 .LBB206_15
.LBB206_12:                             ;   Parent Loop BB206_8 Depth=1
                                        ; =>  This Inner Loop Header: Depth=2
	v_add_u32_e32 v36, s29, v56
	v_min_u32_e32 v50, s24, v36
	s_waitcnt lgkmcnt(0)
	v_lshl_add_u64 v[16:17], v[50:51], 1, s[12:13]
	v_add_u32_e32 v59, 0x200, v36
	v_lshl_add_u64 v[18:19], v[16:17], 0, v[52:53]
	v_lshl_add_u64 v[16:17], v[16:17], 0, v[54:55]
	v_min_u32_e32 v50, s24, v59
	global_load_dwordx4 v[32:35], v[18:19], off nt
	global_load_dwordx4 v[28:31], v[16:17], off nt
	v_lshl_add_u64 v[16:17], v[50:51], 1, s[12:13]
	v_lshl_add_u64 v[20:21], v[16:17], 0, v[52:53]
	;; [unrolled: 1-line block ×3, first 2 shown]
	global_load_dwordx4 v[24:27], v[20:21], off nt
	global_load_dwordx4 v[16:19], v[22:23], off nt
	v_cmp_gt_u32_e32 vcc, s4, v36
	v_mov_b32_e32 v22, 0
	v_mov_b32_e32 v23, 0
	;; [unrolled: 1-line block ×16, first 2 shown]
	s_and_saveexec_b64 s[20:21], vcc
	s_cbranch_execz .LBB206_11
; %bb.13:                               ;   in Loop: Header=BB206_12 Depth=2
	v_add_u32_e32 v50, s6, v49
	ds_read_b128 v[44:47], v49
	ds_read_b128 v[40:43], v50
	v_cmp_gt_u32_e32 vcc, s4, v59
	v_mov_b32_e32 v37, 0
	v_mov_b32_e32 v36, 0
	;; [unrolled: 1-line block ×8, first 2 shown]
	s_and_saveexec_b64 s[22:23], vcc
	s_cbranch_execz .LBB206_10
; %bb.14:                               ;   in Loop: Header=BB206_12 Depth=2
	ds_read_b128 v[36:39], v49 offset:1024
	ds_read_b128 v[20:23], v50 offset:1024
	s_branch .LBB206_10
.LBB206_15:                             ;   in Loop: Header=BB206_8 Depth=1
	; sched_barrier mask(0x00000000)
	s_nop 0
	v_cvt_i32_f32_e32 v13, v13
	v_cvt_i32_f32_e32 v14, v14
	;; [unrolled: 1-line block ×4, first 2 shown]
	v_cvt_f32_i32_dpp v13, v13 row_shl:1 row_mask:0xf bank_mask:0xf bound_ctrl:1
	v_cvt_f32_i32_dpp v14, v14 row_shl:2 row_mask:0xf bank_mask:0xf bound_ctrl:1
	v_cvt_i32_f32_e32 v10, v10
	v_cvt_f32_i32_dpp v15, v15 row_shl:3 row_mask:0xf bank_mask:0xf bound_ctrl:1
	v_cvt_i32_f32_e32 v11, v11
	v_cvt_i32_f32_e32 v5, v5
	v_add_f32_e32 v12, v12, v13
	v_cvt_f32_i32_dpp v9, v9 row_shl:1 row_mask:0xf bank_mask:0xf bound_ctrl:1
	v_cvt_i32_f32_e32 v1, v1
	v_add_f32_e32 v12, v12, v14
	v_cvt_f32_i32_dpp v10, v10 row_shl:2 row_mask:0xf bank_mask:0xf bound_ctrl:1
	v_cvt_i32_f32_e32 v6, v6
	v_cvt_i32_f32_e32 v2, v2
	v_add_f32_e32 v12, v12, v15
	v_cvt_f32_i32_dpp v11, v11 row_shl:3 row_mask:0xf bank_mask:0xf bound_ctrl:1
	v_cvt_f32_i32_dpp v5, v5 row_shl:1 row_mask:0xf bank_mask:0xf bound_ctrl:1
	v_cvt_i32_f32_e32 v7, v7
	v_cvt_i32_f32_e32 v3, v3
	;; [unrolled: 1-line block ×3, first 2 shown]
	v_add_f32_e32 v8, v8, v9
	v_cvt_f32_i32_dpp v1, v1 row_shl:1 row_mask:0xf bank_mask:0xf bound_ctrl:1
	v_add_f32_e32 v8, v8, v10
	v_cvt_f32_i32_dpp v6, v6 row_shl:2 row_mask:0xf bank_mask:0xf bound_ctrl:1
	v_cvt_f32_i32_dpp v2, v2 row_shl:2 row_mask:0xf bank_mask:0xf bound_ctrl:1
	v_add_f32_e32 v8, v8, v11
	v_add_f32_e32 v4, v4, v5
	v_cvt_f32_i32_dpp v5, v7 row_shl:3 row_mask:0xf bank_mask:0xf bound_ctrl:1
	v_cvt_f32_i32_dpp v3, v3 row_shl:3 row_mask:0xf bank_mask:0xf bound_ctrl:1
	v_cvt_f32_i32_dpp v13, v13 row_shl:4 row_mask:0xf bank_mask:0xf bound_ctrl:1
	v_cvt_i32_f32_e32 v10, v8
	v_add_f32_e32 v0, v0, v1
	v_add_f32_e32 v4, v4, v6
	;; [unrolled: 1-line block ×6, first 2 shown]
	v_cvt_f32_i32_dpp v10, v10 row_shl:4 row_mask:0xf bank_mask:0xf bound_ctrl:1
	v_cvt_i32_f32_e32 v5, v4
	v_cvt_i32_f32_e32 v1, v0
	;; [unrolled: 1-line block ×3, first 2 shown]
	v_add_f32_e32 v8, v8, v10
	v_cvt_f32_i32_dpp v3, v5 row_shl:4 row_mask:0xf bank_mask:0xf bound_ctrl:1
	v_cvt_f32_i32_dpp v1, v1 row_shl:4 row_mask:0xf bank_mask:0xf bound_ctrl:1
	v_cvt_f32_i32_dpp v11, v11 row_shl:8 row_mask:0xf bank_mask:0xf bound_ctrl:1
	v_cvt_i32_f32_e32 v10, v8
	v_add_f32_e32 v3, v4, v3
	v_add_f32_e32 v0, v0, v1
	;; [unrolled: 1-line block ×3, first 2 shown]
	v_cvt_f32_i32_dpp v2, v10 row_shl:8 row_mask:0xf bank_mask:0xf bound_ctrl:1
	v_cvt_i32_f32_e32 v4, v3
	v_cvt_i32_f32_e32 v1, v0
	v_cvt_i32_f32_e32 v9, v9
	v_add_f32_e32 v2, v8, v2
	v_cvt_f32_i32_dpp v4, v4 row_shl:8 row_mask:0xf bank_mask:0xf bound_ctrl:1
	v_cvt_f32_i32_dpp v1, v1 row_shl:8 row_mask:0xf bank_mask:0xf bound_ctrl:1
	v_cvt_f32_i32_dpp v5, v9 row_shr:15 row_mask:0xf bank_mask:0xf bound_ctrl:1
	v_cvt_i32_f32_e32 v2, v2
	v_add_f32_e32 v3, v3, v4
	v_add_f32_e32 v0, v0, v1
	v_cvt_i32_f32_e32 v6, v5
	v_cvt_f32_i32_dpp v2, v2 row_shr:15 row_mask:0xf bank_mask:0xf bound_ctrl:1
	v_cvt_i32_f32_e32 v3, v3
	v_cvt_i32_f32_e32 v0, v0
	v_cvt_f32_i32_dpp v1, v6 row_bcast:15 row_mask:0xf bank_mask:0xf bound_ctrl:1
	v_cvt_i32_f32_e32 v4, v2
	v_cvt_f32_i32_dpp v3, v3 row_shr:15 row_mask:0xf bank_mask:0xf bound_ctrl:1
	v_cvt_f32_i32_dpp v0, v0 row_shr:15 row_mask:0xf bank_mask:0xf bound_ctrl:1
	v_add_f32_e32 v1, v5, v1
	v_cvt_f32_i32_dpp v4, v4 row_bcast:15 row_mask:0xf bank_mask:0xf bound_ctrl:1
	v_cvt_i32_f32_e32 v5, v3
	v_cvt_i32_f32_e32 v6, v0
	;; [unrolled: 1-line block ×3, first 2 shown]
	v_add_f32_e32 v7, v2, v4
	v_cvt_f32_i32_dpp v5, v5 row_bcast:15 row_mask:0xf bank_mask:0xf bound_ctrl:1
	v_cvt_f32_i32_dpp v2, v6 row_bcast:15 row_mask:0xf bank_mask:0xf bound_ctrl:1
	v_cvt_i32_f32_e32 v6, v7
	v_mov_b32_dpp v9, v8 row_bcast:31 row_mask:0xf bank_mask:0xf bound_ctrl:1
	v_add_f32_e32 v4, v3, v5
	v_add_f32_e32 v2, v0, v2
	v_cvt_i32_f32_e32 v3, v4
	v_cvt_i32_f32_e32 v10, v2
	v_mov_b32_dpp v0, v6 row_bcast:31 row_mask:0xf bank_mask:0xf bound_ctrl:1
	v_mov_b32_dpp v5, v3 row_bcast:31 row_mask:0xf bank_mask:0xf bound_ctrl:1
	;; [unrolled: 1-line block ×3, first 2 shown]
	s_and_saveexec_b64 s[20:21], s[0:1]
	s_cbranch_execz .LBB206_7
; %bb.16:                               ;   in Loop: Header=BB206_8 Depth=1
	s_andn2_b64 vcc, exec, s[18:19]
	v_mov_b32_e32 v6, 0
	v_mov_b32_e32 v8, 0
	;; [unrolled: 1-line block ×4, first 2 shown]
	s_cbranch_vccnz .LBB206_18
; %bb.17:                               ;   in Loop: Header=BB206_8 Depth=1
	v_mul_hi_u32 v6, v48, v57
	v_mul_lo_u32 v6, v6, s8
	v_sub_u32_e32 v6, v48, v6
	v_subrev_u32_e32 v8, s8, v6
	v_cmp_le_u32_e32 vcc, s8, v6
	v_mov_b32_e32 v11, v51
	s_nop 0
	v_cndmask_b32_e32 v6, v6, v8, vcc
	v_subrev_u32_e32 v8, s8, v6
	v_cmp_le_u32_e32 vcc, s8, v6
	s_nop 1
	v_cndmask_b32_e32 v50, v6, v8, vcc
	v_or_b32_e32 v6, 1, v48
	v_mul_hi_u32 v8, v6, v57
	v_mul_lo_u32 v8, v8, s8
	v_sub_u32_e32 v6, v6, v8
	v_subrev_u32_e32 v8, s8, v6
	v_cmp_le_u32_e32 vcc, s8, v6
	v_lshl_add_u64 v[12:13], v[50:51], 1, s[10:11]
	v_add_u32_e32 v50, s9, v50
	v_cndmask_b32_e32 v6, v6, v8, vcc
	v_subrev_u32_e32 v8, s8, v6
	v_cmp_le_u32_e32 vcc, s8, v6
	v_lshl_add_u64 v[16:17], v[50:51], 1, s[10:11]
	s_nop 0
	v_cndmask_b32_e32 v10, v6, v8, vcc
	v_add_u32_e32 v50, s9, v10
	v_lshl_add_u64 v[14:15], v[10:11], 1, s[10:11]
	v_lshl_add_u64 v[18:19], v[50:51], 1, s[10:11]
	global_load_ushort v11, v[12:13], off
	global_load_ushort v10, v[14:15], off
	global_load_ushort v8, v[16:17], off
	global_load_ushort v6, v[18:19], off
.LBB206_18:                             ;   in Loop: Header=BB206_8 Depth=1
	v_cvt_f32_i32_e32 v9, v9
	v_add_f32_e32 v1, v1, v9
	s_waitcnt vmcnt(3)
	v_lshlrev_b32_e32 v9, 16, v11
	v_add_f32_e32 v1, v1, v9
	v_and_b32_e32 v9, 0x7f800000, v1
	v_cmp_ne_u32_e32 vcc, s27, v9
                                        ; implicit-def: $vgpr9
	s_and_saveexec_b64 s[22:23], vcc
	s_xor_b64 s[22:23], exec, s[22:23]
; %bb.19:                               ;   in Loop: Header=BB206_8 Depth=1
	v_bfe_u32 v9, v1, 16, 1
	v_add3_u32 v9, v1, v9, s28
                                        ; implicit-def: $vgpr1
; %bb.20:                               ;   in Loop: Header=BB206_8 Depth=1
	s_andn2_saveexec_b64 s[22:23], s[22:23]
; %bb.21:                               ;   in Loop: Header=BB206_8 Depth=1
	v_or_b32_e32 v9, 0x10000, v1
	v_cmp_eq_u32_sdwa vcc, v1, v51 src0_sel:WORD_0 src1_sel:DWORD
	s_nop 1
	v_cndmask_b32_e32 v9, v9, v1, vcc
; %bb.22:                               ;   in Loop: Header=BB206_8 Depth=1
	s_or_b64 exec, exec, s[22:23]
	v_cvt_f32_i32_e32 v11, v0
	v_mov_b32_e32 v49, v51
	s_waitcnt lgkmcnt(0)
	v_lshl_add_u64 v[0:1], v[48:49], 1, s[14:15]
	global_store_short_d16_hi v[0:1], v9, off
	v_add_f32_e32 v7, v7, v11
	s_waitcnt vmcnt(3)
	v_lshlrev_b32_e32 v9, 16, v10
	v_add_f32_e32 v7, v7, v9
	v_and_b32_e32 v9, 0x7f800000, v7
	v_cmp_ne_u32_e32 vcc, s27, v9
                                        ; implicit-def: $vgpr9
	s_and_saveexec_b64 s[22:23], vcc
	s_xor_b64 s[22:23], exec, s[22:23]
; %bb.23:                               ;   in Loop: Header=BB206_8 Depth=1
	v_bfe_u32 v9, v7, 16, 1
	v_add3_u32 v9, v7, v9, s28
                                        ; implicit-def: $vgpr7
; %bb.24:                               ;   in Loop: Header=BB206_8 Depth=1
	s_andn2_saveexec_b64 s[22:23], s[22:23]
; %bb.25:                               ;   in Loop: Header=BB206_8 Depth=1
	v_or_b32_e32 v9, 0x10000, v7
	v_cmp_eq_u32_sdwa vcc, v7, v51 src0_sel:WORD_0 src1_sel:DWORD
	s_nop 1
	v_cndmask_b32_e32 v9, v9, v7, vcc
; %bb.26:                               ;   in Loop: Header=BB206_8 Depth=1
	s_or_b64 exec, exec, s[22:23]
	v_cvt_f32_i32_e32 v5, v5
	global_store_short_d16_hi v[0:1], v9, off offset:2
	s_waitcnt vmcnt(3)
	v_lshlrev_b32_e32 v1, 16, v8
	v_add_f32_e32 v0, v4, v5
	v_add_f32_e32 v1, v0, v1
	v_and_b32_e32 v0, 0x7f800000, v1
	v_cmp_ne_u32_e32 vcc, s27, v0
                                        ; implicit-def: $vgpr0
	s_and_saveexec_b64 s[22:23], vcc
	s_xor_b64 s[22:23], exec, s[22:23]
; %bb.27:                               ;   in Loop: Header=BB206_8 Depth=1
	v_bfe_u32 v0, v1, 16, 1
	v_add3_u32 v0, v1, v0, s28
                                        ; implicit-def: $vgpr1
; %bb.28:                               ;   in Loop: Header=BB206_8 Depth=1
	s_andn2_saveexec_b64 s[22:23], s[22:23]
; %bb.29:                               ;   in Loop: Header=BB206_8 Depth=1
	v_or_b32_e32 v0, 0x10000, v1
	v_cmp_eq_u32_sdwa vcc, v1, v51 src0_sel:WORD_0 src1_sel:DWORD
	s_nop 1
	v_cndmask_b32_e32 v0, v0, v1, vcc
; %bb.30:                               ;   in Loop: Header=BB206_8 Depth=1
	s_or_b64 exec, exec, s[22:23]
	v_cvt_f32_i32_e32 v1, v3
	v_add_u32_e32 v50, s7, v48
	v_lshl_add_u64 v[4:5], v[50:51], 1, s[14:15]
	global_store_short_d16_hi v[4:5], v0, off
	v_add_f32_e32 v0, v2, v1
	s_waitcnt vmcnt(3)
	v_lshlrev_b32_e32 v1, 16, v6
	v_add_f32_e32 v1, v0, v1
	v_and_b32_e32 v0, 0x7f800000, v1
	v_cmp_ne_u32_e32 vcc, s27, v0
                                        ; implicit-def: $vgpr0
	s_and_saveexec_b64 s[22:23], vcc
	s_xor_b64 s[22:23], exec, s[22:23]
; %bb.31:                               ;   in Loop: Header=BB206_8 Depth=1
	v_bfe_u32 v0, v1, 16, 1
	v_add3_u32 v0, v1, v0, s28
                                        ; implicit-def: $vgpr1
; %bb.32:                               ;   in Loop: Header=BB206_8 Depth=1
	s_andn2_saveexec_b64 s[22:23], s[22:23]
	s_cbranch_execz .LBB206_6
; %bb.33:                               ;   in Loop: Header=BB206_8 Depth=1
	v_or_b32_e32 v0, 0x10000, v1
	v_cmp_eq_u32_sdwa vcc, v1, v51 src0_sel:WORD_0 src1_sel:DWORD
	s_nop 1
	v_cndmask_b32_e32 v0, v0, v1, vcc
	s_branch .LBB206_6
.LBB206_34:
	s_endpgm
	.section	.rodata,"a",@progbits
	.p2align	6, 0x0
	.amdhsa_kernel _Z16wvSplitK_hf_sml_I14__hip_bfloat16Li64ELi2ELi16ELi8ELi2ELi2EEviiiiiiPKT_S3_S3_PS1_ii
		.amdhsa_group_segment_fixed_size 65536
		.amdhsa_private_segment_fixed_size 0
		.amdhsa_kernarg_size 64
		.amdhsa_user_sgpr_count 2
		.amdhsa_user_sgpr_dispatch_ptr 0
		.amdhsa_user_sgpr_queue_ptr 0
		.amdhsa_user_sgpr_kernarg_segment_ptr 1
		.amdhsa_user_sgpr_dispatch_id 0
		.amdhsa_user_sgpr_kernarg_preload_length 0
		.amdhsa_user_sgpr_kernarg_preload_offset 0
		.amdhsa_user_sgpr_private_segment_size 0
		.amdhsa_uses_dynamic_stack 0
		.amdhsa_enable_private_segment 0
		.amdhsa_system_sgpr_workgroup_id_x 1
		.amdhsa_system_sgpr_workgroup_id_y 0
		.amdhsa_system_sgpr_workgroup_id_z 0
		.amdhsa_system_sgpr_workgroup_info 0
		.amdhsa_system_vgpr_workitem_id 1
		.amdhsa_next_free_vgpr 60
		.amdhsa_next_free_sgpr 30
		.amdhsa_accum_offset 60
		.amdhsa_reserve_vcc 1
		.amdhsa_float_round_mode_32 0
		.amdhsa_float_round_mode_16_64 0
		.amdhsa_float_denorm_mode_32 3
		.amdhsa_float_denorm_mode_16_64 3
		.amdhsa_dx10_clamp 1
		.amdhsa_ieee_mode 1
		.amdhsa_fp16_overflow 0
		.amdhsa_tg_split 0
		.amdhsa_exception_fp_ieee_invalid_op 0
		.amdhsa_exception_fp_denorm_src 0
		.amdhsa_exception_fp_ieee_div_zero 0
		.amdhsa_exception_fp_ieee_overflow 0
		.amdhsa_exception_fp_ieee_underflow 0
		.amdhsa_exception_fp_ieee_inexact 0
		.amdhsa_exception_int_div_zero 0
	.end_amdhsa_kernel
	.section	.text._Z16wvSplitK_hf_sml_I14__hip_bfloat16Li64ELi2ELi16ELi8ELi2ELi2EEviiiiiiPKT_S3_S3_PS1_ii,"axG",@progbits,_Z16wvSplitK_hf_sml_I14__hip_bfloat16Li64ELi2ELi16ELi8ELi2ELi2EEviiiiiiPKT_S3_S3_PS1_ii,comdat
.Lfunc_end206:
	.size	_Z16wvSplitK_hf_sml_I14__hip_bfloat16Li64ELi2ELi16ELi8ELi2ELi2EEviiiiiiPKT_S3_S3_PS1_ii, .Lfunc_end206-_Z16wvSplitK_hf_sml_I14__hip_bfloat16Li64ELi2ELi16ELi8ELi2ELi2EEviiiiiiPKT_S3_S3_PS1_ii
                                        ; -- End function
	.section	.AMDGPU.csdata,"",@progbits
; Kernel info:
; codeLenInByte = 2224
; NumSgprs: 36
; NumVgprs: 60
; NumAgprs: 0
; TotalNumVgprs: 60
; ScratchSize: 0
; MemoryBound: 0
; FloatMode: 240
; IeeeMode: 1
; LDSByteSize: 65536 bytes/workgroup (compile time only)
; SGPRBlocks: 4
; VGPRBlocks: 7
; NumSGPRsForWavesPerEU: 36
; NumVGPRsForWavesPerEU: 60
; AccumOffset: 60
; Occupancy: 4
; WaveLimiterHint : 0
; COMPUTE_PGM_RSRC2:SCRATCH_EN: 0
; COMPUTE_PGM_RSRC2:USER_SGPR: 2
; COMPUTE_PGM_RSRC2:TRAP_HANDLER: 0
; COMPUTE_PGM_RSRC2:TGID_X_EN: 1
; COMPUTE_PGM_RSRC2:TGID_Y_EN: 0
; COMPUTE_PGM_RSRC2:TGID_Z_EN: 0
; COMPUTE_PGM_RSRC2:TIDIG_COMP_CNT: 1
; COMPUTE_PGM_RSRC3_GFX90A:ACCUM_OFFSET: 14
; COMPUTE_PGM_RSRC3_GFX90A:TG_SPLIT: 0
	.section	.text._Z12wvSplitK_hf_I14__hip_bfloat16Li64ELi2ELi16ELi8ELi2ELi2EEviiiiiiPKT_S3_S3_PS1_ii,"axG",@progbits,_Z12wvSplitK_hf_I14__hip_bfloat16Li64ELi2ELi16ELi8ELi2ELi2EEviiiiiiPKT_S3_S3_PS1_ii,comdat
	.protected	_Z12wvSplitK_hf_I14__hip_bfloat16Li64ELi2ELi16ELi8ELi2ELi2EEviiiiiiPKT_S3_S3_PS1_ii ; -- Begin function _Z12wvSplitK_hf_I14__hip_bfloat16Li64ELi2ELi16ELi8ELi2ELi2EEviiiiiiPKT_S3_S3_PS1_ii
	.globl	_Z12wvSplitK_hf_I14__hip_bfloat16Li64ELi2ELi16ELi8ELi2ELi2EEviiiiiiPKT_S3_S3_PS1_ii
	.p2align	8
	.type	_Z12wvSplitK_hf_I14__hip_bfloat16Li64ELi2ELi16ELi8ELi2ELi2EEviiiiiiPKT_S3_S3_PS1_ii,@function
_Z12wvSplitK_hf_I14__hip_bfloat16Li64ELi2ELi16ELi8ELi2ELi2EEviiiiiiPKT_S3_S3_PS1_ii: ; @_Z12wvSplitK_hf_I14__hip_bfloat16Li64ELi2ELi16ELi8ELi2ELi2EEviiiiiiPKT_S3_S3_PS1_ii
; %bb.0:
	s_load_dwordx2 s[4:5], s[0:1], 0x38
	s_load_dwordx4 s[8:11], s[0:1], 0x0
	s_load_dwordx2 s[16:17], s[0:1], 0x10
	v_bfe_u32 v3, v0, 10, 10
	s_mov_b32 s6, 1
	s_waitcnt lgkmcnt(0)
	s_mul_i32 s2, s2, s4
	v_add_lshl_u32 v50, s2, v3, 1
	v_add_u32_e32 v1, 2, v50
	v_cmp_gt_u32_e32 vcc, s11, v50
	v_cmp_le_u32_e64 s[2:3], s11, v1
	s_mov_b32 s7, s6
	s_and_b64 s[12:13], vcc, s[2:3]
	v_mov_b64_e32 v[48:49], s[6:7]
	s_and_saveexec_b64 s[2:3], s[12:13]
	s_cbranch_execz .LBB207_6
; %bb.1:
	s_add_i32 s20, s11, -2
	v_cmp_ne_u32_e32 vcc, s20, v50
	v_mov_b64_e32 v[48:49], s[6:7]
	s_and_saveexec_b64 s[6:7], vcc
	s_cbranch_execz .LBB207_5
; %bb.2:
	v_subrev_u32_e32 v1, s20, v50
	s_mov_b32 s12, 1
	v_cmp_lt_u32_e32 vcc, 1, v1
	s_mov_b64 s[14:15], 0
	s_mov_b64 s[18:19], 0
	v_cndmask_b32_e32 v2, 1, v1, vcc
	s_mov_b32 s13, s12
.LBB207_3:                              ; =>This Inner Loop Header: Depth=1
	s_cmp_lg_u32 s18, 1
	s_cselect_b32 s13, s13, 0
	s_cmp_lg_u32 s18, 0
	s_cselect_b32 s12, s12, 0
	s_add_u32 s18, s18, 1
	s_addc_u32 s19, s19, 0
	v_cmp_eq_u32_e32 vcc, s18, v2
	s_or_b64 s[14:15], vcc, s[14:15]
	v_mov_b64_e32 v[48:49], s[12:13]
	s_andn2_b64 exec, exec, s[14:15]
	s_cbranch_execnz .LBB207_3
; %bb.4:
	s_or_b64 exec, exec, s[14:15]
	v_mov_b32_e32 v50, s20
.LBB207_5:
	s_or_b64 exec, exec, s[6:7]
.LBB207_6:
	s_or_b64 exec, exec, s[2:3]
	s_load_dwordx4 s[12:15], s[0:1], 0x20
	v_and_b32_e32 v2, 0x3ff, v0
	v_lshlrev_b32_e32 v64, 3, v2
	s_lshl_b32 s2, s10, 1
	v_lshl_add_u32 v4, v3, 9, v64
	s_min_u32 s20, s2, 0x8000
	v_cmp_gt_u32_e32 vcc, s20, v4
	s_and_saveexec_b64 s[2:3], vcc
	s_cbranch_execz .LBB207_9
; %bb.7:
	v_mov_b32_e32 v7, 0
	v_lshlrev_b32_e32 v6, 10, v3
	v_lshlrev_b32_e32 v8, 4, v2
	v_mov_b32_e32 v9, v7
	v_lshl_add_u64 v[0:1], v[6:7], 0, v[8:9]
	s_waitcnt lgkmcnt(0)
	v_lshl_add_u64 v[0:1], s[12:13], 0, v[0:1]
	v_add_u32_e32 v5, v6, v8
	s_mov_b64 s[6:7], 0
	s_mov_b64 s[18:19], 0x4000
.LBB207_8:                              ; =>This Inner Loop Header: Depth=1
	global_load_dwordx4 v[6:9], v[0:1], off
	v_add_u32_e32 v4, 0x2000, v4
	v_cmp_le_u32_e32 vcc, s20, v4
	v_lshl_add_u64 v[0:1], v[0:1], 0, s[18:19]
	s_or_b64 s[6:7], vcc, s[6:7]
	s_waitcnt vmcnt(0)
	ds_write_b128 v5, v[6:9]
	v_add_u32_e32 v5, 0x4000, v5
	s_andn2_b64 exec, exec, s[6:7]
	s_cbranch_execnz .LBB207_8
.LBB207_9:
	s_or_b64 exec, exec, s[2:3]
	v_cmp_gt_u32_e32 vcc, s4, v3
	v_cmp_gt_u32_e64 s[2:3], s11, v50
	s_and_b64 s[2:3], vcc, s[2:3]
	s_waitcnt lgkmcnt(0)
	s_barrier
	s_and_saveexec_b64 s[6:7], s[2:3]
	s_cbranch_execz .LBB207_68
; %bb.10:
	v_cvt_f32_u32_e32 v0, s16
	s_cmp_lg_u32 s8, 0
	s_cselect_b64 s[2:3], -1, 0
	s_add_i32 s33, s8, -8
	v_rcp_iflag_f32_e32 v0, v0
	s_add_i32 s36, s11, -1
	s_mul_i32 s4, s4, s5
	s_cmp_lg_u64 s[14:15], 0
	v_mul_f32_e32 v0, 0x4f7ffffe, v0
	v_cvt_u32_f32_e32 v0, v0
	s_cselect_b64 s[24:25], -1, 0
	s_lshl_b32 s37, s4, 1
	s_sub_i32 s4, 0, s16
	v_mul_lo_u32 v1, s4, v0
	s_abs_i32 s4, s17
	s_add_i32 s38, s11, -2
	s_sub_i32 s5, 1, s4
	s_cmp_lt_u32 s4, 2
	s_load_dwordx2 s[18:19], s[0:1], 0x18
	s_load_dwordx2 s[20:21], s[0:1], 0x30
	s_cselect_b32 s5, s5, 1
	s_sub_i32 s6, s5, s4
	v_mul_hi_u32 v1, v0, v1
	s_cmp_ge_u32 s5, s4
	v_add_u32_e32 v65, v0, v1
	s_cselect_b32 s17, s6, s5
	v_cndmask_b32_e64 v0, 0, 1, s[2:3]
	v_cmp_eq_u32_e64 s[0:1], 63, v2
	s_mov_b64 s[22:23], 0
	v_mov_b32_e32 v53, 0
	s_mul_i32 s17, s17, s16
	v_cmp_ne_u32_e64 s[2:3], 1, v0
	s_movk_i32 s39, 0x7fff
	s_mov_b32 s40, 0x7f800000
	s_mov_b32 s26, 0
	s_branch .LBB207_13
.LBB207_11:                             ;   in Loop: Header=BB207_13 Depth=1
	s_or_b64 exec, exec, s[28:29]
	v_mov_b32_e32 v50, s38
.LBB207_12:                             ;   in Loop: Header=BB207_13 Depth=1
	s_or_b64 exec, exec, s[6:7]
	v_cmp_le_u32_e32 vcc, s11, v50
	s_or_b64 s[22:23], vcc, s[22:23]
	s_andn2_b64 exec, exec, s[22:23]
	s_cbranch_execz .LBB207_68
.LBB207_13:                             ; =>This Loop Header: Depth=1
                                        ;     Child Loop BB207_18 Depth 2
                                        ;     Child Loop BB207_66 Depth 2
	s_and_b64 vcc, exec, s[2:3]
	v_add_u32_e32 v54, 1, v50
	s_waitcnt vmcnt(0)
	v_mov_b32_e32 v3, v53
	v_mov_b32_e32 v2, v53
	;; [unrolled: 1-line block ×16, first 2 shown]
	s_cbranch_vccnz .LBB207_36
; %bb.14:                               ;   in Loop: Header=BB207_13 Depth=1
	v_min_u32_e32 v0, s36, v50
	v_mul_lo_u32 v52, v0, s9
	v_min_u32_e32 v0, s36, v54
	v_mul_lo_u32 v0, v0, s9
	v_mov_b32_e32 v1, v53
	v_mov_b32_e32 v12, 0
	s_mov_b32 s4, 0
	v_lshlrev_b64 v[56:57], 1, v[52:53]
	v_lshlrev_b64 v[58:59], 1, v[0:1]
	s_mov_b32 s34, 0
	v_mov_b32_e32 v13, v12
	v_mov_b32_e32 v14, v12
	;; [unrolled: 1-line block ×15, first 2 shown]
	s_branch .LBB207_18
.LBB207_15:                             ;   in Loop: Header=BB207_18 Depth=2
	s_or_b64 exec, exec, s[30:31]
.LBB207_16:                             ;   in Loop: Header=BB207_18 Depth=2
	s_or_b64 exec, exec, s[28:29]
.LBB207_17:                             ;   in Loop: Header=BB207_18 Depth=2
	s_or_b64 exec, exec, s[6:7]
	s_waitcnt vmcnt(0) lgkmcnt(0)
	v_mfma_f32_4x4x4_16b_bf16 v[12:15], v[32:33], v[24:25], v[12:15]
	s_addk_i32 s34, 0x400
	v_mfma_f32_4x4x4_16b_bf16 v[8:11], v[32:33], v[20:21], v[8:11]
	s_cmp_ge_u32 s34, s8
	v_mfma_f32_4x4x4_16b_bf16 v[4:7], v[36:37], v[24:25], v[4:7]
	v_mfma_f32_4x4x4_16b_bf16 v[0:3], v[36:37], v[20:21], v[0:3]
	;; [unrolled: 1-line block ×14, first 2 shown]
	s_cbranch_scc1 .LBB207_36
.LBB207_18:                             ;   Parent Loop BB207_13 Depth=1
                                        ; =>  This Inner Loop Header: Depth=2
	v_add_u32_e32 v62, s34, v64
	v_min_u32_e32 v52, s33, v62
	s_waitcnt lgkmcnt(0)
	v_lshl_add_u64 v[16:17], v[52:53], 1, s[18:19]
	v_add_u32_e32 v60, 0x200, v62
	v_lshl_add_u64 v[18:19], v[16:17], 0, v[56:57]
	v_lshl_add_u64 v[16:17], v[16:17], 0, v[58:59]
	v_min_u32_e32 v52, s33, v60
	global_load_dwordx4 v[24:27], v[18:19], off nt
	global_load_dwordx4 v[20:23], v[16:17], off nt
	v_lshl_add_u64 v[16:17], v[52:53], 1, s[18:19]
	v_lshl_add_u64 v[32:33], v[16:17], 0, v[56:57]
	;; [unrolled: 1-line block ×3, first 2 shown]
	global_load_dwordx4 v[28:31], v[32:33], off nt
	global_load_dwordx4 v[16:19], v[34:35], off nt
	s_mov_b32 s5, s4
	v_cmp_gt_u32_e32 vcc, s8, v62
	v_mov_b64_e32 v[32:33], s[4:5]
	v_mov_b32_e32 v45, 0
	v_mov_b32_e32 v44, 0
	v_mov_b32_e32 v47, 0
	v_mov_b32_e32 v46, 0
	v_mov_b64_e32 v[34:35], s[4:5]
	v_mov_b64_e32 v[40:41], s[4:5]
	;; [unrolled: 1-line block ×5, first 2 shown]
	s_and_saveexec_b64 s[6:7], vcc
	s_cbranch_execz .LBB207_17
; %bb.19:                               ;   in Loop: Header=BB207_18 Depth=2
	v_cmp_lt_u32_e32 vcc, s39, v62
                                        ; implicit-def: $vgpr32_vgpr33
	s_and_saveexec_b64 s[28:29], vcc
	s_xor_b64 s[28:29], exec, s[28:29]
	s_cbranch_execz .LBB207_21
; %bb.20:                               ;   in Loop: Header=BB207_18 Depth=2
	v_mov_b32_e32 v63, v53
	v_lshl_add_u64 v[32:33], v[62:63], 1, s[12:13]
	global_load_dwordx4 v[32:35], v[32:33], off
.LBB207_21:                             ;   in Loop: Header=BB207_18 Depth=2
	s_andn2_saveexec_b64 s[28:29], s[28:29]
	s_cbranch_execz .LBB207_23
; %bb.22:                               ;   in Loop: Header=BB207_18 Depth=2
	s_waitcnt vmcnt(0)
	v_lshlrev_b32_e32 v32, 1, v62
	ds_read_b128 v[32:35], v32
.LBB207_23:                             ;   in Loop: Header=BB207_18 Depth=2
	s_or_b64 exec, exec, s[28:29]
	v_add_u32_e32 v52, s10, v62
	v_cmp_lt_u32_e32 vcc, s39, v52
                                        ; implicit-def: $vgpr36_vgpr37
	s_and_saveexec_b64 s[28:29], vcc
	s_xor_b64 s[28:29], exec, s[28:29]
	s_cbranch_execz .LBB207_25
; %bb.24:                               ;   in Loop: Header=BB207_18 Depth=2
	v_lshl_add_u64 v[36:37], v[52:53], 1, s[12:13]
	global_load_dwordx4 v[36:39], v[36:37], off
.LBB207_25:                             ;   in Loop: Header=BB207_18 Depth=2
	s_andn2_saveexec_b64 s[28:29], s[28:29]
	s_cbranch_execz .LBB207_27
; %bb.26:                               ;   in Loop: Header=BB207_18 Depth=2
	s_waitcnt vmcnt(0)
	v_lshlrev_b32_e32 v36, 1, v52
	ds_read_b128 v[36:39], v36
.LBB207_27:                             ;   in Loop: Header=BB207_18 Depth=2
	s_or_b64 exec, exec, s[28:29]
	s_mov_b32 s27, s26
	v_cmp_gt_u32_e32 vcc, s8, v60
	v_mov_b32_e32 v45, 0
	v_mov_b64_e32 v[40:41], s[26:27]
	v_mov_b32_e32 v44, 0
	v_mov_b32_e32 v47, 0
	;; [unrolled: 1-line block ×3, first 2 shown]
	v_mov_b64_e32 v[42:43], s[26:27]
	s_and_saveexec_b64 s[28:29], vcc
	s_cbranch_execz .LBB207_16
; %bb.28:                               ;   in Loop: Header=BB207_18 Depth=2
	v_cmp_lt_u32_e32 vcc, s39, v60
                                        ; implicit-def: $vgpr40_vgpr41
	s_and_saveexec_b64 s[30:31], vcc
	s_xor_b64 s[30:31], exec, s[30:31]
	s_cbranch_execz .LBB207_30
; %bb.29:                               ;   in Loop: Header=BB207_18 Depth=2
	v_mov_b32_e32 v61, v53
	v_lshl_add_u64 v[40:41], v[60:61], 1, s[12:13]
	global_load_dwordx4 v[40:43], v[40:41], off
                                        ; implicit-def: $vgpr62
.LBB207_30:                             ;   in Loop: Header=BB207_18 Depth=2
	s_andn2_saveexec_b64 s[30:31], s[30:31]
	s_cbranch_execz .LBB207_32
; %bb.31:                               ;   in Loop: Header=BB207_18 Depth=2
	s_waitcnt vmcnt(0)
	v_lshlrev_b32_e32 v40, 1, v62
	ds_read_b128 v[40:43], v40 offset:1024
.LBB207_32:                             ;   in Loop: Header=BB207_18 Depth=2
	s_or_b64 exec, exec, s[30:31]
	v_add_u32_e32 v44, s10, v60
	v_cmp_lt_u32_e32 vcc, s39, v44
                                        ; implicit-def: $vgpr45
	s_and_saveexec_b64 s[30:31], vcc
	s_xor_b64 s[30:31], exec, s[30:31]
	s_cbranch_execz .LBB207_34
; %bb.33:                               ;   in Loop: Header=BB207_18 Depth=2
	v_mov_b32_e32 v45, v53
	v_lshl_add_u64 v[44:45], v[44:45], 1, s[12:13]
	global_load_dwordx4 v[44:47], v[44:45], off
.LBB207_34:                             ;   in Loop: Header=BB207_18 Depth=2
	s_andn2_saveexec_b64 s[30:31], s[30:31]
	s_cbranch_execz .LBB207_15
; %bb.35:                               ;   in Loop: Header=BB207_18 Depth=2
	s_waitcnt vmcnt(0)
	v_lshlrev_b32_e32 v44, 1, v52
	ds_read_b128 v[44:47], v44 offset:1024
	s_branch .LBB207_15
.LBB207_36:                             ;   in Loop: Header=BB207_13 Depth=1
	s_nop 0
	v_cvt_i32_f32_e32 v13, v13
	v_cvt_i32_f32_e32 v14, v14
	;; [unrolled: 1-line block ×4, first 2 shown]
	v_cvt_f32_i32_dpp v13, v13 row_shl:1 row_mask:0xf bank_mask:0xf bound_ctrl:1
	v_cvt_f32_i32_dpp v14, v14 row_shl:2 row_mask:0xf bank_mask:0xf bound_ctrl:1
	v_cvt_i32_f32_e32 v10, v10
	v_cvt_f32_i32_dpp v15, v15 row_shl:3 row_mask:0xf bank_mask:0xf bound_ctrl:1
	v_cvt_i32_f32_e32 v11, v11
	v_cvt_i32_f32_e32 v5, v5
	v_add_f32_e32 v12, v12, v13
	v_cvt_f32_i32_dpp v9, v9 row_shl:1 row_mask:0xf bank_mask:0xf bound_ctrl:1
	v_cvt_i32_f32_e32 v1, v1
	v_add_f32_e32 v12, v12, v14
	v_cvt_f32_i32_dpp v10, v10 row_shl:2 row_mask:0xf bank_mask:0xf bound_ctrl:1
	v_cvt_i32_f32_e32 v6, v6
	v_cvt_i32_f32_e32 v2, v2
	v_add_f32_e32 v12, v12, v15
	v_cvt_f32_i32_dpp v11, v11 row_shl:3 row_mask:0xf bank_mask:0xf bound_ctrl:1
	v_cvt_f32_i32_dpp v5, v5 row_shl:1 row_mask:0xf bank_mask:0xf bound_ctrl:1
	v_cvt_i32_f32_e32 v7, v7
	v_cvt_i32_f32_e32 v3, v3
	;; [unrolled: 1-line block ×3, first 2 shown]
	v_add_f32_e32 v8, v8, v9
	v_cvt_f32_i32_dpp v1, v1 row_shl:1 row_mask:0xf bank_mask:0xf bound_ctrl:1
	v_add_f32_e32 v8, v8, v10
	v_cvt_f32_i32_dpp v6, v6 row_shl:2 row_mask:0xf bank_mask:0xf bound_ctrl:1
	v_cvt_f32_i32_dpp v2, v2 row_shl:2 row_mask:0xf bank_mask:0xf bound_ctrl:1
	v_add_f32_e32 v8, v8, v11
	v_add_f32_e32 v4, v4, v5
	v_cvt_f32_i32_dpp v5, v7 row_shl:3 row_mask:0xf bank_mask:0xf bound_ctrl:1
	v_cvt_f32_i32_dpp v3, v3 row_shl:3 row_mask:0xf bank_mask:0xf bound_ctrl:1
	;; [unrolled: 1-line block ×3, first 2 shown]
	v_cvt_i32_f32_e32 v10, v8
	v_add_f32_e32 v0, v0, v1
	v_add_f32_e32 v4, v4, v6
	v_add_f32_e32 v0, v0, v2
	v_add_f32_e32 v4, v4, v5
	v_add_f32_e32 v0, v0, v3
	v_add_f32_e32 v9, v12, v13
	v_cvt_f32_i32_dpp v10, v10 row_shl:4 row_mask:0xf bank_mask:0xf bound_ctrl:1
	v_cvt_i32_f32_e32 v5, v4
	v_cvt_i32_f32_e32 v1, v0
	;; [unrolled: 1-line block ×3, first 2 shown]
	v_add_f32_e32 v8, v8, v10
	v_cvt_f32_i32_dpp v3, v5 row_shl:4 row_mask:0xf bank_mask:0xf bound_ctrl:1
	v_cvt_f32_i32_dpp v1, v1 row_shl:4 row_mask:0xf bank_mask:0xf bound_ctrl:1
	;; [unrolled: 1-line block ×3, first 2 shown]
	v_cvt_i32_f32_e32 v10, v8
	v_add_f32_e32 v3, v4, v3
	v_add_f32_e32 v0, v0, v1
	;; [unrolled: 1-line block ×3, first 2 shown]
	v_cvt_f32_i32_dpp v2, v10 row_shl:8 row_mask:0xf bank_mask:0xf bound_ctrl:1
	v_cvt_i32_f32_e32 v4, v3
	v_cvt_i32_f32_e32 v1, v0
	;; [unrolled: 1-line block ×3, first 2 shown]
	v_add_f32_e32 v2, v8, v2
	v_cvt_f32_i32_dpp v4, v4 row_shl:8 row_mask:0xf bank_mask:0xf bound_ctrl:1
	v_cvt_f32_i32_dpp v1, v1 row_shl:8 row_mask:0xf bank_mask:0xf bound_ctrl:1
	v_cvt_f32_i32_dpp v5, v9 row_shr:15 row_mask:0xf bank_mask:0xf bound_ctrl:1
	v_cvt_i32_f32_e32 v2, v2
	v_add_f32_e32 v3, v3, v4
	v_add_f32_e32 v0, v0, v1
	v_cvt_i32_f32_e32 v6, v5
	v_cvt_f32_i32_dpp v2, v2 row_shr:15 row_mask:0xf bank_mask:0xf bound_ctrl:1
	v_cvt_i32_f32_e32 v3, v3
	v_cvt_i32_f32_e32 v0, v0
	v_cvt_f32_i32_dpp v1, v6 row_bcast:15 row_mask:0xf bank_mask:0xf bound_ctrl:1
	v_cvt_i32_f32_e32 v4, v2
	v_cvt_f32_i32_dpp v3, v3 row_shr:15 row_mask:0xf bank_mask:0xf bound_ctrl:1
	v_cvt_f32_i32_dpp v0, v0 row_shr:15 row_mask:0xf bank_mask:0xf bound_ctrl:1
	v_add_f32_e32 v8, v5, v1
	v_cvt_f32_i32_dpp v4, v4 row_bcast:15 row_mask:0xf bank_mask:0xf bound_ctrl:1
	v_cvt_i32_f32_e32 v1, v3
	v_cvt_i32_f32_e32 v6, v0
	;; [unrolled: 1-line block ×3, first 2 shown]
	v_add_f32_e32 v5, v2, v4
	v_cvt_f32_i32_dpp v1, v1 row_bcast:15 row_mask:0xf bank_mask:0xf bound_ctrl:1
	v_cvt_f32_i32_dpp v4, v6 row_bcast:15 row_mask:0xf bank_mask:0xf bound_ctrl:1
	v_cvt_i32_f32_e32 v6, v5
	v_mov_b32_dpp v9, v7 row_bcast:31 row_mask:0xf bank_mask:0xf bound_ctrl:1
	v_add_f32_e32 v2, v3, v1
	v_add_f32_e32 v0, v0, v4
	v_cvt_i32_f32_e32 v1, v2
	v_cvt_i32_f32_e32 v3, v0
	v_mov_b32_dpp v6, v6 row_bcast:31 row_mask:0xf bank_mask:0xf bound_ctrl:1
	v_mov_b32_dpp v4, v1 row_bcast:31 row_mask:0xf bank_mask:0xf bound_ctrl:1
	;; [unrolled: 1-line block ×3, first 2 shown]
	s_and_saveexec_b64 s[28:29], s[0:1]
	s_cbranch_execz .LBB207_63
; %bb.37:                               ;   in Loop: Header=BB207_13 Depth=1
	s_andn2_b64 vcc, exec, s[24:25]
	v_mov_b32_e32 v3, 0
	v_mov_b32_e32 v7, 0
	;; [unrolled: 1-line block ×4, first 2 shown]
	s_cbranch_vccnz .LBB207_39
; %bb.38:                               ;   in Loop: Header=BB207_13 Depth=1
	v_mul_hi_u32 v3, v50, v65
	v_mul_lo_u32 v3, v3, s16
	v_sub_u32_e32 v3, v50, v3
	v_subrev_u32_e32 v7, s16, v3
	v_cmp_le_u32_e32 vcc, s16, v3
	v_mov_b32_e32 v11, v53
	s_nop 0
	v_cndmask_b32_e32 v3, v3, v7, vcc
	v_subrev_u32_e32 v7, s16, v3
	v_cmp_le_u32_e32 vcc, s16, v3
	s_nop 1
	v_cndmask_b32_e32 v52, v3, v7, vcc
	v_mul_hi_u32 v3, v54, v65
	v_mul_lo_u32 v3, v3, s16
	v_sub_u32_e32 v3, v54, v3
	v_subrev_u32_e32 v7, s16, v3
	v_cmp_le_u32_e32 vcc, s16, v3
	v_lshl_add_u64 v[12:13], v[52:53], 1, s[14:15]
	v_add_u32_e32 v52, s17, v52
	v_cndmask_b32_e32 v3, v3, v7, vcc
	v_subrev_u32_e32 v7, s16, v3
	v_cmp_le_u32_e32 vcc, s16, v3
	v_lshl_add_u64 v[16:17], v[52:53], 1, s[14:15]
	s_nop 0
	v_cndmask_b32_e32 v10, v3, v7, vcc
	v_add_u32_e32 v52, s17, v10
	v_lshl_add_u64 v[14:15], v[10:11], 1, s[14:15]
	v_lshl_add_u64 v[18:19], v[52:53], 1, s[14:15]
	global_load_ushort v11, v[12:13], off
	global_load_ushort v10, v[14:15], off
	;; [unrolled: 1-line block ×4, first 2 shown]
.LBB207_39:                             ;   in Loop: Header=BB207_13 Depth=1
	v_cmp_ne_u32_e32 vcc, 0, v48
	s_and_saveexec_b64 s[6:7], vcc
	s_cbranch_execnz .LBB207_43
; %bb.40:                               ;   in Loop: Header=BB207_13 Depth=1
	s_or_b64 exec, exec, s[6:7]
	v_cmp_ne_u32_e64 s[4:5], 0, v49
	s_and_saveexec_b64 s[30:31], s[4:5]
	s_cbranch_execnz .LBB207_48
.LBB207_41:                             ;   in Loop: Header=BB207_13 Depth=1
	s_or_b64 exec, exec, s[30:31]
	v_add_u32_e32 v52, s11, v50
	s_and_saveexec_b64 s[6:7], vcc
	s_cbranch_execnz .LBB207_53
.LBB207_42:                             ;   in Loop: Header=BB207_13 Depth=1
	s_or_b64 exec, exec, s[6:7]
	s_and_b64 exec, exec, s[4:5]
	s_cbranch_execnz .LBB207_58
	s_branch .LBB207_63
.LBB207_43:                             ;   in Loop: Header=BB207_13 Depth=1
	v_cvt_f32_i32_e32 v9, v9
	v_add_f32_e32 v8, v8, v9
	s_waitcnt vmcnt(3)
	v_lshlrev_b32_e32 v9, 16, v11
	v_add_f32_e32 v9, v8, v9
	v_and_b32_e32 v8, 0x7f800000, v9
	v_cmp_ne_u32_e64 s[4:5], s40, v8
                                        ; implicit-def: $vgpr8
	s_and_saveexec_b64 s[30:31], s[4:5]
	s_xor_b64 s[4:5], exec, s[30:31]
; %bb.44:                               ;   in Loop: Header=BB207_13 Depth=1
	v_bfe_u32 v8, v9, 16, 1
	v_add3_u32 v8, v9, v8, s39
                                        ; implicit-def: $vgpr9
; %bb.45:                               ;   in Loop: Header=BB207_13 Depth=1
	s_andn2_saveexec_b64 s[30:31], s[4:5]
; %bb.46:                               ;   in Loop: Header=BB207_13 Depth=1
	v_or_b32_e32 v8, 0x10000, v9
	v_cmp_eq_u32_sdwa s[4:5], v9, v53 src0_sel:WORD_0 src1_sel:DWORD
	s_nop 1
	v_cndmask_b32_e64 v8, v8, v9, s[4:5]
; %bb.47:                               ;   in Loop: Header=BB207_13 Depth=1
	s_or_b64 exec, exec, s[30:31]
	v_mov_b32_e32 v51, v53
	s_waitcnt lgkmcnt(0)
	v_lshl_add_u64 v[12:13], v[50:51], 1, s[20:21]
	global_store_short_d16_hi v[12:13], v8, off
	s_or_b64 exec, exec, s[6:7]
	v_cmp_ne_u32_e64 s[4:5], 0, v49
	s_and_saveexec_b64 s[30:31], s[4:5]
	s_cbranch_execz .LBB207_41
.LBB207_48:                             ;   in Loop: Header=BB207_13 Depth=1
	v_cvt_f32_i32_e32 v6, v6
	v_add_f32_e32 v5, v5, v6
	s_waitcnt vmcnt(2)
	v_lshlrev_b32_e32 v6, 16, v10
	v_add_f32_e32 v6, v5, v6
	v_and_b32_e32 v5, 0x7f800000, v6
	v_cmp_ne_u32_e64 s[6:7], s40, v5
                                        ; implicit-def: $vgpr5
	s_and_saveexec_b64 s[34:35], s[6:7]
	s_xor_b64 s[6:7], exec, s[34:35]
; %bb.49:                               ;   in Loop: Header=BB207_13 Depth=1
	v_bfe_u32 v5, v6, 16, 1
	v_add3_u32 v5, v6, v5, s39
                                        ; implicit-def: $vgpr6
; %bb.50:                               ;   in Loop: Header=BB207_13 Depth=1
	s_andn2_saveexec_b64 s[34:35], s[6:7]
; %bb.51:                               ;   in Loop: Header=BB207_13 Depth=1
	v_or_b32_e32 v5, 0x10000, v6
	v_cmp_eq_u32_sdwa s[6:7], v6, v53 src0_sel:WORD_0 src1_sel:DWORD
	s_nop 1
	v_cndmask_b32_e64 v5, v5, v6, s[6:7]
; %bb.52:                               ;   in Loop: Header=BB207_13 Depth=1
	s_or_b64 exec, exec, s[34:35]
	v_mov_b32_e32 v55, v53
	s_waitcnt lgkmcnt(0)
	v_lshl_add_u64 v[8:9], v[54:55], 1, s[20:21]
	global_store_short_d16_hi v[8:9], v5, off
	s_or_b64 exec, exec, s[30:31]
	v_add_u32_e32 v52, s11, v50
	s_and_saveexec_b64 s[6:7], vcc
	s_cbranch_execz .LBB207_42
.LBB207_53:                             ;   in Loop: Header=BB207_13 Depth=1
	v_cvt_f32_i32_e32 v4, v4
	v_add_f32_e32 v2, v2, v4
	s_waitcnt vmcnt(1)
	v_lshlrev_b32_e32 v4, 16, v7
	v_add_f32_e32 v4, v2, v4
	v_and_b32_e32 v2, 0x7f800000, v4
	v_cmp_ne_u32_e32 vcc, s40, v2
                                        ; implicit-def: $vgpr2
	s_and_saveexec_b64 s[30:31], vcc
	s_xor_b64 s[30:31], exec, s[30:31]
; %bb.54:                               ;   in Loop: Header=BB207_13 Depth=1
	v_bfe_u32 v2, v4, 16, 1
	v_add3_u32 v2, v4, v2, s39
                                        ; implicit-def: $vgpr4
; %bb.55:                               ;   in Loop: Header=BB207_13 Depth=1
	s_andn2_saveexec_b64 s[30:31], s[30:31]
; %bb.56:                               ;   in Loop: Header=BB207_13 Depth=1
	v_or_b32_e32 v2, 0x10000, v4
	v_cmp_eq_u32_sdwa vcc, v4, v53 src0_sel:WORD_0 src1_sel:DWORD
	s_nop 1
	v_cndmask_b32_e32 v2, v2, v4, vcc
; %bb.57:                               ;   in Loop: Header=BB207_13 Depth=1
	s_or_b64 exec, exec, s[30:31]
	s_waitcnt lgkmcnt(0)
	v_lshl_add_u64 v[4:5], v[52:53], 1, s[20:21]
	global_store_short_d16_hi v[4:5], v2, off
	s_or_b64 exec, exec, s[6:7]
	s_and_b64 exec, exec, s[4:5]
	s_cbranch_execz .LBB207_63
.LBB207_58:                             ;   in Loop: Header=BB207_13 Depth=1
	v_cvt_f32_i32_e32 v1, v1
	v_add_f32_e32 v0, v0, v1
	s_waitcnt vmcnt(0)
	v_lshlrev_b32_e32 v1, 16, v3
	v_add_f32_e32 v1, v0, v1
	v_and_b32_e32 v0, 0x7f800000, v1
	v_cmp_ne_u32_e32 vcc, s40, v0
                                        ; implicit-def: $vgpr0
	s_and_saveexec_b64 s[4:5], vcc
	s_xor_b64 s[4:5], exec, s[4:5]
; %bb.59:                               ;   in Loop: Header=BB207_13 Depth=1
	v_bfe_u32 v0, v1, 16, 1
	v_add3_u32 v0, v1, v0, s39
                                        ; implicit-def: $vgpr1
; %bb.60:                               ;   in Loop: Header=BB207_13 Depth=1
	s_andn2_saveexec_b64 s[4:5], s[4:5]
; %bb.61:                               ;   in Loop: Header=BB207_13 Depth=1
	v_or_b32_e32 v0, 0x10000, v1
	v_cmp_eq_u32_sdwa vcc, v1, v53 src0_sel:WORD_0 src1_sel:DWORD
	s_nop 1
	v_cndmask_b32_e32 v0, v0, v1, vcc
; %bb.62:                               ;   in Loop: Header=BB207_13 Depth=1
	s_or_b64 exec, exec, s[4:5]
	v_add_u32_e32 v52, 1, v52
	s_waitcnt lgkmcnt(0)
	v_lshl_add_u64 v[2:3], v[52:53], 1, s[20:21]
	global_store_short_d16_hi v[2:3], v0, off
.LBB207_63:                             ;   in Loop: Header=BB207_13 Depth=1
	s_or_b64 exec, exec, s[28:29]
	v_add_u32_e32 v50, s37, v50
	v_add_u32_e32 v0, 2, v50
	v_cmp_gt_u32_e32 vcc, s11, v50
	v_cmp_le_u32_e64 s[4:5], s11, v0
	s_and_b64 s[4:5], vcc, s[4:5]
	s_and_saveexec_b64 s[6:7], s[4:5]
	s_cbranch_execz .LBB207_12
; %bb.64:                               ;   in Loop: Header=BB207_13 Depth=1
	v_cmp_ne_u32_e32 vcc, s38, v50
	s_and_saveexec_b64 s[28:29], vcc
	s_cbranch_execz .LBB207_11
; %bb.65:                               ;   in Loop: Header=BB207_13 Depth=1
	v_subrev_u32_e32 v0, s38, v50
	v_cmp_lt_u32_e32 vcc, 1, v0
	s_mov_b64 s[30:31], 0
	s_mov_b64 s[34:35], 0
	v_cndmask_b32_e32 v0, 1, v0, vcc
.LBB207_66:                             ;   Parent Loop BB207_13 Depth=1
                                        ; =>  This Inner Loop Header: Depth=2
	s_cmp_lg_u32 s34, 1
	s_cselect_b64 vcc, -1, 0
	s_cmp_lg_u32 s34, 0
	v_cndmask_b32_e32 v49, 0, v49, vcc
	s_cselect_b64 vcc, -1, 0
	s_add_u32 s34, s34, 1
	s_addc_u32 s35, s35, 0
	v_cmp_eq_u32_e64 s[4:5], s34, v0
	s_or_b64 s[30:31], s[4:5], s[30:31]
	v_cndmask_b32_e32 v48, 0, v48, vcc
	s_andn2_b64 exec, exec, s[30:31]
	s_cbranch_execnz .LBB207_66
; %bb.67:                               ;   in Loop: Header=BB207_13 Depth=1
	s_or_b64 exec, exec, s[30:31]
	s_branch .LBB207_11
.LBB207_68:
	s_endpgm
	.section	.rodata,"a",@progbits
	.p2align	6, 0x0
	.amdhsa_kernel _Z12wvSplitK_hf_I14__hip_bfloat16Li64ELi2ELi16ELi8ELi2ELi2EEviiiiiiPKT_S3_S3_PS1_ii
		.amdhsa_group_segment_fixed_size 65536
		.amdhsa_private_segment_fixed_size 0
		.amdhsa_kernarg_size 64
		.amdhsa_user_sgpr_count 2
		.amdhsa_user_sgpr_dispatch_ptr 0
		.amdhsa_user_sgpr_queue_ptr 0
		.amdhsa_user_sgpr_kernarg_segment_ptr 1
		.amdhsa_user_sgpr_dispatch_id 0
		.amdhsa_user_sgpr_kernarg_preload_length 0
		.amdhsa_user_sgpr_kernarg_preload_offset 0
		.amdhsa_user_sgpr_private_segment_size 0
		.amdhsa_uses_dynamic_stack 0
		.amdhsa_enable_private_segment 0
		.amdhsa_system_sgpr_workgroup_id_x 1
		.amdhsa_system_sgpr_workgroup_id_y 0
		.amdhsa_system_sgpr_workgroup_id_z 0
		.amdhsa_system_sgpr_workgroup_info 0
		.amdhsa_system_vgpr_workitem_id 1
		.amdhsa_next_free_vgpr 66
		.amdhsa_next_free_sgpr 41
		.amdhsa_accum_offset 68
		.amdhsa_reserve_vcc 1
		.amdhsa_float_round_mode_32 0
		.amdhsa_float_round_mode_16_64 0
		.amdhsa_float_denorm_mode_32 3
		.amdhsa_float_denorm_mode_16_64 3
		.amdhsa_dx10_clamp 1
		.amdhsa_ieee_mode 1
		.amdhsa_fp16_overflow 0
		.amdhsa_tg_split 0
		.amdhsa_exception_fp_ieee_invalid_op 0
		.amdhsa_exception_fp_denorm_src 0
		.amdhsa_exception_fp_ieee_div_zero 0
		.amdhsa_exception_fp_ieee_overflow 0
		.amdhsa_exception_fp_ieee_underflow 0
		.amdhsa_exception_fp_ieee_inexact 0
		.amdhsa_exception_int_div_zero 0
	.end_amdhsa_kernel
	.section	.text._Z12wvSplitK_hf_I14__hip_bfloat16Li64ELi2ELi16ELi8ELi2ELi2EEviiiiiiPKT_S3_S3_PS1_ii,"axG",@progbits,_Z12wvSplitK_hf_I14__hip_bfloat16Li64ELi2ELi16ELi8ELi2ELi2EEviiiiiiPKT_S3_S3_PS1_ii,comdat
.Lfunc_end207:
	.size	_Z12wvSplitK_hf_I14__hip_bfloat16Li64ELi2ELi16ELi8ELi2ELi2EEviiiiiiPKT_S3_S3_PS1_ii, .Lfunc_end207-_Z12wvSplitK_hf_I14__hip_bfloat16Li64ELi2ELi16ELi8ELi2ELi2EEviiiiiiPKT_S3_S3_PS1_ii
                                        ; -- End function
	.section	.AMDGPU.csdata,"",@progbits
; Kernel info:
; codeLenInByte = 2816
; NumSgprs: 47
; NumVgprs: 66
; NumAgprs: 0
; TotalNumVgprs: 66
; ScratchSize: 0
; MemoryBound: 1
; FloatMode: 240
; IeeeMode: 1
; LDSByteSize: 65536 bytes/workgroup (compile time only)
; SGPRBlocks: 5
; VGPRBlocks: 8
; NumSGPRsForWavesPerEU: 47
; NumVGPRsForWavesPerEU: 66
; AccumOffset: 68
; Occupancy: 4
; WaveLimiterHint : 0
; COMPUTE_PGM_RSRC2:SCRATCH_EN: 0
; COMPUTE_PGM_RSRC2:USER_SGPR: 2
; COMPUTE_PGM_RSRC2:TRAP_HANDLER: 0
; COMPUTE_PGM_RSRC2:TGID_X_EN: 1
; COMPUTE_PGM_RSRC2:TGID_Y_EN: 0
; COMPUTE_PGM_RSRC2:TGID_Z_EN: 0
; COMPUTE_PGM_RSRC2:TIDIG_COMP_CNT: 1
; COMPUTE_PGM_RSRC3_GFX90A:ACCUM_OFFSET: 16
; COMPUTE_PGM_RSRC3_GFX90A:TG_SPLIT: 0
	.section	.text._Z16wvSplitK_hf_big_I14__hip_bfloat16Li64ELi2ELi16ELi8ELi2ELi2EEviiiiiiPKT_S3_S3_PS1_ii,"axG",@progbits,_Z16wvSplitK_hf_big_I14__hip_bfloat16Li64ELi2ELi16ELi8ELi2ELi2EEviiiiiiPKT_S3_S3_PS1_ii,comdat
	.protected	_Z16wvSplitK_hf_big_I14__hip_bfloat16Li64ELi2ELi16ELi8ELi2ELi2EEviiiiiiPKT_S3_S3_PS1_ii ; -- Begin function _Z16wvSplitK_hf_big_I14__hip_bfloat16Li64ELi2ELi16ELi8ELi2ELi2EEviiiiiiPKT_S3_S3_PS1_ii
	.globl	_Z16wvSplitK_hf_big_I14__hip_bfloat16Li64ELi2ELi16ELi8ELi2ELi2EEviiiiiiPKT_S3_S3_PS1_ii
	.p2align	8
	.type	_Z16wvSplitK_hf_big_I14__hip_bfloat16Li64ELi2ELi16ELi8ELi2ELi2EEviiiiiiPKT_S3_S3_PS1_ii,@function
_Z16wvSplitK_hf_big_I14__hip_bfloat16Li64ELi2ELi16ELi8ELi2ELi2EEviiiiiiPKT_S3_S3_PS1_ii: ; @_Z16wvSplitK_hf_big_I14__hip_bfloat16Li64ELi2ELi16ELi8ELi2ELi2EEviiiiiiPKT_S3_S3_PS1_ii
; %bb.0:
	s_load_dwordx2 s[4:5], s[0:1], 0x38
	v_bfe_u32 v1, v0, 10, 10
	s_waitcnt lgkmcnt(0)
	v_cmp_gt_u32_e32 vcc, s4, v1
	s_and_saveexec_b64 s[6:7], vcc
	s_cbranch_execz .LBB208_64
; %bb.1:
	s_load_dwordx4 s[20:23], s[0:1], 0x0
	s_mul_i32 s2, s2, s4
	v_add_lshl_u32 v50, s2, v1, 1
	s_mov_b32 s6, 1
	v_add_u32_e32 v2, 2, v50
	s_waitcnt lgkmcnt(0)
	v_cmp_gt_u32_e32 vcc, s23, v50
	v_cmp_le_u32_e64 s[2:3], s23, v2
	s_mov_b32 s7, s6
	s_and_b64 s[8:9], vcc, s[2:3]
	v_mov_b64_e32 v[48:49], s[6:7]
	s_and_saveexec_b64 s[2:3], s[8:9]
	s_cbranch_execz .LBB208_7
; %bb.2:
	s_add_i32 s14, s23, -2
	v_cmp_ne_u32_e32 vcc, s14, v50
	v_mov_b64_e32 v[48:49], s[6:7]
	s_and_saveexec_b64 s[6:7], vcc
	s_cbranch_execz .LBB208_6
; %bb.3:
	v_subrev_u32_e32 v2, s14, v50
	s_mov_b32 s8, 1
	v_cmp_lt_u32_e32 vcc, 1, v2
	s_mov_b64 s[10:11], 0
	s_mov_b64 s[12:13], 0
	v_cndmask_b32_e32 v2, 1, v2, vcc
	s_mov_b32 s9, s8
.LBB208_4:                              ; =>This Inner Loop Header: Depth=1
	s_cmp_lg_u32 s12, 1
	s_cselect_b32 s9, s9, 0
	s_cmp_lg_u32 s12, 0
	s_cselect_b32 s8, s8, 0
	s_add_u32 s12, s12, 1
	s_addc_u32 s13, s13, 0
	v_cmp_eq_u32_e32 vcc, s12, v2
	s_or_b64 s[10:11], vcc, s[10:11]
	v_mov_b64_e32 v[48:49], s[8:9]
	s_andn2_b64 exec, exec, s[10:11]
	s_cbranch_execnz .LBB208_4
; %bb.5:
	s_or_b64 exec, exec, s[10:11]
	v_mov_b32_e32 v50, s14
.LBB208_6:
	s_or_b64 exec, exec, s[6:7]
.LBB208_7:
	s_or_b64 exec, exec, s[2:3]
	s_lshl_b32 s2, s4, 1
	s_abs_i32 s3, s2
	v_cvt_f32_u32_e32 v2, s3
	s_sub_i32 s8, 0, s3
	s_abs_i32 s7, s23
	s_ashr_i32 s6, s23, 31
	v_rcp_iflag_f32_e32 v2, v2
	s_nop 0
	v_mul_f32_e32 v2, 0x4f7ffffe, v2
	v_cvt_u32_f32_e32 v2, v2
	s_nop 0
	v_readfirstlane_b32 s9, v2
	s_mul_i32 s8, s8, s9
	s_mul_hi_u32 s8, s9, s8
	s_add_i32 s9, s9, s8
	s_mul_hi_u32 s8, s7, s9
	s_mul_i32 s8, s8, s3
	s_sub_i32 s7, s7, s8
	s_sub_i32 s8, s7, s3
	s_cmp_ge_u32 s7, s3
	s_cselect_b32 s7, s8, s7
	s_sub_i32 s8, s7, s3
	s_cmp_ge_u32 s7, s3
	s_cselect_b32 s3, s8, s7
	s_xor_b32 s3, s3, s6
	s_sub_i32 s3, s3, s6
	s_add_i32 s2, s2, s23
	s_sub_i32 s2, s2, s3
	s_cmp_eq_u32 s3, 0
	s_cselect_b32 s33, s23, s2
	v_cmp_gt_u32_e32 vcc, s33, v50
	s_and_b64 exec, exec, vcc
	s_cbranch_execz .LBB208_64
; %bb.8:
	s_load_dwordx8 s[12:19], s[0:1], 0x10
	s_min_u32 s40, s22, 0x4000
	s_cmp_lg_u32 s20, 0
	s_load_dwordx2 s[10:11], s[0:1], 0x30
	s_cselect_b64 s[2:3], -1, 0
	s_waitcnt lgkmcnt(0)
	v_cvt_f32_u32_e32 v2, s12
	s_cmp_lg_u32 s22, 0
	s_mul_i32 s0, s5, s4
	s_cselect_b64 s[6:7], -1, 0
	v_rcp_iflag_f32_e32 v2, v2
	s_lshl_b32 s41, s4, 9
	s_add_i32 s42, s20, -8
	s_add_i32 s43, s23, -1
	v_mul_f32_e32 v2, 0x4f7ffffe, v2
	v_cvt_u32_f32_e32 v2, v2
	s_lshl_b32 s44, s0, 1
	s_cmp_lg_u64 s[18:19], 0
	s_cselect_b64 s[26:27], -1, 0
	s_sub_i32 s5, 0, s12
	v_mul_lo_u32 v3, s5, v2
	s_abs_i32 s5, s13
	s_add_i32 s45, s23, -2
	s_sub_i32 s8, 1, s5
	s_cmp_lt_u32 s5, 2
	v_and_b32_e32 v0, 0x3ff, v0
	s_cselect_b32 s8, s8, 1
	v_lshlrev_b32_e32 v58, 3, v0
	v_cmp_eq_u32_e64 s[0:1], 63, v0
	s_sub_i32 s9, s8, s5
	v_lshlrev_b32_e32 v0, 4, v0
	s_cmp_ge_u32 s8, s5
	v_lshl_add_u32 v60, v1, 10, v0
	v_cndmask_b32_e64 v0, 0, 1, s[2:3]
	v_mul_hi_u32 v3, v2, v3
	s_cselect_b32 s13, s9, s8
	s_add_u32 s28, s10, 2
	v_lshl_add_u32 v61, v1, 9, v58
	v_cmp_ne_u32_e64 s[2:3], 1, v0
	v_cndmask_b32_e64 v0, 0, 1, s[6:7]
	s_mov_b64 s[24:25], 0
	v_add_u32_e32 v59, v2, v3
	v_mov_b32_e32 v53, 0
	s_mul_i32 s13, s13, s12
	s_addc_u32 s29, s11, 0
	s_lshl_b32 s46, s40, 1
	s_lshl_b32 s47, s4, 10
	v_add_u32_e32 v62, s22, v61
	v_cmp_ne_u32_e64 s[4:5], 1, v0
	s_mov_b32 s48, 0x7f800000
	s_movk_i32 s49, 0x7fff
	s_branch .LBB208_12
.LBB208_9:                              ;   in Loop: Header=BB208_12 Depth=1
	s_or_b64 exec, exec, s[34:35]
	v_mov_b32_e32 v50, s45
.LBB208_10:                             ;   in Loop: Header=BB208_12 Depth=1
	s_or_b64 exec, exec, s[8:9]
.LBB208_11:                             ;   in Loop: Header=BB208_12 Depth=1
	s_or_b64 exec, exec, s[30:31]
	v_cmp_le_u32_e32 vcc, s33, v50
	s_or_b64 s[24:25], vcc, s[24:25]
	s_andn2_b64 exec, exec, s[24:25]
	s_cbranch_execz .LBB208_64
.LBB208_12:                             ; =>This Loop Header: Depth=1
                                        ;     Child Loop BB208_17 Depth 2
                                        ;       Child Loop BB208_22 Depth 3
                                        ;     Child Loop BB208_62 Depth 2
	s_and_b64 vcc, exec, s[2:3]
	v_mov_b32_e32 v3, v53
	v_mov_b32_e32 v2, v53
	;; [unrolled: 1-line block ×4, first 2 shown]
	s_waitcnt vmcnt(1)
	v_mov_b32_e32 v7, v53
	v_mov_b32_e32 v6, v53
	;; [unrolled: 1-line block ×3, first 2 shown]
	s_waitcnt vmcnt(0)
	v_mov_b32_e32 v4, v53
	v_mov_b32_e32 v11, v53
	;; [unrolled: 1-line block ×9, first 2 shown]
	s_cbranch_vccnz .LBB208_29
; %bb.13:                               ;   in Loop: Header=BB208_12 Depth=1
	v_min_u32_e32 v0, s43, v50
	v_mul_lo_u32 v52, v0, s21
	v_add_u32_e32 v0, 1, v50
	v_min_u32_e32 v0, s43, v0
	v_mul_lo_u32 v0, v0, s21
	v_mov_b32_e32 v1, v53
	v_mov_b32_e32 v12, 0
	v_cmp_gt_u32_e64 s[6:7], s23, v50
	s_mov_b32 s36, 0
	v_lshlrev_b64 v[54:55], 1, v[52:53]
	v_lshlrev_b64 v[56:57], 1, v[0:1]
	s_mov_b32 s37, 0
	v_mov_b32_e32 v13, v12
	v_mov_b32_e32 v14, v12
	;; [unrolled: 1-line block ×15, first 2 shown]
	s_branch .LBB208_17
.LBB208_14:                             ;   in Loop: Header=BB208_17 Depth=2
	s_or_b64 exec, exec, s[34:35]
.LBB208_15:                             ;   in Loop: Header=BB208_17 Depth=2
	s_or_b64 exec, exec, s[30:31]
	s_waitcnt vmcnt(3) lgkmcnt(1)
	v_mfma_f32_4x4x4_16b_bf16 v[12:15], v[44:45], v[28:29], v[12:15]
	s_waitcnt vmcnt(2)
	v_mfma_f32_4x4x4_16b_bf16 v[8:11], v[44:45], v[24:25], v[8:11]
	s_waitcnt lgkmcnt(0)
	v_mfma_f32_4x4x4_16b_bf16 v[4:7], v[40:41], v[28:29], v[4:7]
	v_mfma_f32_4x4x4_16b_bf16 v[0:3], v[40:41], v[24:25], v[0:3]
	;; [unrolled: 1-line block ×6, first 2 shown]
	s_waitcnt vmcnt(1)
	v_mfma_f32_4x4x4_16b_bf16 v[12:15], v[36:37], v[20:21], v[12:15]
	s_waitcnt vmcnt(0)
	v_mfma_f32_4x4x4_16b_bf16 v[8:11], v[36:37], v[16:17], v[8:11]
	v_mfma_f32_4x4x4_16b_bf16 v[4:7], v[32:33], v[20:21], v[4:7]
	;; [unrolled: 1-line block ×7, first 2 shown]
.LBB208_16:                             ;   in Loop: Header=BB208_17 Depth=2
	s_or_b64 exec, exec, s[8:9]
	s_addk_i32 s37, 0x400
	s_cmp_ge_u32 s37, s20
	s_cbranch_scc1 .LBB208_29
.LBB208_17:                             ;   Parent Loop BB208_12 Depth=1
                                        ; =>  This Loop Header: Depth=2
                                        ;       Child Loop BB208_22 Depth 3
	s_cmp_eq_u32 s37, 0
	s_cselect_b64 s[8:9], -1, 0
	s_add_i32 s30, s36, s40
	s_cmp_eq_u32 s37, s30
	s_cselect_b64 s[34:35], -1, 0
	s_or_b64 s[34:35], s[8:9], s[34:35]
	s_andn2_b64 vcc, exec, s[34:35]
	s_cbranch_vccz .LBB208_19
; %bb.18:                               ;   in Loop: Header=BB208_17 Depth=2
	s_and_saveexec_b64 s[8:9], s[6:7]
	s_cbranch_execz .LBB208_16
	s_branch .LBB208_26
.LBB208_19:                             ;   in Loop: Header=BB208_17 Depth=2
	s_and_b64 s[8:9], s[8:9], exec
	s_cselect_b32 s36, s36, s30
	s_and_b64 vcc, exec, s[4:5]
	s_barrier
	s_cbranch_vccnz .LBB208_25
; %bb.20:                               ;   in Loop: Header=BB208_17 Depth=2
	v_add_u32_e32 v16, s36, v62
	v_add_u32_e32 v17, s36, v61
	s_mov_b32 s38, 0
	s_mov_b64 s[30:31], 0
	v_mov_b32_e32 v18, v60
                                        ; implicit-def: $sgpr34_sgpr35
	s_branch .LBB208_22
.LBB208_21:                             ;   in Loop: Header=BB208_22 Depth=3
	s_or_b64 exec, exec, s[8:9]
	s_and_b64 s[8:9], exec, s[34:35]
	s_or_b64 s[30:31], s[8:9], s[30:31]
	s_andn2_b64 exec, exec, s[30:31]
	s_cbranch_execz .LBB208_24
.LBB208_22:                             ;   Parent Loop BB208_12 Depth=1
                                        ;     Parent Loop BB208_17 Depth=2
                                        ; =>    This Inner Loop Header: Depth=3
	v_add_u32_e32 v19, s38, v61
	v_add_u32_e32 v52, s38, v17
	v_cmp_gt_u32_e32 vcc, s22, v52
	v_cmp_gt_u32_e64 s[8:9], s40, v19
	s_and_b64 s[50:51], s[8:9], vcc
	s_or_b64 s[34:35], s[34:35], exec
	s_and_saveexec_b64 s[8:9], s[50:51]
	s_cbranch_execz .LBB208_21
; %bb.23:                               ;   in Loop: Header=BB208_22 Depth=3
	v_lshl_add_u64 v[20:21], v[52:53], 1, s[16:17]
	v_add_u32_e32 v52, s38, v16
	global_load_dwordx4 v[20:23], v[20:21], off
	v_lshl_add_u64 v[24:25], v[52:53], 1, s[16:17]
	global_load_dwordx4 v[24:27], v[24:25], off
	s_add_i32 s38, s38, s41
	s_cmp_ge_u32 s38, s40
	s_cselect_b64 s[50:51], -1, 0
	s_andn2_b64 s[34:35], s[34:35], exec
	s_and_b64 s[50:51], s[50:51], exec
	v_add_u32_e32 v19, s46, v18
	s_or_b64 s[34:35], s[34:35], s[50:51]
	s_waitcnt vmcnt(1)
	ds_write_b128 v18, v[20:23]
	v_add_u32_e32 v18, s47, v18
	s_waitcnt vmcnt(0)
	ds_write2_b64 v19, v[24:25], v[26:27] offset1:1
	s_branch .LBB208_21
.LBB208_24:                             ;   in Loop: Header=BB208_17 Depth=2
	s_or_b64 exec, exec, s[30:31]
.LBB208_25:                             ;   in Loop: Header=BB208_17 Depth=2
	s_waitcnt lgkmcnt(0)
	s_barrier
	s_and_saveexec_b64 s[8:9], s[6:7]
	s_cbranch_execz .LBB208_16
.LBB208_26:                             ;   in Loop: Header=BB208_17 Depth=2
	v_add_u32_e32 v51, s37, v58
	v_min_u32_e32 v52, s42, v51
	v_lshl_add_u64 v[16:17], v[52:53], 1, s[14:15]
	v_add_u32_e32 v63, 0x200, v51
	v_lshl_add_u64 v[18:19], v[16:17], 0, v[54:55]
	v_lshl_add_u64 v[16:17], v[16:17], 0, v[56:57]
	v_min_u32_e32 v52, s42, v63
	global_load_dwordx4 v[28:31], v[18:19], off nt
	global_load_dwordx4 v[24:27], v[16:17], off nt
	v_lshl_add_u64 v[16:17], v[52:53], 1, s[14:15]
	v_lshl_add_u64 v[32:33], v[16:17], 0, v[54:55]
	;; [unrolled: 1-line block ×3, first 2 shown]
	global_load_dwordx4 v[20:23], v[32:33], off nt
	global_load_dwordx4 v[16:19], v[34:35], off nt
	v_cmp_gt_u32_e32 vcc, s20, v51
	v_mov_b32_e32 v34, 0
	v_mov_b32_e32 v35, 0
	;; [unrolled: 1-line block ×16, first 2 shown]
	s_and_saveexec_b64 s[30:31], vcc
	s_cbranch_execz .LBB208_15
; %bb.27:                               ;   in Loop: Header=BB208_17 Depth=2
	v_subrev_u32_e32 v32, s36, v51
	v_lshlrev_b32_e32 v52, 1, v32
	v_lshl_add_u32 v51, s40, 1, v52
	ds_read_b128 v[44:47], v52
	ds_read_b128 v[40:43], v51
	v_cmp_gt_u32_e32 vcc, s20, v63
	v_mov_b32_e32 v37, 0
	v_mov_b32_e32 v36, 0
	;; [unrolled: 1-line block ×8, first 2 shown]
	s_and_saveexec_b64 s[34:35], vcc
	s_cbranch_execz .LBB208_14
; %bb.28:                               ;   in Loop: Header=BB208_17 Depth=2
	ds_read_b128 v[36:39], v52 offset:1024
	ds_read_b128 v[32:35], v51 offset:1024
	s_branch .LBB208_14
.LBB208_29:                             ;   in Loop: Header=BB208_12 Depth=1
	v_cmp_le_u32_e32 vcc, s23, v50
	s_and_saveexec_b64 s[6:7], vcc
	s_xor_b64 s[6:7], exec, s[6:7]
; %bb.30:                               ;   in Loop: Header=BB208_12 Depth=1
	v_add_u32_e32 v50, s44, v50
                                        ; implicit-def: $vgpr3
                                        ; implicit-def: $vgpr7
                                        ; implicit-def: $vgpr11
                                        ; implicit-def: $vgpr15
; %bb.31:                               ;   in Loop: Header=BB208_12 Depth=1
	s_andn2_saveexec_b64 s[30:31], s[6:7]
	s_cbranch_execz .LBB208_11
; %bb.32:                               ;   in Loop: Header=BB208_12 Depth=1
	v_cvt_i32_f32_e32 v13, v13
	v_cvt_i32_f32_e32 v14, v14
	;; [unrolled: 1-line block ×4, first 2 shown]
	v_cvt_f32_i32_dpp v13, v13 row_shl:1 row_mask:0xf bank_mask:0xf bound_ctrl:1
	v_cvt_f32_i32_dpp v14, v14 row_shl:2 row_mask:0xf bank_mask:0xf bound_ctrl:1
	v_cvt_i32_f32_e32 v10, v10
	v_cvt_f32_i32_dpp v15, v15 row_shl:3 row_mask:0xf bank_mask:0xf bound_ctrl:1
	v_cvt_i32_f32_e32 v11, v11
	v_cvt_i32_f32_e32 v5, v5
	v_add_f32_e32 v12, v12, v13
	v_cvt_f32_i32_dpp v9, v9 row_shl:1 row_mask:0xf bank_mask:0xf bound_ctrl:1
	v_cvt_i32_f32_e32 v1, v1
	v_add_f32_e32 v12, v12, v14
	v_cvt_f32_i32_dpp v10, v10 row_shl:2 row_mask:0xf bank_mask:0xf bound_ctrl:1
	v_cvt_i32_f32_e32 v6, v6
	v_cvt_i32_f32_e32 v2, v2
	v_add_f32_e32 v12, v12, v15
	v_cvt_f32_i32_dpp v11, v11 row_shl:3 row_mask:0xf bank_mask:0xf bound_ctrl:1
	v_cvt_f32_i32_dpp v5, v5 row_shl:1 row_mask:0xf bank_mask:0xf bound_ctrl:1
	v_cvt_i32_f32_e32 v7, v7
	v_cvt_i32_f32_e32 v3, v3
	;; [unrolled: 1-line block ×3, first 2 shown]
	v_add_f32_e32 v8, v8, v9
	v_cvt_f32_i32_dpp v1, v1 row_shl:1 row_mask:0xf bank_mask:0xf bound_ctrl:1
	v_add_f32_e32 v8, v8, v10
	v_cvt_f32_i32_dpp v6, v6 row_shl:2 row_mask:0xf bank_mask:0xf bound_ctrl:1
	v_cvt_f32_i32_dpp v2, v2 row_shl:2 row_mask:0xf bank_mask:0xf bound_ctrl:1
	v_add_f32_e32 v8, v8, v11
	v_add_f32_e32 v4, v4, v5
	v_cvt_f32_i32_dpp v5, v7 row_shl:3 row_mask:0xf bank_mask:0xf bound_ctrl:1
	v_cvt_f32_i32_dpp v3, v3 row_shl:3 row_mask:0xf bank_mask:0xf bound_ctrl:1
	;; [unrolled: 1-line block ×3, first 2 shown]
	v_cvt_i32_f32_e32 v10, v8
	v_add_f32_e32 v0, v0, v1
	v_add_f32_e32 v4, v4, v6
	;; [unrolled: 1-line block ×6, first 2 shown]
	v_cvt_f32_i32_dpp v10, v10 row_shl:4 row_mask:0xf bank_mask:0xf bound_ctrl:1
	v_cvt_i32_f32_e32 v5, v4
	v_cvt_i32_f32_e32 v1, v0
	;; [unrolled: 1-line block ×3, first 2 shown]
	v_add_f32_e32 v8, v8, v10
	v_cvt_f32_i32_dpp v3, v5 row_shl:4 row_mask:0xf bank_mask:0xf bound_ctrl:1
	v_cvt_f32_i32_dpp v1, v1 row_shl:4 row_mask:0xf bank_mask:0xf bound_ctrl:1
	;; [unrolled: 1-line block ×3, first 2 shown]
	v_cvt_i32_f32_e32 v10, v8
	v_add_f32_e32 v3, v4, v3
	v_add_f32_e32 v0, v0, v1
	;; [unrolled: 1-line block ×3, first 2 shown]
	v_cvt_f32_i32_dpp v2, v10 row_shl:8 row_mask:0xf bank_mask:0xf bound_ctrl:1
	v_cvt_i32_f32_e32 v4, v3
	v_cvt_i32_f32_e32 v1, v0
	;; [unrolled: 1-line block ×3, first 2 shown]
	v_add_f32_e32 v2, v8, v2
	v_cvt_f32_i32_dpp v4, v4 row_shl:8 row_mask:0xf bank_mask:0xf bound_ctrl:1
	v_cvt_f32_i32_dpp v1, v1 row_shl:8 row_mask:0xf bank_mask:0xf bound_ctrl:1
	v_cvt_f32_i32_dpp v5, v9 row_shr:15 row_mask:0xf bank_mask:0xf bound_ctrl:1
	v_cvt_i32_f32_e32 v2, v2
	v_add_f32_e32 v3, v3, v4
	v_add_f32_e32 v0, v0, v1
	v_cvt_i32_f32_e32 v6, v5
	v_cvt_f32_i32_dpp v2, v2 row_shr:15 row_mask:0xf bank_mask:0xf bound_ctrl:1
	v_cvt_i32_f32_e32 v3, v3
	v_cvt_i32_f32_e32 v0, v0
	v_cvt_f32_i32_dpp v1, v6 row_bcast:15 row_mask:0xf bank_mask:0xf bound_ctrl:1
	v_cvt_i32_f32_e32 v4, v2
	v_cvt_f32_i32_dpp v3, v3 row_shr:15 row_mask:0xf bank_mask:0xf bound_ctrl:1
	v_cvt_f32_i32_dpp v0, v0 row_shr:15 row_mask:0xf bank_mask:0xf bound_ctrl:1
	v_add_f32_e32 v8, v5, v1
	v_cvt_f32_i32_dpp v4, v4 row_bcast:15 row_mask:0xf bank_mask:0xf bound_ctrl:1
	v_cvt_i32_f32_e32 v1, v3
	v_cvt_i32_f32_e32 v6, v0
	;; [unrolled: 1-line block ×3, first 2 shown]
	v_add_f32_e32 v5, v2, v4
	v_cvt_f32_i32_dpp v1, v1 row_bcast:15 row_mask:0xf bank_mask:0xf bound_ctrl:1
	v_cvt_f32_i32_dpp v4, v6 row_bcast:15 row_mask:0xf bank_mask:0xf bound_ctrl:1
	v_cvt_i32_f32_e32 v6, v5
	v_mov_b32_dpp v9, v7 row_bcast:31 row_mask:0xf bank_mask:0xf bound_ctrl:1
	v_add_f32_e32 v2, v3, v1
	v_add_f32_e32 v0, v0, v4
	v_cvt_i32_f32_e32 v1, v2
	v_cvt_i32_f32_e32 v4, v0
	v_mov_b32_dpp v6, v6 row_bcast:31 row_mask:0xf bank_mask:0xf bound_ctrl:1
	v_mov_b32_dpp v3, v1 row_bcast:31 row_mask:0xf bank_mask:0xf bound_ctrl:1
	;; [unrolled: 1-line block ×3, first 2 shown]
	s_and_saveexec_b64 s[34:35], s[0:1]
	s_cbranch_execz .LBB208_59
; %bb.33:                               ;   in Loop: Header=BB208_12 Depth=1
	s_andn2_b64 vcc, exec, s[26:27]
	v_mov_b32_e32 v4, 0
	v_mov_b32_e32 v7, 0
	;; [unrolled: 1-line block ×4, first 2 shown]
	s_cbranch_vccnz .LBB208_35
; %bb.34:                               ;   in Loop: Header=BB208_12 Depth=1
	v_mul_hi_u32 v4, v50, v59
	v_mul_lo_u32 v4, v4, s12
	v_sub_u32_e32 v4, v50, v4
	v_subrev_u32_e32 v7, s12, v4
	v_cmp_le_u32_e32 vcc, s12, v4
	v_mov_b32_e32 v11, v53
	s_nop 0
	v_cndmask_b32_e32 v4, v4, v7, vcc
	v_subrev_u32_e32 v7, s12, v4
	v_cmp_le_u32_e32 vcc, s12, v4
	s_nop 1
	v_cndmask_b32_e32 v52, v4, v7, vcc
	v_add_u32_e32 v4, 1, v50
	v_mul_hi_u32 v7, v4, v59
	v_mul_lo_u32 v7, v7, s12
	v_sub_u32_e32 v4, v4, v7
	v_subrev_u32_e32 v7, s12, v4
	v_cmp_le_u32_e32 vcc, s12, v4
	v_lshl_add_u64 v[12:13], v[52:53], 1, s[18:19]
	v_add_u32_e32 v52, s13, v52
	v_cndmask_b32_e32 v4, v4, v7, vcc
	v_subrev_u32_e32 v7, s12, v4
	v_cmp_le_u32_e32 vcc, s12, v4
	v_lshl_add_u64 v[16:17], v[52:53], 1, s[18:19]
	s_nop 0
	v_cndmask_b32_e32 v10, v4, v7, vcc
	v_add_u32_e32 v52, s13, v10
	v_lshl_add_u64 v[14:15], v[10:11], 1, s[18:19]
	v_lshl_add_u64 v[18:19], v[52:53], 1, s[18:19]
	global_load_ushort v11, v[12:13], off
	global_load_ushort v10, v[14:15], off
	;; [unrolled: 1-line block ×4, first 2 shown]
.LBB208_35:                             ;   in Loop: Header=BB208_12 Depth=1
	v_cmp_ne_u32_e32 vcc, 0, v48
	s_and_saveexec_b64 s[8:9], vcc
	s_cbranch_execnz .LBB208_39
; %bb.36:                               ;   in Loop: Header=BB208_12 Depth=1
	s_or_b64 exec, exec, s[8:9]
	v_cmp_ne_u32_e64 s[6:7], 0, v49
	s_and_saveexec_b64 s[36:37], s[6:7]
	s_cbranch_execnz .LBB208_44
.LBB208_37:                             ;   in Loop: Header=BB208_12 Depth=1
	s_or_b64 exec, exec, s[36:37]
	v_add_u32_e32 v52, s23, v50
	s_and_saveexec_b64 s[8:9], vcc
	s_cbranch_execnz .LBB208_49
.LBB208_38:                             ;   in Loop: Header=BB208_12 Depth=1
	s_or_b64 exec, exec, s[8:9]
	s_and_b64 exec, exec, s[6:7]
	s_cbranch_execnz .LBB208_54
	s_branch .LBB208_59
.LBB208_39:                             ;   in Loop: Header=BB208_12 Depth=1
	v_cvt_f32_i32_e32 v9, v9
	v_add_f32_e32 v8, v8, v9
	s_waitcnt vmcnt(3)
	v_lshlrev_b32_e32 v9, 16, v11
	v_add_f32_e32 v9, v8, v9
	v_and_b32_e32 v8, 0x7f800000, v9
	v_cmp_ne_u32_e64 s[6:7], s48, v8
                                        ; implicit-def: $vgpr8
	s_and_saveexec_b64 s[36:37], s[6:7]
	s_xor_b64 s[6:7], exec, s[36:37]
; %bb.40:                               ;   in Loop: Header=BB208_12 Depth=1
	v_bfe_u32 v8, v9, 16, 1
	v_add3_u32 v8, v9, v8, s49
                                        ; implicit-def: $vgpr9
; %bb.41:                               ;   in Loop: Header=BB208_12 Depth=1
	s_andn2_saveexec_b64 s[36:37], s[6:7]
; %bb.42:                               ;   in Loop: Header=BB208_12 Depth=1
	v_or_b32_e32 v8, 0x10000, v9
	v_cmp_eq_u32_sdwa s[6:7], v9, v53 src0_sel:WORD_0 src1_sel:DWORD
	s_nop 1
	v_cndmask_b32_e64 v8, v8, v9, s[6:7]
; %bb.43:                               ;   in Loop: Header=BB208_12 Depth=1
	s_or_b64 exec, exec, s[36:37]
	v_mov_b32_e32 v51, v53
	v_lshl_add_u64 v[12:13], v[50:51], 1, s[10:11]
	global_store_short_d16_hi v[12:13], v8, off
	s_or_b64 exec, exec, s[8:9]
	v_cmp_ne_u32_e64 s[6:7], 0, v49
	s_and_saveexec_b64 s[36:37], s[6:7]
	s_cbranch_execz .LBB208_37
.LBB208_44:                             ;   in Loop: Header=BB208_12 Depth=1
	v_cvt_f32_i32_e32 v6, v6
	v_add_f32_e32 v5, v5, v6
	s_waitcnt vmcnt(2)
	v_lshlrev_b32_e32 v6, 16, v10
	v_add_f32_e32 v6, v5, v6
	v_and_b32_e32 v5, 0x7f800000, v6
	v_cmp_ne_u32_e64 s[8:9], s48, v5
                                        ; implicit-def: $vgpr5
	s_and_saveexec_b64 s[38:39], s[8:9]
	s_xor_b64 s[8:9], exec, s[38:39]
; %bb.45:                               ;   in Loop: Header=BB208_12 Depth=1
	v_bfe_u32 v5, v6, 16, 1
	v_add3_u32 v5, v6, v5, s49
                                        ; implicit-def: $vgpr6
; %bb.46:                               ;   in Loop: Header=BB208_12 Depth=1
	s_andn2_saveexec_b64 s[38:39], s[8:9]
; %bb.47:                               ;   in Loop: Header=BB208_12 Depth=1
	v_or_b32_e32 v5, 0x10000, v6
	v_cmp_eq_u32_sdwa s[8:9], v6, v53 src0_sel:WORD_0 src1_sel:DWORD
	s_nop 1
	v_cndmask_b32_e64 v5, v5, v6, s[8:9]
; %bb.48:                               ;   in Loop: Header=BB208_12 Depth=1
	s_or_b64 exec, exec, s[38:39]
	v_mov_b32_e32 v51, v53
	v_lshl_add_u64 v[8:9], v[50:51], 1, s[28:29]
	global_store_short_d16_hi v[8:9], v5, off
	s_or_b64 exec, exec, s[36:37]
	v_add_u32_e32 v52, s23, v50
	s_and_saveexec_b64 s[8:9], vcc
	s_cbranch_execz .LBB208_38
.LBB208_49:                             ;   in Loop: Header=BB208_12 Depth=1
	v_cvt_f32_i32_e32 v3, v3
	v_add_f32_e32 v2, v2, v3
	s_waitcnt vmcnt(1)
	v_lshlrev_b32_e32 v3, 16, v7
	v_add_f32_e32 v3, v2, v3
	v_and_b32_e32 v2, 0x7f800000, v3
	v_cmp_ne_u32_e32 vcc, s48, v2
                                        ; implicit-def: $vgpr2
	s_and_saveexec_b64 s[36:37], vcc
	s_xor_b64 s[36:37], exec, s[36:37]
; %bb.50:                               ;   in Loop: Header=BB208_12 Depth=1
	v_bfe_u32 v2, v3, 16, 1
	v_add3_u32 v2, v3, v2, s49
                                        ; implicit-def: $vgpr3
; %bb.51:                               ;   in Loop: Header=BB208_12 Depth=1
	s_andn2_saveexec_b64 s[36:37], s[36:37]
; %bb.52:                               ;   in Loop: Header=BB208_12 Depth=1
	v_or_b32_e32 v2, 0x10000, v3
	v_cmp_eq_u32_sdwa vcc, v3, v53 src0_sel:WORD_0 src1_sel:DWORD
	s_nop 1
	v_cndmask_b32_e32 v2, v2, v3, vcc
; %bb.53:                               ;   in Loop: Header=BB208_12 Depth=1
	s_or_b64 exec, exec, s[36:37]
	v_lshl_add_u64 v[6:7], v[52:53], 1, s[10:11]
	global_store_short_d16_hi v[6:7], v2, off
	s_or_b64 exec, exec, s[8:9]
	s_and_b64 exec, exec, s[6:7]
	s_cbranch_execz .LBB208_59
.LBB208_54:                             ;   in Loop: Header=BB208_12 Depth=1
	v_cvt_f32_i32_e32 v1, v1
	v_add_f32_e32 v0, v0, v1
	s_waitcnt vmcnt(0)
	v_lshlrev_b32_e32 v1, 16, v4
	v_add_f32_e32 v1, v0, v1
	v_and_b32_e32 v0, 0x7f800000, v1
	v_cmp_ne_u32_e32 vcc, s48, v0
                                        ; implicit-def: $vgpr0
	s_and_saveexec_b64 s[6:7], vcc
	s_xor_b64 s[6:7], exec, s[6:7]
; %bb.55:                               ;   in Loop: Header=BB208_12 Depth=1
	v_bfe_u32 v0, v1, 16, 1
	v_add3_u32 v0, v1, v0, s49
                                        ; implicit-def: $vgpr1
; %bb.56:                               ;   in Loop: Header=BB208_12 Depth=1
	s_andn2_saveexec_b64 s[6:7], s[6:7]
; %bb.57:                               ;   in Loop: Header=BB208_12 Depth=1
	v_or_b32_e32 v0, 0x10000, v1
	v_cmp_eq_u32_sdwa vcc, v1, v53 src0_sel:WORD_0 src1_sel:DWORD
	s_nop 1
	v_cndmask_b32_e32 v0, v0, v1, vcc
; %bb.58:                               ;   in Loop: Header=BB208_12 Depth=1
	s_or_b64 exec, exec, s[6:7]
	v_add_u32_e32 v52, 1, v52
	v_lshl_add_u64 v[2:3], v[52:53], 1, s[10:11]
	global_store_short_d16_hi v[2:3], v0, off
.LBB208_59:                             ;   in Loop: Header=BB208_12 Depth=1
	s_or_b64 exec, exec, s[34:35]
	v_add_u32_e32 v50, s44, v50
	v_add_u32_e32 v0, 2, v50
	v_cmp_gt_u32_e32 vcc, s23, v50
	v_cmp_le_u32_e64 s[6:7], s23, v0
	s_and_b64 s[6:7], vcc, s[6:7]
	s_and_saveexec_b64 s[8:9], s[6:7]
	s_cbranch_execz .LBB208_10
; %bb.60:                               ;   in Loop: Header=BB208_12 Depth=1
	v_cmp_ne_u32_e32 vcc, s45, v50
	s_and_saveexec_b64 s[34:35], vcc
	s_cbranch_execz .LBB208_9
; %bb.61:                               ;   in Loop: Header=BB208_12 Depth=1
	v_subrev_u32_e32 v0, s45, v50
	v_cmp_lt_u32_e32 vcc, 1, v0
	s_mov_b64 s[36:37], 0
	s_mov_b64 s[38:39], 0
	v_cndmask_b32_e32 v0, 1, v0, vcc
.LBB208_62:                             ;   Parent Loop BB208_12 Depth=1
                                        ; =>  This Inner Loop Header: Depth=2
	s_cmp_lg_u32 s38, 1
	s_cselect_b64 vcc, -1, 0
	s_cmp_lg_u32 s38, 0
	v_cndmask_b32_e32 v49, 0, v49, vcc
	s_cselect_b64 vcc, -1, 0
	s_add_u32 s38, s38, 1
	s_addc_u32 s39, s39, 0
	v_cmp_eq_u32_e64 s[6:7], s38, v0
	s_or_b64 s[36:37], s[6:7], s[36:37]
	v_cndmask_b32_e32 v48, 0, v48, vcc
	s_andn2_b64 exec, exec, s[36:37]
	s_cbranch_execnz .LBB208_62
; %bb.63:                               ;   in Loop: Header=BB208_12 Depth=1
	s_or_b64 exec, exec, s[36:37]
	s_branch .LBB208_9
.LBB208_64:
	s_endpgm
	.section	.rodata,"a",@progbits
	.p2align	6, 0x0
	.amdhsa_kernel _Z16wvSplitK_hf_big_I14__hip_bfloat16Li64ELi2ELi16ELi8ELi2ELi2EEviiiiiiPKT_S3_S3_PS1_ii
		.amdhsa_group_segment_fixed_size 65536
		.amdhsa_private_segment_fixed_size 0
		.amdhsa_kernarg_size 64
		.amdhsa_user_sgpr_count 2
		.amdhsa_user_sgpr_dispatch_ptr 0
		.amdhsa_user_sgpr_queue_ptr 0
		.amdhsa_user_sgpr_kernarg_segment_ptr 1
		.amdhsa_user_sgpr_dispatch_id 0
		.amdhsa_user_sgpr_kernarg_preload_length 0
		.amdhsa_user_sgpr_kernarg_preload_offset 0
		.amdhsa_user_sgpr_private_segment_size 0
		.amdhsa_uses_dynamic_stack 0
		.amdhsa_enable_private_segment 0
		.amdhsa_system_sgpr_workgroup_id_x 1
		.amdhsa_system_sgpr_workgroup_id_y 0
		.amdhsa_system_sgpr_workgroup_id_z 0
		.amdhsa_system_sgpr_workgroup_info 0
		.amdhsa_system_vgpr_workitem_id 1
		.amdhsa_next_free_vgpr 64
		.amdhsa_next_free_sgpr 52
		.amdhsa_accum_offset 64
		.amdhsa_reserve_vcc 1
		.amdhsa_float_round_mode_32 0
		.amdhsa_float_round_mode_16_64 0
		.amdhsa_float_denorm_mode_32 3
		.amdhsa_float_denorm_mode_16_64 3
		.amdhsa_dx10_clamp 1
		.amdhsa_ieee_mode 1
		.amdhsa_fp16_overflow 0
		.amdhsa_tg_split 0
		.amdhsa_exception_fp_ieee_invalid_op 0
		.amdhsa_exception_fp_denorm_src 0
		.amdhsa_exception_fp_ieee_div_zero 0
		.amdhsa_exception_fp_ieee_overflow 0
		.amdhsa_exception_fp_ieee_underflow 0
		.amdhsa_exception_fp_ieee_inexact 0
		.amdhsa_exception_int_div_zero 0
	.end_amdhsa_kernel
	.section	.text._Z16wvSplitK_hf_big_I14__hip_bfloat16Li64ELi2ELi16ELi8ELi2ELi2EEviiiiiiPKT_S3_S3_PS1_ii,"axG",@progbits,_Z16wvSplitK_hf_big_I14__hip_bfloat16Li64ELi2ELi16ELi8ELi2ELi2EEviiiiiiPKT_S3_S3_PS1_ii,comdat
.Lfunc_end208:
	.size	_Z16wvSplitK_hf_big_I14__hip_bfloat16Li64ELi2ELi16ELi8ELi2ELi2EEviiiiiiPKT_S3_S3_PS1_ii, .Lfunc_end208-_Z16wvSplitK_hf_big_I14__hip_bfloat16Li64ELi2ELi16ELi8ELi2ELi2EEviiiiiiPKT_S3_S3_PS1_ii
                                        ; -- End function
	.section	.AMDGPU.csdata,"",@progbits
; Kernel info:
; codeLenInByte = 2960
; NumSgprs: 58
; NumVgprs: 64
; NumAgprs: 0
; TotalNumVgprs: 64
; ScratchSize: 0
; MemoryBound: 0
; FloatMode: 240
; IeeeMode: 1
; LDSByteSize: 65536 bytes/workgroup (compile time only)
; SGPRBlocks: 7
; VGPRBlocks: 7
; NumSGPRsForWavesPerEU: 58
; NumVGPRsForWavesPerEU: 64
; AccumOffset: 64
; Occupancy: 4
; WaveLimiterHint : 0
; COMPUTE_PGM_RSRC2:SCRATCH_EN: 0
; COMPUTE_PGM_RSRC2:USER_SGPR: 2
; COMPUTE_PGM_RSRC2:TRAP_HANDLER: 0
; COMPUTE_PGM_RSRC2:TGID_X_EN: 1
; COMPUTE_PGM_RSRC2:TGID_Y_EN: 0
; COMPUTE_PGM_RSRC2:TGID_Z_EN: 0
; COMPUTE_PGM_RSRC2:TIDIG_COMP_CNT: 1
; COMPUTE_PGM_RSRC3_GFX90A:ACCUM_OFFSET: 15
; COMPUTE_PGM_RSRC3_GFX90A:TG_SPLIT: 0
	.section	.text._Z16wvSplitK_hf_sml_I14__hip_bfloat16Li64ELi3ELi16ELi8ELi2ELi2EEviiiiiiPKT_S3_S3_PS1_ii,"axG",@progbits,_Z16wvSplitK_hf_sml_I14__hip_bfloat16Li64ELi3ELi16ELi8ELi2ELi2EEviiiiiiPKT_S3_S3_PS1_ii,comdat
	.protected	_Z16wvSplitK_hf_sml_I14__hip_bfloat16Li64ELi3ELi16ELi8ELi2ELi2EEviiiiiiPKT_S3_S3_PS1_ii ; -- Begin function _Z16wvSplitK_hf_sml_I14__hip_bfloat16Li64ELi3ELi16ELi8ELi2ELi2EEviiiiiiPKT_S3_S3_PS1_ii
	.globl	_Z16wvSplitK_hf_sml_I14__hip_bfloat16Li64ELi3ELi16ELi8ELi2ELi2EEviiiiiiPKT_S3_S3_PS1_ii
	.p2align	8
	.type	_Z16wvSplitK_hf_sml_I14__hip_bfloat16Li64ELi3ELi16ELi8ELi2ELi2EEviiiiiiPKT_S3_S3_PS1_ii,@function
_Z16wvSplitK_hf_sml_I14__hip_bfloat16Li64ELi3ELi16ELi8ELi2ELi2EEviiiiiiPKT_S3_S3_PS1_ii: ; @_Z16wvSplitK_hf_sml_I14__hip_bfloat16Li64ELi3ELi16ELi8ELi2ELi2EEviiiiiiPKT_S3_S3_PS1_ii
; %bb.0:
	s_load_dwordx4 s[4:7], s[0:1], 0x0
	s_load_dwordx2 s[8:9], s[0:1], 0x10
	s_load_dwordx2 s[10:11], s[0:1], 0x28
	v_and_b32_e32 v2, 0x3ff, v0
	v_bfe_u32 v3, v0, 10, 10
	v_lshlrev_b32_e32 v76, 3, v2
	s_waitcnt lgkmcnt(0)
	s_lshl_b32 s6, s6, 1
	v_lshl_add_u32 v4, v3, 9, v76
	s_min_u32 s3, s6, 0x8000
	v_cmp_gt_u32_e32 vcc, s3, v4
	s_and_saveexec_b64 s[12:13], vcc
	s_cbranch_execz .LBB209_3
; %bb.1:
	s_load_dwordx2 s[14:15], s[0:1], 0x20
	v_mov_b32_e32 v7, 0
	v_lshlrev_b32_e32 v6, 10, v3
	v_lshlrev_b32_e32 v8, 4, v2
	v_mov_b32_e32 v9, v7
	v_lshl_add_u64 v[0:1], v[6:7], 0, v[8:9]
	s_waitcnt lgkmcnt(0)
	v_lshl_add_u64 v[0:1], s[14:15], 0, v[0:1]
	v_add_u32_e32 v5, v6, v8
	s_mov_b64 s[14:15], 0
	s_mov_b64 s[16:17], 0x4000
.LBB209_2:                              ; =>This Inner Loop Header: Depth=1
	global_load_dwordx4 v[6:9], v[0:1], off
	v_add_u32_e32 v4, 0x2000, v4
	v_cmp_le_u32_e32 vcc, s3, v4
	v_lshl_add_u64 v[0:1], v[0:1], 0, s[16:17]
	s_or_b64 s[14:15], vcc, s[14:15]
	s_waitcnt vmcnt(0)
	ds_write_b128 v5, v[6:9]
	v_add_u32_e32 v5, 0x4000, v5
	s_andn2_b64 exec, exec, s[14:15]
	s_cbranch_execnz .LBB209_2
.LBB209_3:
	s_or_b64 exec, exec, s[12:13]
	s_load_dwordx2 s[16:17], s[0:1], 0x38
	s_waitcnt lgkmcnt(0)
	s_barrier
	v_cmp_gt_u32_e32 vcc, s16, v3
	s_and_saveexec_b64 s[12:13], vcc
	s_cbranch_execz .LBB209_42
; %bb.4:
	s_mul_i32 s2, s2, s16
	v_add_u32_e32 v0, s2, v3
	v_lshl_add_u32 v64, v0, 1, v0
	v_cmp_gt_u32_e32 vcc, s7, v64
	s_and_b64 exec, exec, vcc
	s_cbranch_execz .LBB209_42
; %bb.5:
	v_cvt_f32_u32_e32 v0, s8
	s_cmp_lg_u32 s4, 0
	s_cselect_b64 s[2:3], -1, 0
	s_add_i32 s24, s4, -8
	v_rcp_iflag_f32_e32 v0, v0
	s_add_i32 s25, s7, -1
	s_cmp_lg_u64 s[10:11], 0
	s_cselect_b64 s[18:19], -1, 0
	v_mul_f32_e32 v0, 0x4f7ffffe, v0
	v_cvt_u32_f32_e32 v0, v0
	s_sub_i32 s20, 0, s8
	s_abs_i32 s9, s9
	s_load_dwordx2 s[12:13], s[0:1], 0x18
	s_load_dwordx2 s[14:15], s[0:1], 0x30
	v_mul_lo_u32 v1, s20, v0
	s_sub_i32 s20, 1, s9
	s_cmp_lt_u32 s9, 2
	s_cselect_b32 s20, s20, 1
	s_sub_i32 s21, s20, s9
	v_mul_hi_u32 v1, v0, v1
	s_cmp_ge_u32 s20, s9
	s_mul_i32 s26, s16, s17
	v_add_u32_e32 v77, v0, v1
	s_cselect_b32 s9, s21, s20
	v_cndmask_b32_e64 v0, 0, 1, s[2:3]
	v_cmp_eq_u32_e64 s[0:1], 63, v2
	s_mov_b64 s[16:17], 0
	s_mul_i32 s26, s26, 3
	v_mov_b32_e32 v67, 0
	s_mul_i32 s9, s9, s8
	v_lshlrev_b32_e32 v78, 4, v2
	v_cmp_ne_u32_e64 s[2:3], 1, v0
	s_mov_b32 s27, 0x7f800000
	s_movk_i32 s28, 0x7fff
	s_branch .LBB209_8
.LBB209_6:                              ;   in Loop: Header=BB209_8 Depth=1
	s_or_b64 exec, exec, s[22:23]
	v_add_u32_e32 v66, 2, v66
	v_lshl_add_u64 v[2:3], v[66:67], 1, s[14:15]
	global_store_short_d16_hi v[2:3], v0, off
.LBB209_7:                              ;   in Loop: Header=BB209_8 Depth=1
	s_or_b64 exec, exec, s[20:21]
	v_add_u32_e32 v64, s26, v64
	v_cmp_le_u32_e32 vcc, s7, v64
	s_or_b64 s[16:17], vcc, s[16:17]
	s_andn2_b64 exec, exec, s[16:17]
	s_cbranch_execz .LBB209_42
.LBB209_8:                              ; =>This Loop Header: Depth=1
                                        ;     Child Loop BB209_12 Depth 2
	s_and_b64 vcc, exec, s[2:3]
	v_add_u32_e32 v68, 2, v64
	v_mov_b32_e32 v7, v67
	v_mov_b32_e32 v6, v67
	v_mov_b32_e32 v5, v67
	v_mov_b32_e32 v4, v67
	v_mov_b32_e32 v3, v67
	v_mov_b32_e32 v2, v67
	v_mov_b32_e32 v1, v67
	v_mov_b32_e32 v0, v67
	v_mov_b32_e32 v11, v67
	v_mov_b32_e32 v10, v67
	v_mov_b32_e32 v9, v67
	v_mov_b32_e32 v8, v67
	v_mov_b32_e32 v15, v67
	v_mov_b32_e32 v14, v67
	v_mov_b32_e32 v13, v67
	v_mov_b32_e32 v12, v67
	v_mov_b32_e32 v19, v67
	v_mov_b32_e32 v18, v67
	v_mov_b32_e32 v17, v67
	v_mov_b32_e32 v16, v67
	v_mov_b32_e32 v23, v67
	v_mov_b32_e32 v22, v67
	v_mov_b32_e32 v21, v67
	v_mov_b32_e32 v20, v67
	s_cbranch_vccnz .LBB209_15
; %bb.9:                                ;   in Loop: Header=BB209_8 Depth=1
	v_min_u32_e32 v0, s25, v64
	v_mul_lo_u32 v66, v0, s5
	v_add_u32_e32 v0, 1, v64
	v_min_u32_e32 v0, s25, v0
	v_min_u32_e32 v2, s25, v68
	v_mul_lo_u32 v0, v0, s5
	v_mov_b32_e32 v1, v67
	v_mul_lo_u32 v2, v2, s5
	v_mov_b32_e32 v3, v67
	v_mov_b32_e32 v20, 0
	s_mov_b32 s29, 0
	v_lshlrev_b64 v[70:71], 1, v[66:67]
	v_lshlrev_b64 v[72:73], 1, v[0:1]
	;; [unrolled: 1-line block ×3, first 2 shown]
	v_mov_b32_e32 v65, v78
	v_mov_b32_e32 v21, v20
	;; [unrolled: 1-line block ×24, first 2 shown]
	s_branch .LBB209_12
.LBB209_10:                             ;   in Loop: Header=BB209_12 Depth=2
	s_or_b64 exec, exec, s[22:23]
.LBB209_11:                             ;   in Loop: Header=BB209_12 Depth=2
	s_or_b64 exec, exec, s[20:21]
	s_waitcnt vmcnt(5) lgkmcnt(1)
	v_mfma_f32_4x4x4_16b_bf16 v[20:23], v[60:61], v[44:45], v[20:23]
	s_addk_i32 s29, 0x400
	s_waitcnt vmcnt(4)
	v_mfma_f32_4x4x4_16b_bf16 v[16:19], v[60:61], v[40:41], v[16:19]
	v_add_u32_e32 v65, 0x800, v65
	s_waitcnt vmcnt(3)
	v_mfma_f32_4x4x4_16b_bf16 v[12:15], v[60:61], v[52:53], v[12:15]
	s_cmp_ge_u32 s29, s4
	s_waitcnt lgkmcnt(0)
	v_mfma_f32_4x4x4_16b_bf16 v[8:11], v[56:57], v[44:45], v[8:11]
	v_mfma_f32_4x4x4_16b_bf16 v[0:3], v[56:57], v[40:41], v[0:3]
	;; [unrolled: 1-line block ×9, first 2 shown]
	s_waitcnt vmcnt(2)
	v_mfma_f32_4x4x4_16b_bf16 v[20:23], v[48:49], v[32:33], v[20:23]
	s_waitcnt vmcnt(1)
	v_mfma_f32_4x4x4_16b_bf16 v[16:19], v[48:49], v[36:37], v[16:19]
	;; [unrolled: 2-line block ×3, first 2 shown]
	v_mfma_f32_4x4x4_16b_bf16 v[8:11], v[28:29], v[32:33], v[8:11]
	v_mfma_f32_4x4x4_16b_bf16 v[0:3], v[28:29], v[36:37], v[0:3]
	;; [unrolled: 1-line block ×9, first 2 shown]
	s_cbranch_scc1 .LBB209_15
.LBB209_12:                             ;   Parent Loop BB209_8 Depth=1
                                        ; =>  This Inner Loop Header: Depth=2
	v_add_u32_e32 v30, s29, v76
	v_min_u32_e32 v66, s24, v30
	s_waitcnt lgkmcnt(0)
	v_lshl_add_u64 v[24:25], v[66:67], 1, s[12:13]
	v_add_u32_e32 v69, 0x200, v30
	v_lshl_add_u64 v[26:27], v[24:25], 0, v[70:71]
	v_min_u32_e32 v66, s24, v69
	v_lshl_add_u64 v[28:29], v[24:25], 0, v[72:73]
	global_load_dwordx4 v[44:47], v[26:27], off nt
	global_load_dwordx4 v[40:43], v[28:29], off nt
	v_lshl_add_u64 v[24:25], v[24:25], 0, v[74:75]
	v_lshl_add_u64 v[26:27], v[66:67], 1, s[12:13]
	;; [unrolled: 1-line block ×3, first 2 shown]
	global_load_dwordx4 v[52:55], v[24:25], off nt
	global_load_dwordx4 v[32:35], v[28:29], off nt
	v_lshl_add_u64 v[24:25], v[26:27], 0, v[72:73]
	v_lshl_add_u64 v[26:27], v[26:27], 0, v[74:75]
	global_load_dwordx4 v[36:39], v[24:25], off nt
	s_nop 0
	global_load_dwordx4 v[24:27], v[26:27], off nt
	v_cmp_gt_u32_e32 vcc, s4, v30
	v_mov_b32_e32 v30, 0
	v_mov_b32_e32 v31, 0
	;; [unrolled: 1-line block ×16, first 2 shown]
	s_and_saveexec_b64 s[20:21], vcc
	s_cbranch_execz .LBB209_11
; %bb.13:                               ;   in Loop: Header=BB209_12 Depth=2
	v_add_u32_e32 v66, s6, v65
	ds_read_b128 v[60:63], v65
	ds_read_b128 v[56:59], v66
	v_cmp_gt_u32_e32 vcc, s4, v69
	v_mov_b32_e32 v49, 0
	v_mov_b32_e32 v48, 0
	;; [unrolled: 1-line block ×8, first 2 shown]
	s_and_saveexec_b64 s[22:23], vcc
	s_cbranch_execz .LBB209_10
; %bb.14:                               ;   in Loop: Header=BB209_12 Depth=2
	ds_read_b128 v[48:51], v65 offset:1024
	ds_read_b128 v[28:31], v66 offset:1024
	s_branch .LBB209_10
.LBB209_15:                             ;   in Loop: Header=BB209_8 Depth=1
	; sched_barrier mask(0x00000000)
	v_cvt_i32_f32_e32 v21, v21
	v_cvt_i32_f32_e32 v22, v22
	;; [unrolled: 1-line block ×4, first 2 shown]
	v_cvt_f32_i32_dpp v21, v21 row_shl:1 row_mask:0xf bank_mask:0xf bound_ctrl:1
	v_cvt_f32_i32_dpp v22, v22 row_shl:2 row_mask:0xf bank_mask:0xf bound_ctrl:1
	v_cvt_i32_f32_e32 v18, v18
	v_cvt_f32_i32_dpp v23, v23 row_shl:3 row_mask:0xf bank_mask:0xf bound_ctrl:1
	v_cvt_i32_f32_e32 v19, v19
	v_add_f32_e32 v20, v20, v21
	v_add_f32_e32 v20, v20, v22
	v_cvt_f32_i32_dpp v17, v17 row_shl:1 row_mask:0xf bank_mask:0xf bound_ctrl:1
	v_add_f32_e32 v20, v20, v23
	v_cvt_f32_i32_dpp v18, v18 row_shl:2 row_mask:0xf bank_mask:0xf bound_ctrl:1
	v_cvt_f32_i32_dpp v19, v19 row_shl:3 row_mask:0xf bank_mask:0xf bound_ctrl:1
	v_cvt_i32_f32_e32 v21, v20
	v_add_f32_e32 v16, v16, v17
	v_add_f32_e32 v16, v16, v18
	;; [unrolled: 1-line block ×3, first 2 shown]
	v_cvt_f32_i32_dpp v18, v21 row_shl:4 row_mask:0xf bank_mask:0xf bound_ctrl:1
	v_cvt_i32_f32_e32 v17, v16
	v_cvt_i32_f32_e32 v1, v1
	v_cvt_i32_f32_e32 v13, v13
	v_add_f32_e32 v18, v20, v18
	v_cvt_f32_i32_dpp v17, v17 row_shl:4 row_mask:0xf bank_mask:0xf bound_ctrl:1
	v_cvt_i32_f32_e32 v19, v18
	v_cvt_i32_f32_e32 v2, v2
	;; [unrolled: 1-line block ×3, first 2 shown]
	v_add_f32_e32 v16, v16, v17
	v_cvt_f32_i32_dpp v19, v19 row_shl:8 row_mask:0xf bank_mask:0xf bound_ctrl:1
	v_cvt_i32_f32_e32 v17, v16
	v_cvt_i32_f32_e32 v15, v15
	v_cvt_f32_i32_dpp v1, v1 row_shl:1 row_mask:0xf bank_mask:0xf bound_ctrl:1
	v_add_f32_e32 v18, v18, v19
	v_cvt_f32_i32_dpp v17, v17 row_shl:8 row_mask:0xf bank_mask:0xf bound_ctrl:1
	v_cvt_i32_f32_e32 v18, v18
	v_cvt_f32_i32_dpp v13, v13 row_shl:1 row_mask:0xf bank_mask:0xf bound_ctrl:1
	v_cvt_i32_f32_e32 v9, v9
	v_add_f32_e32 v16, v16, v17
	v_cvt_f32_i32_dpp v17, v18 row_shr:15 row_mask:0xf bank_mask:0xf bound_ctrl:1
	v_cvt_i32_f32_e32 v16, v16
	v_cvt_f32_i32_dpp v2, v2 row_shl:2 row_mask:0xf bank_mask:0xf bound_ctrl:1
	v_cvt_i32_f32_e32 v3, v3
	v_cvt_f32_i32_dpp v14, v14 row_shl:2 row_mask:0xf bank_mask:0xf bound_ctrl:1
	;; [unrolled: 2-line block ×3, first 2 shown]
	v_cvt_i32_f32_e32 v11, v11
	v_cvt_i32_f32_e32 v18, v17
	v_add_f32_e32 v0, v0, v1
	v_cvt_f32_i32_dpp v16, v16 row_shr:15 row_mask:0xf bank_mask:0xf bound_ctrl:1
	v_add_f32_e32 v12, v12, v13
	v_cvt_f32_i32_dpp v9, v9 row_shl:1 row_mask:0xf bank_mask:0xf bound_ctrl:1
	v_add_f32_e32 v0, v0, v2
	v_cvt_f32_i32_dpp v1, v3 row_shl:3 row_mask:0xf bank_mask:0xf bound_ctrl:1
	v_cvt_i32_f32_e32 v2, v5
	v_add_f32_e32 v12, v12, v14
	v_cvt_f32_i32_dpp v10, v10 row_shl:2 row_mask:0xf bank_mask:0xf bound_ctrl:1
	v_cvt_i32_f32_e32 v3, v6
	;; [unrolled: 3-line block ×3, first 2 shown]
	v_cvt_f32_i32_dpp v18, v18 row_bcast:15 row_mask:0xf bank_mask:0xf bound_ctrl:1
	v_cvt_i32_f32_e32 v12, v14
	v_cvt_i32_f32_e32 v19, v16
	v_add_f32_e32 v8, v8, v9
	v_add_f32_e32 v0, v0, v1
	v_cvt_f32_i32_dpp v1, v2 row_shl:1 row_mask:0xf bank_mask:0xf bound_ctrl:1
	v_add_f32_e32 v8, v8, v10
	v_cvt_f32_i32_dpp v2, v3 row_shl:2 row_mask:0xf bank_mask:0xf bound_ctrl:1
	;; [unrolled: 2-line block ×4, first 2 shown]
	v_cvt_i32_f32_e32 v10, v9
	v_cvt_f32_i32_dpp v15, v19 row_bcast:15 row_mask:0xf bank_mask:0xf bound_ctrl:1
	v_add_f32_e32 v1, v4, v1
	v_add_f32_e32 v1, v1, v2
	;; [unrolled: 1-line block ×4, first 2 shown]
	v_cvt_f32_i32_dpp v10, v10 row_shl:4 row_mask:0xf bank_mask:0xf bound_ctrl:1
	v_cvt_i32_f32_e32 v5, v0
	v_cvt_i32_f32_e32 v2, v1
	v_add_f32_e32 v12, v16, v15
	v_cvt_i32_f32_e32 v16, v14
	v_add_f32_e32 v9, v9, v10
	v_cvt_f32_i32_dpp v4, v5 row_shl:4 row_mask:0xf bank_mask:0xf bound_ctrl:1
	v_cvt_f32_i32_dpp v2, v2 row_shl:4 row_mask:0xf bank_mask:0xf bound_ctrl:1
	;; [unrolled: 1-line block ×3, first 2 shown]
	v_cvt_i32_f32_e32 v10, v9
	v_add_f32_e32 v0, v0, v4
	v_add_f32_e32 v1, v1, v2
	;; [unrolled: 1-line block ×3, first 2 shown]
	v_cvt_f32_i32_dpp v3, v10 row_shl:8 row_mask:0xf bank_mask:0xf bound_ctrl:1
	v_cvt_i32_f32_e32 v4, v0
	v_cvt_i32_f32_e32 v2, v1
	;; [unrolled: 1-line block ×3, first 2 shown]
	v_add_f32_e32 v3, v9, v3
	v_cvt_f32_i32_dpp v4, v4 row_shl:8 row_mask:0xf bank_mask:0xf bound_ctrl:1
	v_cvt_f32_i32_dpp v2, v2 row_shl:8 row_mask:0xf bank_mask:0xf bound_ctrl:1
	v_cvt_f32_i32_dpp v5, v14 row_shr:15 row_mask:0xf bank_mask:0xf bound_ctrl:1
	v_cvt_i32_f32_e32 v3, v3
	v_add_f32_e32 v0, v0, v4
	v_add_f32_e32 v1, v1, v2
	v_cvt_i32_f32_e32 v6, v5
	v_cvt_f32_i32_dpp v3, v3 row_shr:15 row_mask:0xf bank_mask:0xf bound_ctrl:1
	v_cvt_i32_f32_e32 v0, v0
	v_cvt_i32_f32_e32 v1, v1
	v_cvt_f32_i32_dpp v2, v6 row_bcast:15 row_mask:0xf bank_mask:0xf bound_ctrl:1
	v_cvt_i32_f32_e32 v4, v3
	v_cvt_f32_i32_dpp v0, v0 row_shr:15 row_mask:0xf bank_mask:0xf bound_ctrl:1
	v_cvt_f32_i32_dpp v1, v1 row_shr:15 row_mask:0xf bank_mask:0xf bound_ctrl:1
	v_add_f32_e32 v10, v5, v2
	v_cvt_f32_i32_dpp v4, v4 row_bcast:15 row_mask:0xf bank_mask:0xf bound_ctrl:1
	v_cvt_i32_f32_e32 v2, v0
	v_cvt_i32_f32_e32 v5, v1
	;; [unrolled: 1-line block ×3, first 2 shown]
	v_add_f32_e32 v6, v3, v4
	v_cvt_f32_i32_dpp v2, v2 row_bcast:15 row_mask:0xf bank_mask:0xf bound_ctrl:1
	v_cvt_f32_i32_dpp v3, v5 row_bcast:15 row_mask:0xf bank_mask:0xf bound_ctrl:1
	v_cvt_i32_f32_e32 v15, v12
	v_cvt_i32_f32_e32 v7, v10
	v_add_f32_e32 v4, v0, v2
	v_add_f32_e32 v2, v1, v3
	v_cvt_i32_f32_e32 v5, v6
	v_cvt_i32_f32_e32 v0, v4
	;; [unrolled: 1-line block ×3, first 2 shown]
	v_mov_b32_dpp v11, v18 row_bcast:31 row_mask:0xf bank_mask:0xf bound_ctrl:1
	v_mov_b32_dpp v8, v15 row_bcast:31 row_mask:0xf bank_mask:0xf bound_ctrl:1
	;; [unrolled: 1-line block ×6, first 2 shown]
	s_and_saveexec_b64 s[20:21], s[0:1]
	s_cbranch_execz .LBB209_7
; %bb.16:                               ;   in Loop: Header=BB209_8 Depth=1
	s_andn2_b64 vcc, exec, s[18:19]
	v_mov_b32_e32 v0, 0
	v_mov_b32_e32 v18, 0
	;; [unrolled: 1-line block ×6, first 2 shown]
	s_cbranch_vccnz .LBB209_18
; %bb.17:                               ;   in Loop: Header=BB209_8 Depth=1
	v_mul_hi_u32 v0, v64, v77
	v_mul_lo_u32 v0, v0, s8
	v_sub_u32_e32 v0, v64, v0
	v_subrev_u32_e32 v1, s8, v0
	v_cmp_le_u32_e32 vcc, s8, v0
	v_mov_b32_e32 v17, v67
	s_nop 0
	v_cndmask_b32_e32 v0, v0, v1, vcc
	v_subrev_u32_e32 v1, s8, v0
	v_cmp_le_u32_e32 vcc, s8, v0
	s_nop 1
	v_cndmask_b32_e32 v66, v0, v1, vcc
	v_add_u32_e32 v0, 1, v64
	v_mul_hi_u32 v1, v0, v77
	v_mul_lo_u32 v1, v1, s8
	v_sub_u32_e32 v0, v0, v1
	v_subrev_u32_e32 v1, s8, v0
	v_cmp_le_u32_e32 vcc, s8, v0
	v_lshl_add_u64 v[20:21], v[66:67], 1, s[10:11]
	v_add_u32_e32 v66, s9, v66
	v_cndmask_b32_e32 v0, v0, v1, vcc
	v_subrev_u32_e32 v1, s8, v0
	v_cmp_le_u32_e32 vcc, s8, v0
	v_lshl_add_u64 v[26:27], v[66:67], 1, s[10:11]
	s_nop 0
	v_cndmask_b32_e32 v0, v0, v1, vcc
	v_mov_b32_e32 v1, v67
	v_lshl_add_u64 v[22:23], v[0:1], 1, s[10:11]
	v_mul_hi_u32 v1, v68, v77
	v_mul_lo_u32 v1, v1, s8
	v_sub_u32_e32 v1, v68, v1
	v_subrev_u32_e32 v7, s8, v1
	v_cmp_le_u32_e32 vcc, s8, v1
	v_add_u32_e32 v66, s9, v0
	v_lshl_add_u64 v[28:29], v[66:67], 1, s[10:11]
	v_cndmask_b32_e32 v1, v1, v7, vcc
	v_subrev_u32_e32 v7, s8, v1
	v_cmp_le_u32_e32 vcc, s8, v1
	s_nop 1
	v_cndmask_b32_e32 v16, v1, v7, vcc
	v_add_u32_e32 v66, s9, v16
	v_lshl_add_u64 v[24:25], v[16:17], 1, s[10:11]
	v_lshl_add_u64 v[30:31], v[66:67], 1, s[10:11]
	global_load_ushort v0, v[20:21], off
	global_load_ushort v18, v[22:23], off
	;; [unrolled: 1-line block ×6, first 2 shown]
.LBB209_18:                             ;   in Loop: Header=BB209_8 Depth=1
	v_cvt_f32_i32_e32 v1, v11
	s_waitcnt vmcnt(5)
	v_lshlrev_b32_e32 v0, 16, v0
                                        ; implicit-def: $vgpr11
	v_add_f32_e32 v1, v13, v1
	v_add_f32_e32 v0, v1, v0
	v_and_b32_e32 v1, 0x7f800000, v0
	v_cmp_ne_u32_e32 vcc, s27, v1
	s_and_saveexec_b64 s[22:23], vcc
	s_xor_b64 s[22:23], exec, s[22:23]
; %bb.19:                               ;   in Loop: Header=BB209_8 Depth=1
	v_bfe_u32 v1, v0, 16, 1
	v_add3_u32 v11, v0, v1, s28
                                        ; implicit-def: $vgpr0
; %bb.20:                               ;   in Loop: Header=BB209_8 Depth=1
	s_andn2_saveexec_b64 s[22:23], s[22:23]
; %bb.21:                               ;   in Loop: Header=BB209_8 Depth=1
	v_or_b32_e32 v1, 0x10000, v0
	v_cmp_eq_u32_sdwa vcc, v0, v67 src0_sel:WORD_0 src1_sel:DWORD
	s_nop 1
	v_cndmask_b32_e32 v11, v1, v0, vcc
; %bb.22:                               ;   in Loop: Header=BB209_8 Depth=1
	s_or_b64 exec, exec, s[22:23]
	v_cvt_f32_i32_e32 v8, v8
	v_mov_b32_e32 v65, v67
	s_waitcnt lgkmcnt(0)
	v_lshl_add_u64 v[0:1], v[64:65], 1, s[14:15]
	global_store_short_d16_hi v[0:1], v11, off
	v_add_f32_e32 v8, v12, v8
	s_waitcnt vmcnt(5)
	v_lshlrev_b32_e32 v11, 16, v18
	v_add_f32_e32 v8, v8, v11
	v_and_b32_e32 v11, 0x7f800000, v8
	v_cmp_ne_u32_e32 vcc, s27, v11
                                        ; implicit-def: $vgpr11
	s_and_saveexec_b64 s[22:23], vcc
	s_xor_b64 s[22:23], exec, s[22:23]
; %bb.23:                               ;   in Loop: Header=BB209_8 Depth=1
	v_bfe_u32 v11, v8, 16, 1
	v_add3_u32 v11, v8, v11, s28
                                        ; implicit-def: $vgpr8
; %bb.24:                               ;   in Loop: Header=BB209_8 Depth=1
	s_andn2_saveexec_b64 s[22:23], s[22:23]
; %bb.25:                               ;   in Loop: Header=BB209_8 Depth=1
	v_or_b32_e32 v11, 0x10000, v8
	v_cmp_eq_u32_sdwa vcc, v8, v67 src0_sel:WORD_0 src1_sel:DWORD
	s_nop 1
	v_cndmask_b32_e32 v11, v11, v8, vcc
; %bb.26:                               ;   in Loop: Header=BB209_8 Depth=1
	s_or_b64 exec, exec, s[22:23]
	v_cvt_f32_i32_e32 v8, v15
	global_store_short_d16_hi v[0:1], v11, off offset:2
	s_waitcnt vmcnt(5)
	v_lshlrev_b32_e32 v1, 16, v17
	v_add_f32_e32 v0, v10, v8
	v_add_f32_e32 v1, v0, v1
	v_and_b32_e32 v0, 0x7f800000, v1
	v_cmp_ne_u32_e32 vcc, s27, v0
                                        ; implicit-def: $vgpr0
	s_and_saveexec_b64 s[22:23], vcc
	s_xor_b64 s[22:23], exec, s[22:23]
; %bb.27:                               ;   in Loop: Header=BB209_8 Depth=1
	v_bfe_u32 v0, v1, 16, 1
	v_add3_u32 v0, v1, v0, s28
                                        ; implicit-def: $vgpr1
; %bb.28:                               ;   in Loop: Header=BB209_8 Depth=1
	s_andn2_saveexec_b64 s[22:23], s[22:23]
; %bb.29:                               ;   in Loop: Header=BB209_8 Depth=1
	v_or_b32_e32 v0, 0x10000, v1
	v_cmp_eq_u32_sdwa vcc, v1, v67 src0_sel:WORD_0 src1_sel:DWORD
	s_nop 1
	v_cndmask_b32_e32 v0, v0, v1, vcc
; %bb.30:                               ;   in Loop: Header=BB209_8 Depth=1
	s_or_b64 exec, exec, s[22:23]
	v_cvt_f32_i32_e32 v1, v9
	v_mov_b32_e32 v69, v67
	v_lshl_add_u64 v[8:9], v[68:69], 1, s[14:15]
	global_store_short_d16_hi v[8:9], v0, off
	v_add_f32_e32 v0, v6, v1
	s_waitcnt vmcnt(5)
	v_lshlrev_b32_e32 v1, 16, v16
	v_add_f32_e32 v1, v0, v1
	v_and_b32_e32 v0, 0x7f800000, v1
	v_cmp_ne_u32_e32 vcc, s27, v0
                                        ; implicit-def: $vgpr0
	s_and_saveexec_b64 s[22:23], vcc
	s_xor_b64 s[22:23], exec, s[22:23]
; %bb.31:                               ;   in Loop: Header=BB209_8 Depth=1
	v_bfe_u32 v0, v1, 16, 1
	v_add3_u32 v0, v1, v0, s28
                                        ; implicit-def: $vgpr1
; %bb.32:                               ;   in Loop: Header=BB209_8 Depth=1
	s_andn2_saveexec_b64 s[22:23], s[22:23]
; %bb.33:                               ;   in Loop: Header=BB209_8 Depth=1
	v_or_b32_e32 v0, 0x10000, v1
	v_cmp_eq_u32_sdwa vcc, v1, v67 src0_sel:WORD_0 src1_sel:DWORD
	s_nop 1
	v_cndmask_b32_e32 v0, v0, v1, vcc
; %bb.34:                               ;   in Loop: Header=BB209_8 Depth=1
	s_or_b64 exec, exec, s[22:23]
	v_cvt_f32_i32_e32 v1, v5
	v_add_u32_e32 v66, s7, v64
	v_lshl_add_u64 v[8:9], v[66:67], 1, s[14:15]
	global_store_short_d16_hi v[8:9], v0, off
	v_add_f32_e32 v0, v4, v1
	s_waitcnt vmcnt(5)
	v_lshlrev_b32_e32 v1, 16, v14
	v_add_f32_e32 v1, v0, v1
	v_and_b32_e32 v0, 0x7f800000, v1
	v_cmp_ne_u32_e32 vcc, s27, v0
                                        ; implicit-def: $vgpr0
	s_and_saveexec_b64 s[22:23], vcc
	s_xor_b64 s[22:23], exec, s[22:23]
; %bb.35:                               ;   in Loop: Header=BB209_8 Depth=1
	v_bfe_u32 v0, v1, 16, 1
	v_add3_u32 v0, v1, v0, s28
                                        ; implicit-def: $vgpr1
; %bb.36:                               ;   in Loop: Header=BB209_8 Depth=1
	s_andn2_saveexec_b64 s[22:23], s[22:23]
; %bb.37:                               ;   in Loop: Header=BB209_8 Depth=1
	v_or_b32_e32 v0, 0x10000, v1
	v_cmp_eq_u32_sdwa vcc, v1, v67 src0_sel:WORD_0 src1_sel:DWORD
	s_nop 1
	v_cndmask_b32_e32 v0, v0, v1, vcc
; %bb.38:                               ;   in Loop: Header=BB209_8 Depth=1
	s_or_b64 exec, exec, s[22:23]
	v_cvt_f32_i32_e32 v1, v3
	v_add_u32_e32 v4, 1, v66
	v_mov_b32_e32 v5, v67
	v_lshl_add_u64 v[4:5], v[4:5], 1, s[14:15]
	v_add_f32_e32 v1, v2, v1
	global_store_short_d16_hi v[4:5], v0, off
	s_waitcnt vmcnt(5)
	v_lshlrev_b32_e32 v0, 16, v7
	v_add_f32_e32 v1, v1, v0
	v_and_b32_e32 v0, 0x7f800000, v1
	v_cmp_ne_u32_e32 vcc, s27, v0
                                        ; implicit-def: $vgpr0
	s_and_saveexec_b64 s[22:23], vcc
	s_xor_b64 s[22:23], exec, s[22:23]
; %bb.39:                               ;   in Loop: Header=BB209_8 Depth=1
	v_bfe_u32 v0, v1, 16, 1
	v_add3_u32 v0, v1, v0, s28
                                        ; implicit-def: $vgpr1
; %bb.40:                               ;   in Loop: Header=BB209_8 Depth=1
	s_andn2_saveexec_b64 s[22:23], s[22:23]
	s_cbranch_execz .LBB209_6
; %bb.41:                               ;   in Loop: Header=BB209_8 Depth=1
	v_or_b32_e32 v0, 0x10000, v1
	v_cmp_eq_u32_sdwa vcc, v1, v67 src0_sel:WORD_0 src1_sel:DWORD
	s_nop 1
	v_cndmask_b32_e32 v0, v0, v1, vcc
	s_branch .LBB209_6
.LBB209_42:
	s_endpgm
	.section	.rodata,"a",@progbits
	.p2align	6, 0x0
	.amdhsa_kernel _Z16wvSplitK_hf_sml_I14__hip_bfloat16Li64ELi3ELi16ELi8ELi2ELi2EEviiiiiiPKT_S3_S3_PS1_ii
		.amdhsa_group_segment_fixed_size 65536
		.amdhsa_private_segment_fixed_size 0
		.amdhsa_kernarg_size 64
		.amdhsa_user_sgpr_count 2
		.amdhsa_user_sgpr_dispatch_ptr 0
		.amdhsa_user_sgpr_queue_ptr 0
		.amdhsa_user_sgpr_kernarg_segment_ptr 1
		.amdhsa_user_sgpr_dispatch_id 0
		.amdhsa_user_sgpr_kernarg_preload_length 0
		.amdhsa_user_sgpr_kernarg_preload_offset 0
		.amdhsa_user_sgpr_private_segment_size 0
		.amdhsa_uses_dynamic_stack 0
		.amdhsa_enable_private_segment 0
		.amdhsa_system_sgpr_workgroup_id_x 1
		.amdhsa_system_sgpr_workgroup_id_y 0
		.amdhsa_system_sgpr_workgroup_id_z 0
		.amdhsa_system_sgpr_workgroup_info 0
		.amdhsa_system_vgpr_workitem_id 1
		.amdhsa_next_free_vgpr 79
		.amdhsa_next_free_sgpr 30
		.amdhsa_accum_offset 80
		.amdhsa_reserve_vcc 1
		.amdhsa_float_round_mode_32 0
		.amdhsa_float_round_mode_16_64 0
		.amdhsa_float_denorm_mode_32 3
		.amdhsa_float_denorm_mode_16_64 3
		.amdhsa_dx10_clamp 1
		.amdhsa_ieee_mode 1
		.amdhsa_fp16_overflow 0
		.amdhsa_tg_split 0
		.amdhsa_exception_fp_ieee_invalid_op 0
		.amdhsa_exception_fp_denorm_src 0
		.amdhsa_exception_fp_ieee_div_zero 0
		.amdhsa_exception_fp_ieee_overflow 0
		.amdhsa_exception_fp_ieee_underflow 0
		.amdhsa_exception_fp_ieee_inexact 0
		.amdhsa_exception_int_div_zero 0
	.end_amdhsa_kernel
	.section	.text._Z16wvSplitK_hf_sml_I14__hip_bfloat16Li64ELi3ELi16ELi8ELi2ELi2EEviiiiiiPKT_S3_S3_PS1_ii,"axG",@progbits,_Z16wvSplitK_hf_sml_I14__hip_bfloat16Li64ELi3ELi16ELi8ELi2ELi2EEviiiiiiPKT_S3_S3_PS1_ii,comdat
.Lfunc_end209:
	.size	_Z16wvSplitK_hf_sml_I14__hip_bfloat16Li64ELi3ELi16ELi8ELi2ELi2EEviiiiiiPKT_S3_S3_PS1_ii, .Lfunc_end209-_Z16wvSplitK_hf_sml_I14__hip_bfloat16Li64ELi3ELi16ELi8ELi2ELi2EEviiiiiiPKT_S3_S3_PS1_ii
                                        ; -- End function
	.section	.AMDGPU.csdata,"",@progbits
; Kernel info:
; codeLenInByte = 2980
; NumSgprs: 36
; NumVgprs: 79
; NumAgprs: 0
; TotalNumVgprs: 79
; ScratchSize: 0
; MemoryBound: 0
; FloatMode: 240
; IeeeMode: 1
; LDSByteSize: 65536 bytes/workgroup (compile time only)
; SGPRBlocks: 4
; VGPRBlocks: 9
; NumSGPRsForWavesPerEU: 36
; NumVGPRsForWavesPerEU: 79
; AccumOffset: 80
; Occupancy: 4
; WaveLimiterHint : 0
; COMPUTE_PGM_RSRC2:SCRATCH_EN: 0
; COMPUTE_PGM_RSRC2:USER_SGPR: 2
; COMPUTE_PGM_RSRC2:TRAP_HANDLER: 0
; COMPUTE_PGM_RSRC2:TGID_X_EN: 1
; COMPUTE_PGM_RSRC2:TGID_Y_EN: 0
; COMPUTE_PGM_RSRC2:TGID_Z_EN: 0
; COMPUTE_PGM_RSRC2:TIDIG_COMP_CNT: 1
; COMPUTE_PGM_RSRC3_GFX90A:ACCUM_OFFSET: 19
; COMPUTE_PGM_RSRC3_GFX90A:TG_SPLIT: 0
	.section	.text._Z12wvSplitK_hf_I14__hip_bfloat16Li64ELi3ELi16ELi8ELi2ELi2EEviiiiiiPKT_S3_S3_PS1_ii,"axG",@progbits,_Z12wvSplitK_hf_I14__hip_bfloat16Li64ELi3ELi16ELi8ELi2ELi2EEviiiiiiPKT_S3_S3_PS1_ii,comdat
	.protected	_Z12wvSplitK_hf_I14__hip_bfloat16Li64ELi3ELi16ELi8ELi2ELi2EEviiiiiiPKT_S3_S3_PS1_ii ; -- Begin function _Z12wvSplitK_hf_I14__hip_bfloat16Li64ELi3ELi16ELi8ELi2ELi2EEviiiiiiPKT_S3_S3_PS1_ii
	.globl	_Z12wvSplitK_hf_I14__hip_bfloat16Li64ELi3ELi16ELi8ELi2ELi2EEviiiiiiPKT_S3_S3_PS1_ii
	.p2align	8
	.type	_Z12wvSplitK_hf_I14__hip_bfloat16Li64ELi3ELi16ELi8ELi2ELi2EEviiiiiiPKT_S3_S3_PS1_ii,@function
_Z12wvSplitK_hf_I14__hip_bfloat16Li64ELi3ELi16ELi8ELi2ELi2EEviiiiiiPKT_S3_S3_PS1_ii: ; @_Z12wvSplitK_hf_I14__hip_bfloat16Li64ELi3ELi16ELi8ELi2ELi2EEviiiiiiPKT_S3_S3_PS1_ii
; %bb.0:
	s_load_dwordx2 s[8:9], s[0:1], 0x38
	s_load_dwordx4 s[12:15], s[0:1], 0x0
	s_load_dwordx2 s[10:11], s[0:1], 0x10
	v_bfe_u32 v3, v0, 10, 10
	s_mov_b32 s4, 1
	s_waitcnt lgkmcnt(0)
	s_mul_i32 s2, s2, s8
	v_add_u32_e32 v1, s2, v3
	v_lshl_add_u32 v68, v1, 1, v1
	v_add_u32_e32 v1, 3, v68
	s_mov_b32 s6, s4
	v_cmp_gt_u32_e32 vcc, s15, v68
	v_cmp_le_u32_e64 s[2:3], s15, v1
	s_mov_b32 s5, s4
	v_mov_b32_e32 v66, s6
	s_and_b64 s[16:17], vcc, s[2:3]
	v_mov_b32_e32 v65, s5
	v_mov_b32_e32 v64, s4
	s_and_saveexec_b64 s[2:3], s[16:17]
	s_cbranch_execz .LBB210_6
; %bb.1:
	s_add_i32 s7, s15, -3
	v_mov_b32_e32 v66, s6
	v_cmp_ne_u32_e32 vcc, s7, v68
	v_mov_b32_e32 v65, s5
	v_mov_b32_e32 v64, s4
	s_and_saveexec_b64 s[16:17], vcc
	s_cbranch_execz .LBB210_5
; %bb.2:
	v_subrev_u32_e32 v1, s7, v68
	v_cmp_lt_u32_e32 vcc, 1, v1
	s_mov_b64 s[18:19], 0
	s_mov_b64 s[20:21], 0
	v_cndmask_b32_e32 v2, 1, v1, vcc
	s_mov_b32 s5, s4
	s_mov_b32 s6, s4
.LBB210_3:                              ; =>This Inner Loop Header: Depth=1
	s_cmp_lg_u32 s20, 2
	s_cselect_b32 s6, s6, 0
	s_cmp_lg_u32 s20, 1
	s_cselect_b32 s5, s5, 0
	;; [unrolled: 2-line block ×3, first 2 shown]
	s_add_u32 s20, s20, 1
	s_addc_u32 s21, s21, 0
	v_cmp_eq_u32_e32 vcc, s20, v2
	v_mov_b32_e32 v66, s6
	s_or_b64 s[18:19], vcc, s[18:19]
	v_mov_b32_e32 v65, s5
	v_mov_b32_e32 v64, s4
	s_andn2_b64 exec, exec, s[18:19]
	s_cbranch_execnz .LBB210_3
; %bb.4:
	s_or_b64 exec, exec, s[18:19]
	v_mov_b32_e32 v68, s7
.LBB210_5:
	s_or_b64 exec, exec, s[16:17]
.LBB210_6:
	s_or_b64 exec, exec, s[2:3]
	s_load_dwordx4 s[16:19], s[0:1], 0x20
	v_and_b32_e32 v2, 0x3ff, v0
	v_lshlrev_b32_e32 v67, 3, v2
	s_lshl_b32 s2, s14, 1
	v_lshl_add_u32 v4, v3, 9, v67
	s_min_u32 s20, s2, 0x8000
	v_cmp_gt_u32_e32 vcc, s20, v4
	s_and_saveexec_b64 s[2:3], vcc
	s_cbranch_execz .LBB210_9
; %bb.7:
	v_mov_b32_e32 v7, 0
	v_lshlrev_b32_e32 v6, 10, v3
	v_lshlrev_b32_e32 v8, 4, v2
	v_mov_b32_e32 v9, v7
	v_lshl_add_u64 v[0:1], v[6:7], 0, v[8:9]
	s_waitcnt lgkmcnt(0)
	v_lshl_add_u64 v[0:1], s[16:17], 0, v[0:1]
	v_add_u32_e32 v5, v6, v8
	s_mov_b64 s[4:5], 0
	s_mov_b64 s[6:7], 0x4000
.LBB210_8:                              ; =>This Inner Loop Header: Depth=1
	global_load_dwordx4 v[6:9], v[0:1], off
	v_add_u32_e32 v4, 0x2000, v4
	v_cmp_le_u32_e32 vcc, s20, v4
	v_lshl_add_u64 v[0:1], v[0:1], 0, s[6:7]
	s_or_b64 s[4:5], vcc, s[4:5]
	s_waitcnt vmcnt(0)
	ds_write_b128 v5, v[6:9]
	v_add_u32_e32 v5, 0x4000, v5
	s_andn2_b64 exec, exec, s[4:5]
	s_cbranch_execnz .LBB210_8
.LBB210_9:
	s_or_b64 exec, exec, s[2:3]
	v_cmp_gt_u32_e32 vcc, s8, v3
	v_cmp_gt_u32_e64 s[2:3], s15, v68
	s_and_b64 s[2:3], vcc, s[2:3]
	s_waitcnt lgkmcnt(0)
	s_barrier
	s_and_saveexec_b64 s[4:5], s[2:3]
	s_cbranch_execz .LBB210_80
; %bb.10:
	v_cvt_f32_u32_e32 v0, s10
	s_cmp_lg_u32 s12, 0
	s_cselect_b64 s[2:3], -1, 0
	s_add_i32 s33, s12, -8
	v_rcp_iflag_f32_e32 v0, v0
	s_add_i32 s38, s15, -1
	s_cmp_lg_u64 s[18:19], 0
	s_cselect_b64 s[26:27], -1, 0
	v_mul_f32_e32 v0, 0x4f7ffffe, v0
	v_cvt_u32_f32_e32 v0, v0
	s_sub_i32 s4, 0, s10
	s_add_i32 s40, s15, -3
	s_load_dwordx2 s[20:21], s[0:1], 0x18
	s_load_dwordx2 s[22:23], s[0:1], 0x30
	v_mul_lo_u32 v1, s4, v0
	s_abs_i32 s4, s11
	s_sub_i32 s5, 1, s4
	s_cmp_lt_u32 s4, 2
	s_cselect_b32 s5, s5, 1
	s_sub_i32 s6, s5, s4
	v_mul_hi_u32 v1, v0, v1
	s_cmp_ge_u32 s5, s4
	s_mul_i32 s39, s8, s9
	v_add_u32_e32 v86, v0, v1
	s_cselect_b32 s11, s6, s5
	v_cndmask_b32_e64 v0, 0, 1, s[2:3]
	v_cmp_eq_u32_e64 s[0:1], 63, v2
	s_mov_b64 s[24:25], 0
	s_mul_i32 s39, s39, 3
	v_mov_b32_e32 v71, 0
	s_mul_i32 s11, s11, s10
	v_cmp_ne_u32_e64 s[2:3], 1, v0
	s_movk_i32 s41, 0x7fff
	s_mov_b32 s42, 0x7f800000
	s_mov_b32 s28, 0
	s_branch .LBB210_13
.LBB210_11:                             ;   in Loop: Header=BB210_13 Depth=1
	s_or_b64 exec, exec, s[8:9]
	v_mov_b32_e32 v68, s40
.LBB210_12:                             ;   in Loop: Header=BB210_13 Depth=1
	s_or_b64 exec, exec, s[6:7]
	v_cmp_le_u32_e32 vcc, s15, v68
	s_or_b64 s[24:25], vcc, s[24:25]
	s_andn2_b64 exec, exec, s[24:25]
	s_cbranch_execz .LBB210_80
.LBB210_13:                             ; =>This Loop Header: Depth=1
                                        ;     Child Loop BB210_18 Depth 2
                                        ;     Child Loop BB210_78 Depth 2
	s_and_b64 vcc, exec, s[2:3]
	v_add_u32_e32 v74, 1, v68
	v_add_u32_e32 v72, 2, v68
	v_mov_b32_e32 v3, v71
	v_mov_b32_e32 v2, v71
	;; [unrolled: 1-line block ×4, first 2 shown]
	s_waitcnt vmcnt(1)
	v_mov_b32_e32 v7, v71
	v_mov_b32_e32 v6, v71
	;; [unrolled: 1-line block ×3, first 2 shown]
	s_waitcnt vmcnt(0)
	v_mov_b32_e32 v4, v71
	v_mov_b32_e32 v11, v71
	;; [unrolled: 1-line block ×17, first 2 shown]
	s_cbranch_vccnz .LBB210_36
; %bb.14:                               ;   in Loop: Header=BB210_13 Depth=1
	v_min_u32_e32 v0, s38, v68
	v_mul_lo_u32 v70, v0, s13
	v_min_u32_e32 v0, s38, v74
	v_min_u32_e32 v2, s38, v72
	v_mul_lo_u32 v0, v0, s13
	v_mov_b32_e32 v1, v71
	v_mul_lo_u32 v2, v2, s13
	v_mov_b32_e32 v3, v71
	v_mov_b32_e32 v20, 0
	s_mov_b32 s4, 0
	v_lshlrev_b64 v[76:77], 1, v[70:71]
	v_lshlrev_b64 v[78:79], 1, v[0:1]
	;; [unrolled: 1-line block ×3, first 2 shown]
	s_mov_b32 s34, 0
	v_mov_b32_e32 v21, v20
	v_mov_b32_e32 v22, v20
	;; [unrolled: 1-line block ×23, first 2 shown]
	s_branch .LBB210_18
.LBB210_15:                             ;   in Loop: Header=BB210_18 Depth=2
	s_or_b64 exec, exec, s[30:31]
.LBB210_16:                             ;   in Loop: Header=BB210_18 Depth=2
	s_or_b64 exec, exec, s[8:9]
.LBB210_17:                             ;   in Loop: Header=BB210_18 Depth=2
	s_or_b64 exec, exec, s[6:7]
	s_waitcnt vmcnt(0) lgkmcnt(0)
	v_mfma_f32_4x4x4_16b_bf16 v[20:23], v[48:49], v[32:33], v[20:23]
	s_addk_i32 s34, 0x400
	v_mfma_f32_4x4x4_16b_bf16 v[16:19], v[48:49], v[28:29], v[16:19]
	s_cmp_ge_u32 s34, s12
	v_mfma_f32_4x4x4_16b_bf16 v[12:15], v[48:49], v[40:41], v[12:15]
	v_mfma_f32_4x4x4_16b_bf16 v[8:11], v[52:53], v[32:33], v[8:11]
	;; [unrolled: 1-line block ×22, first 2 shown]
	s_cbranch_scc1 .LBB210_36
.LBB210_18:                             ;   Parent Loop BB210_13 Depth=1
                                        ; =>  This Inner Loop Header: Depth=2
	v_add_u32_e32 v84, s34, v67
	v_min_u32_e32 v70, s33, v84
	s_waitcnt lgkmcnt(0)
	v_lshl_add_u64 v[24:25], v[70:71], 1, s[20:21]
	v_add_u32_e32 v82, 0x200, v84
	v_lshl_add_u64 v[26:27], v[24:25], 0, v[76:77]
	v_min_u32_e32 v70, s33, v82
	v_lshl_add_u64 v[36:37], v[24:25], 0, v[78:79]
	global_load_dwordx4 v[32:35], v[26:27], off nt
	global_load_dwordx4 v[28:31], v[36:37], off nt
	v_lshl_add_u64 v[24:25], v[24:25], 0, v[80:81]
	v_lshl_add_u64 v[26:27], v[70:71], 1, s[20:21]
	;; [unrolled: 1-line block ×3, first 2 shown]
	global_load_dwordx4 v[40:43], v[24:25], off nt
	global_load_dwordx4 v[36:39], v[44:45], off nt
	v_lshl_add_u64 v[24:25], v[26:27], 0, v[78:79]
	v_lshl_add_u64 v[26:27], v[26:27], 0, v[80:81]
	global_load_dwordx4 v[44:47], v[24:25], off nt
	s_nop 0
	global_load_dwordx4 v[24:27], v[26:27], off nt
	s_mov_b32 s5, s4
	v_cmp_gt_u32_e32 vcc, s12, v84
	v_mov_b64_e32 v[48:49], s[4:5]
	v_mov_b32_e32 v61, 0
	v_mov_b32_e32 v60, 0
	;; [unrolled: 1-line block ×4, first 2 shown]
	v_mov_b64_e32 v[50:51], s[4:5]
	v_mov_b64_e32 v[56:57], s[4:5]
	;; [unrolled: 1-line block ×5, first 2 shown]
	s_and_saveexec_b64 s[6:7], vcc
	s_cbranch_execz .LBB210_17
; %bb.19:                               ;   in Loop: Header=BB210_18 Depth=2
	v_cmp_lt_u32_e32 vcc, s41, v84
                                        ; implicit-def: $vgpr48_vgpr49
	s_and_saveexec_b64 s[8:9], vcc
	s_xor_b64 s[8:9], exec, s[8:9]
	s_cbranch_execz .LBB210_21
; %bb.20:                               ;   in Loop: Header=BB210_18 Depth=2
	v_mov_b32_e32 v85, v71
	v_lshl_add_u64 v[48:49], v[84:85], 1, s[16:17]
	global_load_dwordx4 v[48:51], v[48:49], off
.LBB210_21:                             ;   in Loop: Header=BB210_18 Depth=2
	s_andn2_saveexec_b64 s[8:9], s[8:9]
	s_cbranch_execz .LBB210_23
; %bb.22:                               ;   in Loop: Header=BB210_18 Depth=2
	s_waitcnt vmcnt(0)
	v_lshlrev_b32_e32 v48, 1, v84
	ds_read_b128 v[48:51], v48
.LBB210_23:                             ;   in Loop: Header=BB210_18 Depth=2
	s_or_b64 exec, exec, s[8:9]
	v_add_u32_e32 v70, s14, v84
	v_cmp_lt_u32_e32 vcc, s41, v70
                                        ; implicit-def: $vgpr52_vgpr53
	s_and_saveexec_b64 s[8:9], vcc
	s_xor_b64 s[8:9], exec, s[8:9]
	s_cbranch_execz .LBB210_25
; %bb.24:                               ;   in Loop: Header=BB210_18 Depth=2
	v_lshl_add_u64 v[52:53], v[70:71], 1, s[16:17]
	global_load_dwordx4 v[52:55], v[52:53], off
.LBB210_25:                             ;   in Loop: Header=BB210_18 Depth=2
	s_andn2_saveexec_b64 s[8:9], s[8:9]
	s_cbranch_execz .LBB210_27
; %bb.26:                               ;   in Loop: Header=BB210_18 Depth=2
	s_waitcnt vmcnt(0)
	v_lshlrev_b32_e32 v52, 1, v70
	ds_read_b128 v[52:55], v52
.LBB210_27:                             ;   in Loop: Header=BB210_18 Depth=2
	s_or_b64 exec, exec, s[8:9]
	s_mov_b32 s29, s28
	v_cmp_gt_u32_e32 vcc, s12, v82
	v_mov_b32_e32 v61, 0
	v_mov_b64_e32 v[56:57], s[28:29]
	v_mov_b32_e32 v60, 0
	v_mov_b32_e32 v63, 0
	;; [unrolled: 1-line block ×3, first 2 shown]
	v_mov_b64_e32 v[58:59], s[28:29]
	s_and_saveexec_b64 s[8:9], vcc
	s_cbranch_execz .LBB210_16
; %bb.28:                               ;   in Loop: Header=BB210_18 Depth=2
	v_cmp_lt_u32_e32 vcc, s41, v82
                                        ; implicit-def: $vgpr56_vgpr57
	s_and_saveexec_b64 s[30:31], vcc
	s_xor_b64 s[30:31], exec, s[30:31]
	s_cbranch_execz .LBB210_30
; %bb.29:                               ;   in Loop: Header=BB210_18 Depth=2
	v_mov_b32_e32 v83, v71
	v_lshl_add_u64 v[56:57], v[82:83], 1, s[16:17]
	global_load_dwordx4 v[56:59], v[56:57], off
                                        ; implicit-def: $vgpr84
.LBB210_30:                             ;   in Loop: Header=BB210_18 Depth=2
	s_andn2_saveexec_b64 s[30:31], s[30:31]
	s_cbranch_execz .LBB210_32
; %bb.31:                               ;   in Loop: Header=BB210_18 Depth=2
	s_waitcnt vmcnt(0)
	v_lshlrev_b32_e32 v56, 1, v84
	ds_read_b128 v[56:59], v56 offset:1024
.LBB210_32:                             ;   in Loop: Header=BB210_18 Depth=2
	s_or_b64 exec, exec, s[30:31]
	v_add_u32_e32 v60, s14, v82
	v_cmp_lt_u32_e32 vcc, s41, v60
                                        ; implicit-def: $vgpr61
	s_and_saveexec_b64 s[30:31], vcc
	s_xor_b64 s[30:31], exec, s[30:31]
	s_cbranch_execz .LBB210_34
; %bb.33:                               ;   in Loop: Header=BB210_18 Depth=2
	v_mov_b32_e32 v61, v71
	v_lshl_add_u64 v[60:61], v[60:61], 1, s[16:17]
	global_load_dwordx4 v[60:63], v[60:61], off
.LBB210_34:                             ;   in Loop: Header=BB210_18 Depth=2
	s_andn2_saveexec_b64 s[30:31], s[30:31]
	s_cbranch_execz .LBB210_15
; %bb.35:                               ;   in Loop: Header=BB210_18 Depth=2
	s_waitcnt vmcnt(0)
	v_lshlrev_b32_e32 v60, 1, v70
	ds_read_b128 v[60:63], v60 offset:1024
	s_branch .LBB210_15
.LBB210_36:                             ;   in Loop: Header=BB210_13 Depth=1
	v_cvt_i32_f32_e32 v21, v21
	v_cvt_i32_f32_e32 v22, v22
	;; [unrolled: 1-line block ×4, first 2 shown]
	v_cvt_f32_i32_dpp v21, v21 row_shl:1 row_mask:0xf bank_mask:0xf bound_ctrl:1
	v_cvt_f32_i32_dpp v22, v22 row_shl:2 row_mask:0xf bank_mask:0xf bound_ctrl:1
	v_cvt_i32_f32_e32 v18, v18
	v_cvt_f32_i32_dpp v23, v23 row_shl:3 row_mask:0xf bank_mask:0xf bound_ctrl:1
	v_cvt_i32_f32_e32 v19, v19
	v_add_f32_e32 v20, v20, v21
	v_add_f32_e32 v20, v20, v22
	v_cvt_f32_i32_dpp v17, v17 row_shl:1 row_mask:0xf bank_mask:0xf bound_ctrl:1
	v_add_f32_e32 v20, v20, v23
	v_cvt_f32_i32_dpp v18, v18 row_shl:2 row_mask:0xf bank_mask:0xf bound_ctrl:1
	v_cvt_f32_i32_dpp v19, v19 row_shl:3 row_mask:0xf bank_mask:0xf bound_ctrl:1
	v_cvt_i32_f32_e32 v21, v20
	v_add_f32_e32 v16, v16, v17
	v_add_f32_e32 v16, v16, v18
	;; [unrolled: 1-line block ×3, first 2 shown]
	v_cvt_f32_i32_dpp v18, v21 row_shl:4 row_mask:0xf bank_mask:0xf bound_ctrl:1
	v_cvt_i32_f32_e32 v17, v16
	v_cvt_i32_f32_e32 v13, v13
	;; [unrolled: 1-line block ×3, first 2 shown]
	v_add_f32_e32 v18, v20, v18
	v_cvt_f32_i32_dpp v17, v17 row_shl:4 row_mask:0xf bank_mask:0xf bound_ctrl:1
	v_cvt_i32_f32_e32 v19, v18
	v_cvt_i32_f32_e32 v15, v15
	v_cvt_f32_i32_dpp v13, v13 row_shl:1 row_mask:0xf bank_mask:0xf bound_ctrl:1
	v_add_f32_e32 v16, v16, v17
	v_cvt_f32_i32_dpp v19, v19 row_shl:8 row_mask:0xf bank_mask:0xf bound_ctrl:1
	v_cvt_i32_f32_e32 v17, v16
	v_cvt_i32_f32_e32 v9, v9
	v_cvt_f32_i32_dpp v14, v14 row_shl:2 row_mask:0xf bank_mask:0xf bound_ctrl:1
	;; [unrolled: 5-line block ×3, first 2 shown]
	v_add_f32_e32 v16, v16, v17
	v_cvt_f32_i32_dpp v17, v18 row_shr:15 row_mask:0xf bank_mask:0xf bound_ctrl:1
	v_cvt_i32_f32_e32 v16, v16
	v_cvt_i32_f32_e32 v11, v11
	;; [unrolled: 1-line block ×4, first 2 shown]
	v_cvt_f32_i32_dpp v16, v16 row_shr:15 row_mask:0xf bank_mask:0xf bound_ctrl:1
	v_add_f32_e32 v12, v12, v13
	v_cvt_f32_i32_dpp v9, v9 row_shl:1 row_mask:0xf bank_mask:0xf bound_ctrl:1
	v_cvt_i32_f32_e32 v1, v1
	v_add_f32_e32 v12, v12, v14
	v_cvt_f32_i32_dpp v10, v10 row_shl:2 row_mask:0xf bank_mask:0xf bound_ctrl:1
	v_cvt_i32_f32_e32 v6, v6
	v_cvt_i32_f32_e32 v2, v2
	v_add_f32_e32 v14, v12, v15
	v_cvt_f32_i32_dpp v11, v11 row_shl:3 row_mask:0xf bank_mask:0xf bound_ctrl:1
	v_cvt_f32_i32_dpp v5, v5 row_shl:1 row_mask:0xf bank_mask:0xf bound_ctrl:1
	v_cvt_i32_f32_e32 v7, v7
	v_cvt_i32_f32_e32 v3, v3
	v_cvt_f32_i32_dpp v18, v18 row_bcast:15 row_mask:0xf bank_mask:0xf bound_ctrl:1
	v_cvt_i32_f32_e32 v12, v14
	v_cvt_i32_f32_e32 v19, v16
	v_add_f32_e32 v8, v8, v9
	v_cvt_f32_i32_dpp v1, v1 row_shl:1 row_mask:0xf bank_mask:0xf bound_ctrl:1
	v_add_f32_e32 v8, v8, v10
	v_cvt_f32_i32_dpp v6, v6 row_shl:2 row_mask:0xf bank_mask:0xf bound_ctrl:1
	v_cvt_f32_i32_dpp v2, v2 row_shl:2 row_mask:0xf bank_mask:0xf bound_ctrl:1
	v_add_f32_e32 v9, v8, v11
	v_add_f32_e32 v4, v4, v5
	v_cvt_f32_i32_dpp v5, v7 row_shl:3 row_mask:0xf bank_mask:0xf bound_ctrl:1
	v_cvt_f32_i32_dpp v3, v3 row_shl:3 row_mask:0xf bank_mask:0xf bound_ctrl:1
	v_add_f32_e32 v13, v17, v18
	v_cvt_f32_i32_dpp v17, v12 row_shl:4 row_mask:0xf bank_mask:0xf bound_ctrl:1
	v_cvt_i32_f32_e32 v10, v9
	v_cvt_f32_i32_dpp v15, v19 row_bcast:15 row_mask:0xf bank_mask:0xf bound_ctrl:1
	v_add_f32_e32 v0, v0, v1
	v_add_f32_e32 v4, v4, v6
	;; [unrolled: 1-line block ×6, first 2 shown]
	v_cvt_f32_i32_dpp v10, v10 row_shl:4 row_mask:0xf bank_mask:0xf bound_ctrl:1
	v_cvt_i32_f32_e32 v5, v4
	v_cvt_i32_f32_e32 v1, v0
	v_add_f32_e32 v12, v16, v15
	v_cvt_i32_f32_e32 v16, v14
	v_add_f32_e32 v9, v9, v10
	v_cvt_f32_i32_dpp v3, v5 row_shl:4 row_mask:0xf bank_mask:0xf bound_ctrl:1
	v_cvt_f32_i32_dpp v1, v1 row_shl:4 row_mask:0xf bank_mask:0xf bound_ctrl:1
	;; [unrolled: 1-line block ×3, first 2 shown]
	v_cvt_i32_f32_e32 v10, v9
	v_add_f32_e32 v3, v4, v3
	v_add_f32_e32 v0, v0, v1
	;; [unrolled: 1-line block ×3, first 2 shown]
	v_cvt_f32_i32_dpp v2, v10 row_shl:8 row_mask:0xf bank_mask:0xf bound_ctrl:1
	v_cvt_i32_f32_e32 v4, v3
	v_cvt_i32_f32_e32 v1, v0
	;; [unrolled: 1-line block ×3, first 2 shown]
	v_add_f32_e32 v2, v9, v2
	v_cvt_f32_i32_dpp v4, v4 row_shl:8 row_mask:0xf bank_mask:0xf bound_ctrl:1
	v_cvt_f32_i32_dpp v1, v1 row_shl:8 row_mask:0xf bank_mask:0xf bound_ctrl:1
	v_cvt_f32_i32_dpp v5, v14 row_shr:15 row_mask:0xf bank_mask:0xf bound_ctrl:1
	v_cvt_i32_f32_e32 v2, v2
	v_add_f32_e32 v3, v3, v4
	v_add_f32_e32 v0, v0, v1
	v_cvt_i32_f32_e32 v6, v5
	v_cvt_f32_i32_dpp v2, v2 row_shr:15 row_mask:0xf bank_mask:0xf bound_ctrl:1
	v_cvt_i32_f32_e32 v3, v3
	v_cvt_i32_f32_e32 v0, v0
	v_cvt_f32_i32_dpp v1, v6 row_bcast:15 row_mask:0xf bank_mask:0xf bound_ctrl:1
	v_cvt_i32_f32_e32 v4, v2
	v_cvt_f32_i32_dpp v3, v3 row_shr:15 row_mask:0xf bank_mask:0xf bound_ctrl:1
	v_cvt_f32_i32_dpp v0, v0 row_shr:15 row_mask:0xf bank_mask:0xf bound_ctrl:1
	v_add_f32_e32 v9, v5, v1
	v_cvt_f32_i32_dpp v4, v4 row_bcast:15 row_mask:0xf bank_mask:0xf bound_ctrl:1
	v_cvt_i32_f32_e32 v1, v3
	v_cvt_i32_f32_e32 v6, v0
	;; [unrolled: 1-line block ×3, first 2 shown]
	v_add_f32_e32 v5, v2, v4
	v_cvt_f32_i32_dpp v1, v1 row_bcast:15 row_mask:0xf bank_mask:0xf bound_ctrl:1
	v_cvt_f32_i32_dpp v4, v6 row_bcast:15 row_mask:0xf bank_mask:0xf bound_ctrl:1
	v_cvt_i32_f32_e32 v15, v12
	v_cvt_i32_f32_e32 v7, v9
	v_add_f32_e32 v2, v3, v1
	v_add_f32_e32 v0, v0, v4
	v_cvt_i32_f32_e32 v6, v5
	v_cvt_i32_f32_e32 v1, v2
	;; [unrolled: 1-line block ×3, first 2 shown]
	v_mov_b32_dpp v11, v18 row_bcast:31 row_mask:0xf bank_mask:0xf bound_ctrl:1
	v_mov_b32_dpp v8, v15 row_bcast:31 row_mask:0xf bank_mask:0xf bound_ctrl:1
	;; [unrolled: 1-line block ×6, first 2 shown]
	s_and_saveexec_b64 s[30:31], s[0:1]
	s_cbranch_execz .LBB210_75
; %bb.37:                               ;   in Loop: Header=BB210_13 Depth=1
	s_andn2_b64 vcc, exec, s[26:27]
	v_mov_b32_e32 v17, 0
	v_mov_b32_e32 v16, 0
	v_mov_b32_e32 v15, 0
	v_mov_b32_e32 v14, 0
	v_mov_b32_e32 v7, 0
	v_mov_b32_e32 v4, 0
	s_cbranch_vccnz .LBB210_39
; %bb.38:                               ;   in Loop: Header=BB210_13 Depth=1
	v_mul_hi_u32 v4, v68, v86
	v_mul_lo_u32 v4, v4, s10
	v_sub_u32_e32 v4, v68, v4
	v_subrev_u32_e32 v7, s10, v4
	v_cmp_le_u32_e32 vcc, s10, v4
	v_mov_b32_e32 v15, v71
	v_mov_b32_e32 v17, v71
	v_cndmask_b32_e32 v4, v4, v7, vcc
	v_subrev_u32_e32 v7, s10, v4
	v_cmp_le_u32_e32 vcc, s10, v4
	s_nop 1
	v_cndmask_b32_e32 v70, v4, v7, vcc
	v_mul_hi_u32 v4, v74, v86
	v_mul_lo_u32 v4, v4, s10
	v_sub_u32_e32 v4, v74, v4
	v_subrev_u32_e32 v7, s10, v4
	v_cmp_le_u32_e32 vcc, s10, v4
	v_lshl_add_u64 v[18:19], v[70:71], 1, s[18:19]
	v_add_u32_e32 v70, s11, v70
	v_cndmask_b32_e32 v4, v4, v7, vcc
	v_subrev_u32_e32 v7, s10, v4
	v_cmp_le_u32_e32 vcc, s10, v4
	v_lshl_add_u64 v[24:25], v[70:71], 1, s[18:19]
	s_nop 0
	v_cndmask_b32_e32 v14, v4, v7, vcc
	v_mul_hi_u32 v4, v72, v86
	v_mul_lo_u32 v4, v4, s10
	v_sub_u32_e32 v4, v72, v4
	v_subrev_u32_e32 v7, s10, v4
	v_cmp_le_u32_e32 vcc, s10, v4
	v_add_u32_e32 v70, s11, v14
	v_lshl_add_u64 v[26:27], v[70:71], 1, s[18:19]
	v_cndmask_b32_e32 v4, v4, v7, vcc
	v_subrev_u32_e32 v7, s10, v4
	v_cmp_le_u32_e32 vcc, s10, v4
	v_lshl_add_u64 v[20:21], v[14:15], 1, s[18:19]
	s_nop 0
	v_cndmask_b32_e32 v16, v4, v7, vcc
	v_add_u32_e32 v70, s11, v16
	v_lshl_add_u64 v[22:23], v[16:17], 1, s[18:19]
	v_lshl_add_u64 v[28:29], v[70:71], 1, s[18:19]
	global_load_ushort v17, v[18:19], off
	global_load_ushort v16, v[20:21], off
	;; [unrolled: 1-line block ×6, first 2 shown]
.LBB210_39:                             ;   in Loop: Header=BB210_13 Depth=1
	v_cmp_ne_u32_e32 vcc, 0, v64
	s_and_saveexec_b64 s[6:7], vcc
	s_cbranch_execnz .LBB210_45
; %bb.40:                               ;   in Loop: Header=BB210_13 Depth=1
	s_or_b64 exec, exec, s[6:7]
	v_cmp_ne_u32_e64 s[4:5], 0, v65
	s_and_saveexec_b64 s[8:9], s[4:5]
	s_cbranch_execnz .LBB210_50
.LBB210_41:                             ;   in Loop: Header=BB210_13 Depth=1
	s_or_b64 exec, exec, s[8:9]
	v_cmp_ne_u32_e64 s[6:7], 0, v66
	s_and_saveexec_b64 s[34:35], s[6:7]
	s_cbranch_execnz .LBB210_55
.LBB210_42:                             ;   in Loop: Header=BB210_13 Depth=1
	s_or_b64 exec, exec, s[34:35]
	v_add_u32_e32 v70, s15, v68
	s_and_saveexec_b64 s[8:9], vcc
	s_cbranch_execnz .LBB210_60
.LBB210_43:                             ;   in Loop: Header=BB210_13 Depth=1
	s_or_b64 exec, exec, s[8:9]
	s_and_saveexec_b64 s[8:9], s[4:5]
	s_cbranch_execnz .LBB210_65
.LBB210_44:                             ;   in Loop: Header=BB210_13 Depth=1
	s_or_b64 exec, exec, s[8:9]
	s_and_b64 exec, exec, s[6:7]
	s_cbranch_execnz .LBB210_70
	s_branch .LBB210_75
.LBB210_45:                             ;   in Loop: Header=BB210_13 Depth=1
	v_cvt_f32_i32_e32 v11, v11
	v_add_f32_e32 v11, v13, v11
	s_waitcnt vmcnt(5)
	v_lshlrev_b32_e32 v13, 16, v17
	v_add_f32_e32 v13, v11, v13
	v_and_b32_e32 v11, 0x7f800000, v13
	v_cmp_ne_u32_e64 s[4:5], s42, v11
                                        ; implicit-def: $vgpr11
	s_and_saveexec_b64 s[8:9], s[4:5]
	s_xor_b64 s[4:5], exec, s[8:9]
; %bb.46:                               ;   in Loop: Header=BB210_13 Depth=1
	v_bfe_u32 v11, v13, 16, 1
	v_add3_u32 v11, v13, v11, s41
                                        ; implicit-def: $vgpr13
; %bb.47:                               ;   in Loop: Header=BB210_13 Depth=1
	s_andn2_saveexec_b64 s[8:9], s[4:5]
; %bb.48:                               ;   in Loop: Header=BB210_13 Depth=1
	v_or_b32_e32 v11, 0x10000, v13
	v_cmp_eq_u32_sdwa s[4:5], v13, v71 src0_sel:WORD_0 src1_sel:DWORD
	s_nop 1
	v_cndmask_b32_e64 v11, v11, v13, s[4:5]
; %bb.49:                               ;   in Loop: Header=BB210_13 Depth=1
	s_or_b64 exec, exec, s[8:9]
	v_mov_b32_e32 v69, v71
	s_waitcnt lgkmcnt(0)
	v_lshl_add_u64 v[18:19], v[68:69], 1, s[22:23]
	global_store_short_d16_hi v[18:19], v11, off
	s_or_b64 exec, exec, s[6:7]
	v_cmp_ne_u32_e64 s[4:5], 0, v65
	s_and_saveexec_b64 s[8:9], s[4:5]
	s_cbranch_execz .LBB210_41
.LBB210_50:                             ;   in Loop: Header=BB210_13 Depth=1
	v_cvt_f32_i32_e32 v8, v8
	s_waitcnt vmcnt(4)
	v_lshlrev_b32_e32 v11, 16, v16
	v_add_f32_e32 v8, v12, v8
	v_add_f32_e32 v11, v8, v11
	v_and_b32_e32 v8, 0x7f800000, v11
	v_cmp_ne_u32_e64 s[6:7], s42, v8
                                        ; implicit-def: $vgpr8
	s_and_saveexec_b64 s[34:35], s[6:7]
	s_xor_b64 s[6:7], exec, s[34:35]
; %bb.51:                               ;   in Loop: Header=BB210_13 Depth=1
	v_bfe_u32 v8, v11, 16, 1
	v_add3_u32 v8, v11, v8, s41
                                        ; implicit-def: $vgpr11
; %bb.52:                               ;   in Loop: Header=BB210_13 Depth=1
	s_andn2_saveexec_b64 s[34:35], s[6:7]
; %bb.53:                               ;   in Loop: Header=BB210_13 Depth=1
	v_or_b32_e32 v8, 0x10000, v11
	v_cmp_eq_u32_sdwa s[6:7], v11, v71 src0_sel:WORD_0 src1_sel:DWORD
	s_nop 1
	v_cndmask_b32_e64 v8, v8, v11, s[6:7]
; %bb.54:                               ;   in Loop: Header=BB210_13 Depth=1
	s_or_b64 exec, exec, s[34:35]
	v_mov_b32_e32 v75, v71
	s_waitcnt lgkmcnt(0)
	v_lshl_add_u64 v[12:13], v[74:75], 1, s[22:23]
	global_store_short_d16_hi v[12:13], v8, off
	s_or_b64 exec, exec, s[8:9]
	v_cmp_ne_u32_e64 s[6:7], 0, v66
	s_and_saveexec_b64 s[34:35], s[6:7]
	s_cbranch_execz .LBB210_42
.LBB210_55:                             ;   in Loop: Header=BB210_13 Depth=1
	v_cvt_f32_i32_e32 v8, v10
	v_add_f32_e32 v8, v9, v8
	s_waitcnt vmcnt(3)
	v_lshlrev_b32_e32 v9, 16, v15
	v_add_f32_e32 v9, v8, v9
	v_and_b32_e32 v8, 0x7f800000, v9
	v_cmp_ne_u32_e64 s[8:9], s42, v8
                                        ; implicit-def: $vgpr8
	s_and_saveexec_b64 s[36:37], s[8:9]
	s_xor_b64 s[8:9], exec, s[36:37]
; %bb.56:                               ;   in Loop: Header=BB210_13 Depth=1
	v_bfe_u32 v8, v9, 16, 1
	v_add3_u32 v8, v9, v8, s41
                                        ; implicit-def: $vgpr9
; %bb.57:                               ;   in Loop: Header=BB210_13 Depth=1
	s_andn2_saveexec_b64 s[36:37], s[8:9]
; %bb.58:                               ;   in Loop: Header=BB210_13 Depth=1
	v_or_b32_e32 v8, 0x10000, v9
	v_cmp_eq_u32_sdwa s[8:9], v9, v71 src0_sel:WORD_0 src1_sel:DWORD
	s_nop 1
	v_cndmask_b32_e64 v8, v8, v9, s[8:9]
; %bb.59:                               ;   in Loop: Header=BB210_13 Depth=1
	s_or_b64 exec, exec, s[36:37]
	v_mov_b32_e32 v73, v71
	s_waitcnt lgkmcnt(0)
	v_lshl_add_u64 v[10:11], v[72:73], 1, s[22:23]
	global_store_short_d16_hi v[10:11], v8, off
	s_or_b64 exec, exec, s[34:35]
	v_add_u32_e32 v70, s15, v68
	s_and_saveexec_b64 s[8:9], vcc
	s_cbranch_execz .LBB210_43
.LBB210_60:                             ;   in Loop: Header=BB210_13 Depth=1
	v_cvt_f32_i32_e32 v6, v6
	v_add_f32_e32 v5, v5, v6
	s_waitcnt vmcnt(2)
	v_lshlrev_b32_e32 v6, 16, v14
	v_add_f32_e32 v6, v5, v6
	v_and_b32_e32 v5, 0x7f800000, v6
	v_cmp_ne_u32_e32 vcc, s42, v5
                                        ; implicit-def: $vgpr5
	s_and_saveexec_b64 s[34:35], vcc
	s_xor_b64 s[34:35], exec, s[34:35]
; %bb.61:                               ;   in Loop: Header=BB210_13 Depth=1
	v_bfe_u32 v5, v6, 16, 1
	v_add3_u32 v5, v6, v5, s41
                                        ; implicit-def: $vgpr6
; %bb.62:                               ;   in Loop: Header=BB210_13 Depth=1
	s_andn2_saveexec_b64 s[34:35], s[34:35]
; %bb.63:                               ;   in Loop: Header=BB210_13 Depth=1
	v_or_b32_e32 v5, 0x10000, v6
	v_cmp_eq_u32_sdwa vcc, v6, v71 src0_sel:WORD_0 src1_sel:DWORD
	s_nop 1
	v_cndmask_b32_e32 v5, v5, v6, vcc
; %bb.64:                               ;   in Loop: Header=BB210_13 Depth=1
	s_or_b64 exec, exec, s[34:35]
	s_waitcnt lgkmcnt(0)
	v_lshl_add_u64 v[8:9], v[70:71], 1, s[22:23]
	global_store_short_d16_hi v[8:9], v5, off
	s_or_b64 exec, exec, s[8:9]
	s_and_saveexec_b64 s[8:9], s[4:5]
	s_cbranch_execz .LBB210_44
.LBB210_65:                             ;   in Loop: Header=BB210_13 Depth=1
	v_cvt_f32_i32_e32 v3, v3
	v_add_f32_e32 v2, v2, v3
	s_waitcnt vmcnt(1)
	v_lshlrev_b32_e32 v3, 16, v7
	v_add_f32_e32 v3, v2, v3
	v_and_b32_e32 v2, 0x7f800000, v3
	v_cmp_ne_u32_e32 vcc, s42, v2
                                        ; implicit-def: $vgpr2
	s_and_saveexec_b64 s[4:5], vcc
	s_xor_b64 s[4:5], exec, s[4:5]
; %bb.66:                               ;   in Loop: Header=BB210_13 Depth=1
	v_bfe_u32 v2, v3, 16, 1
	v_add3_u32 v2, v3, v2, s41
                                        ; implicit-def: $vgpr3
; %bb.67:                               ;   in Loop: Header=BB210_13 Depth=1
	s_andn2_saveexec_b64 s[4:5], s[4:5]
; %bb.68:                               ;   in Loop: Header=BB210_13 Depth=1
	v_or_b32_e32 v2, 0x10000, v3
	v_cmp_eq_u32_sdwa vcc, v3, v71 src0_sel:WORD_0 src1_sel:DWORD
	s_nop 1
	v_cndmask_b32_e32 v2, v2, v3, vcc
; %bb.69:                               ;   in Loop: Header=BB210_13 Depth=1
	s_or_b64 exec, exec, s[4:5]
	v_add_u32_e32 v6, 1, v70
	v_mov_b32_e32 v7, v71
	s_waitcnt lgkmcnt(0)
	v_lshl_add_u64 v[6:7], v[6:7], 1, s[22:23]
	global_store_short_d16_hi v[6:7], v2, off
	s_or_b64 exec, exec, s[8:9]
	s_and_b64 exec, exec, s[6:7]
	s_cbranch_execz .LBB210_75
.LBB210_70:                             ;   in Loop: Header=BB210_13 Depth=1
	v_cvt_f32_i32_e32 v1, v1
	v_add_f32_e32 v0, v0, v1
	s_waitcnt vmcnt(0)
	v_lshlrev_b32_e32 v1, 16, v4
	v_add_f32_e32 v1, v0, v1
	v_and_b32_e32 v0, 0x7f800000, v1
	v_cmp_ne_u32_e32 vcc, s42, v0
                                        ; implicit-def: $vgpr0
	s_and_saveexec_b64 s[4:5], vcc
	s_xor_b64 s[4:5], exec, s[4:5]
; %bb.71:                               ;   in Loop: Header=BB210_13 Depth=1
	v_bfe_u32 v0, v1, 16, 1
	v_add3_u32 v0, v1, v0, s41
                                        ; implicit-def: $vgpr1
; %bb.72:                               ;   in Loop: Header=BB210_13 Depth=1
	s_andn2_saveexec_b64 s[4:5], s[4:5]
; %bb.73:                               ;   in Loop: Header=BB210_13 Depth=1
	v_or_b32_e32 v0, 0x10000, v1
	v_cmp_eq_u32_sdwa vcc, v1, v71 src0_sel:WORD_0 src1_sel:DWORD
	s_nop 1
	v_cndmask_b32_e32 v0, v0, v1, vcc
; %bb.74:                               ;   in Loop: Header=BB210_13 Depth=1
	s_or_b64 exec, exec, s[4:5]
	v_add_u32_e32 v70, 2, v70
	s_waitcnt lgkmcnt(0)
	v_lshl_add_u64 v[2:3], v[70:71], 1, s[22:23]
	global_store_short_d16_hi v[2:3], v0, off
.LBB210_75:                             ;   in Loop: Header=BB210_13 Depth=1
	s_or_b64 exec, exec, s[30:31]
	v_add_u32_e32 v68, s39, v68
	v_add_u32_e32 v0, 3, v68
	v_cmp_gt_u32_e32 vcc, s15, v68
	v_cmp_le_u32_e64 s[4:5], s15, v0
	s_and_b64 s[4:5], vcc, s[4:5]
	s_and_saveexec_b64 s[6:7], s[4:5]
	s_cbranch_execz .LBB210_12
; %bb.76:                               ;   in Loop: Header=BB210_13 Depth=1
	v_cmp_ne_u32_e32 vcc, s40, v68
	s_and_saveexec_b64 s[8:9], vcc
	s_cbranch_execz .LBB210_11
; %bb.77:                               ;   in Loop: Header=BB210_13 Depth=1
	v_subrev_u32_e32 v0, s40, v68
	v_cmp_lt_u32_e32 vcc, 1, v0
	s_mov_b64 s[30:31], 0
	s_mov_b64 s[34:35], 0
	v_cndmask_b32_e32 v0, 1, v0, vcc
.LBB210_78:                             ;   Parent Loop BB210_13 Depth=1
                                        ; =>  This Inner Loop Header: Depth=2
	s_cmp_lg_u32 s34, 2
	s_cselect_b64 vcc, -1, 0
	s_cmp_lg_u32 s34, 1
	v_cndmask_b32_e32 v66, 0, v66, vcc
	s_cselect_b64 vcc, -1, 0
	s_cmp_lg_u32 s34, 0
	v_cndmask_b32_e32 v65, 0, v65, vcc
	s_cselect_b64 vcc, -1, 0
	s_add_u32 s34, s34, 1
	s_addc_u32 s35, s35, 0
	v_cmp_eq_u32_e64 s[4:5], s34, v0
	s_or_b64 s[30:31], s[4:5], s[30:31]
	v_cndmask_b32_e32 v64, 0, v64, vcc
	s_andn2_b64 exec, exec, s[30:31]
	s_cbranch_execnz .LBB210_78
; %bb.79:                               ;   in Loop: Header=BB210_13 Depth=1
	s_or_b64 exec, exec, s[30:31]
	s_branch .LBB210_11
.LBB210_80:
	s_endpgm
	.section	.rodata,"a",@progbits
	.p2align	6, 0x0
	.amdhsa_kernel _Z12wvSplitK_hf_I14__hip_bfloat16Li64ELi3ELi16ELi8ELi2ELi2EEviiiiiiPKT_S3_S3_PS1_ii
		.amdhsa_group_segment_fixed_size 65536
		.amdhsa_private_segment_fixed_size 0
		.amdhsa_kernarg_size 64
		.amdhsa_user_sgpr_count 2
		.amdhsa_user_sgpr_dispatch_ptr 0
		.amdhsa_user_sgpr_queue_ptr 0
		.amdhsa_user_sgpr_kernarg_segment_ptr 1
		.amdhsa_user_sgpr_dispatch_id 0
		.amdhsa_user_sgpr_kernarg_preload_length 0
		.amdhsa_user_sgpr_kernarg_preload_offset 0
		.amdhsa_user_sgpr_private_segment_size 0
		.amdhsa_uses_dynamic_stack 0
		.amdhsa_enable_private_segment 0
		.amdhsa_system_sgpr_workgroup_id_x 1
		.amdhsa_system_sgpr_workgroup_id_y 0
		.amdhsa_system_sgpr_workgroup_id_z 0
		.amdhsa_system_sgpr_workgroup_info 0
		.amdhsa_system_vgpr_workitem_id 1
		.amdhsa_next_free_vgpr 87
		.amdhsa_next_free_sgpr 43
		.amdhsa_accum_offset 88
		.amdhsa_reserve_vcc 1
		.amdhsa_float_round_mode_32 0
		.amdhsa_float_round_mode_16_64 0
		.amdhsa_float_denorm_mode_32 3
		.amdhsa_float_denorm_mode_16_64 3
		.amdhsa_dx10_clamp 1
		.amdhsa_ieee_mode 1
		.amdhsa_fp16_overflow 0
		.amdhsa_tg_split 0
		.amdhsa_exception_fp_ieee_invalid_op 0
		.amdhsa_exception_fp_denorm_src 0
		.amdhsa_exception_fp_ieee_div_zero 0
		.amdhsa_exception_fp_ieee_overflow 0
		.amdhsa_exception_fp_ieee_underflow 0
		.amdhsa_exception_fp_ieee_inexact 0
		.amdhsa_exception_int_div_zero 0
	.end_amdhsa_kernel
	.section	.text._Z12wvSplitK_hf_I14__hip_bfloat16Li64ELi3ELi16ELi8ELi2ELi2EEviiiiiiPKT_S3_S3_PS1_ii,"axG",@progbits,_Z12wvSplitK_hf_I14__hip_bfloat16Li64ELi3ELi16ELi8ELi2ELi2EEviiiiiiPKT_S3_S3_PS1_ii,comdat
.Lfunc_end210:
	.size	_Z12wvSplitK_hf_I14__hip_bfloat16Li64ELi3ELi16ELi8ELi2ELi2EEviiiiiiPKT_S3_S3_PS1_ii, .Lfunc_end210-_Z12wvSplitK_hf_I14__hip_bfloat16Li64ELi3ELi16ELi8ELi2ELi2EEviiiiiiPKT_S3_S3_PS1_ii
                                        ; -- End function
	.section	.AMDGPU.csdata,"",@progbits
; Kernel info:
; codeLenInByte = 3692
; NumSgprs: 49
; NumVgprs: 87
; NumAgprs: 0
; TotalNumVgprs: 87
; ScratchSize: 0
; MemoryBound: 1
; FloatMode: 240
; IeeeMode: 1
; LDSByteSize: 65536 bytes/workgroup (compile time only)
; SGPRBlocks: 6
; VGPRBlocks: 10
; NumSGPRsForWavesPerEU: 49
; NumVGPRsForWavesPerEU: 87
; AccumOffset: 88
; Occupancy: 4
; WaveLimiterHint : 0
; COMPUTE_PGM_RSRC2:SCRATCH_EN: 0
; COMPUTE_PGM_RSRC2:USER_SGPR: 2
; COMPUTE_PGM_RSRC2:TRAP_HANDLER: 0
; COMPUTE_PGM_RSRC2:TGID_X_EN: 1
; COMPUTE_PGM_RSRC2:TGID_Y_EN: 0
; COMPUTE_PGM_RSRC2:TGID_Z_EN: 0
; COMPUTE_PGM_RSRC2:TIDIG_COMP_CNT: 1
; COMPUTE_PGM_RSRC3_GFX90A:ACCUM_OFFSET: 21
; COMPUTE_PGM_RSRC3_GFX90A:TG_SPLIT: 0
	.section	.text._Z16wvSplitK_hf_big_I14__hip_bfloat16Li64ELi3ELi16ELi8ELi2ELi2EEviiiiiiPKT_S3_S3_PS1_ii,"axG",@progbits,_Z16wvSplitK_hf_big_I14__hip_bfloat16Li64ELi3ELi16ELi8ELi2ELi2EEviiiiiiPKT_S3_S3_PS1_ii,comdat
	.protected	_Z16wvSplitK_hf_big_I14__hip_bfloat16Li64ELi3ELi16ELi8ELi2ELi2EEviiiiiiPKT_S3_S3_PS1_ii ; -- Begin function _Z16wvSplitK_hf_big_I14__hip_bfloat16Li64ELi3ELi16ELi8ELi2ELi2EEviiiiiiPKT_S3_S3_PS1_ii
	.globl	_Z16wvSplitK_hf_big_I14__hip_bfloat16Li64ELi3ELi16ELi8ELi2ELi2EEviiiiiiPKT_S3_S3_PS1_ii
	.p2align	8
	.type	_Z16wvSplitK_hf_big_I14__hip_bfloat16Li64ELi3ELi16ELi8ELi2ELi2EEviiiiiiPKT_S3_S3_PS1_ii,@function
_Z16wvSplitK_hf_big_I14__hip_bfloat16Li64ELi3ELi16ELi8ELi2ELi2EEviiiiiiPKT_S3_S3_PS1_ii: ; @_Z16wvSplitK_hf_big_I14__hip_bfloat16Li64ELi3ELi16ELi8ELi2ELi2EEviiiiiiPKT_S3_S3_PS1_ii
; %bb.0:
	s_load_dwordx2 s[8:9], s[0:1], 0x38
	v_bfe_u32 v1, v0, 10, 10
	s_waitcnt lgkmcnt(0)
	v_cmp_gt_u32_e32 vcc, s8, v1
	s_and_saveexec_b64 s[4:5], vcc
	s_cbranch_execz .LBB211_76
; %bb.1:
	s_load_dwordx4 s[20:23], s[0:1], 0x0
	s_mul_i32 s2, s2, s8
	v_add_u32_e32 v2, s2, v1
	v_lshl_add_u32 v68, v2, 1, v2
	s_mov_b32 s4, 1
	v_add_u32_e32 v2, 3, v68
	s_mov_b32 s6, s4
	s_waitcnt lgkmcnt(0)
	v_cmp_gt_u32_e32 vcc, s23, v68
	v_cmp_le_u32_e64 s[2:3], s23, v2
	s_mov_b32 s5, s4
	v_mov_b32_e32 v66, s6
	s_and_b64 s[10:11], vcc, s[2:3]
	v_mov_b32_e32 v65, s5
	v_mov_b32_e32 v64, s4
	s_and_saveexec_b64 s[2:3], s[10:11]
	s_cbranch_execz .LBB211_7
; %bb.2:
	s_add_i32 s7, s23, -3
	v_mov_b32_e32 v66, s6
	v_cmp_ne_u32_e32 vcc, s7, v68
	v_mov_b32_e32 v65, s5
	v_mov_b32_e32 v64, s4
	s_and_saveexec_b64 s[10:11], vcc
	s_cbranch_execz .LBB211_6
; %bb.3:
	v_subrev_u32_e32 v2, s7, v68
	v_cmp_lt_u32_e32 vcc, 1, v2
	s_mov_b64 s[12:13], 0
	s_mov_b64 s[14:15], 0
	v_cndmask_b32_e32 v2, 1, v2, vcc
	s_mov_b32 s5, s4
	s_mov_b32 s6, s4
.LBB211_4:                              ; =>This Inner Loop Header: Depth=1
	s_cmp_lg_u32 s14, 2
	s_cselect_b32 s6, s6, 0
	s_cmp_lg_u32 s14, 1
	s_cselect_b32 s5, s5, 0
	;; [unrolled: 2-line block ×3, first 2 shown]
	s_add_u32 s14, s14, 1
	s_addc_u32 s15, s15, 0
	v_cmp_eq_u32_e32 vcc, s14, v2
	v_mov_b32_e32 v66, s6
	s_or_b64 s[12:13], vcc, s[12:13]
	v_mov_b32_e32 v65, s5
	v_mov_b32_e32 v64, s4
	s_andn2_b64 exec, exec, s[12:13]
	s_cbranch_execnz .LBB211_4
; %bb.5:
	s_or_b64 exec, exec, s[12:13]
	v_mov_b32_e32 v68, s7
.LBB211_6:
	s_or_b64 exec, exec, s[10:11]
.LBB211_7:
	s_or_b64 exec, exec, s[2:3]
	s_mul_i32 s46, s8, 3
	s_abs_i32 s2, s46
	v_cvt_f32_u32_e32 v2, s2
	s_sub_i32 s5, 0, s2
	s_abs_i32 s4, s23
	s_ashr_i32 s3, s23, 31
	v_rcp_iflag_f32_e32 v2, v2
	s_nop 0
	v_mul_f32_e32 v2, 0x4f7ffffe, v2
	v_cvt_u32_f32_e32 v2, v2
	s_nop 0
	v_readfirstlane_b32 s6, v2
	s_mul_i32 s5, s5, s6
	s_mul_hi_u32 s5, s6, s5
	s_add_i32 s6, s6, s5
	s_mul_hi_u32 s5, s4, s6
	s_mul_i32 s5, s5, s2
	s_sub_i32 s4, s4, s5
	s_sub_i32 s5, s4, s2
	s_cmp_ge_u32 s4, s2
	s_cselect_b32 s4, s5, s4
	s_sub_i32 s5, s4, s2
	s_cmp_ge_u32 s4, s2
	s_cselect_b32 s2, s5, s4
	s_xor_b32 s2, s2, s3
	s_sub_i32 s2, s2, s3
	s_add_i32 s3, s46, s23
	s_sub_i32 s3, s3, s2
	s_cmp_eq_u32 s2, 0
	s_cselect_b32 s33, s23, s3
	v_cmp_gt_u32_e32 vcc, s33, v68
	s_and_b64 exec, exec, vcc
	s_cbranch_execz .LBB211_76
; %bb.8:
	s_load_dwordx8 s[12:19], s[0:1], 0x10
	s_min_u32 s42, s22, 0x4000
	s_cmp_lg_u32 s20, 0
	s_cselect_b64 s[2:3], -1, 0
	s_cmp_lg_u32 s22, 0
	s_waitcnt lgkmcnt(0)
	v_cvt_f32_u32_e32 v2, s12
	s_cselect_b64 s[4:5], -1, 0
	s_lshl_b32 s43, s8, 9
	s_add_i32 s44, s20, -8
	v_rcp_iflag_f32_e32 v2, v2
	s_add_i32 s45, s23, -1
	s_cmp_lg_u64 s[18:19], 0
	s_cselect_b64 s[28:29], -1, 0
	v_mul_f32_e32 v2, 0x4f7ffffe, v2
	v_cvt_u32_f32_e32 v2, v2
	s_sub_i32 s6, 0, s12
	s_load_dwordx2 s[24:25], s[0:1], 0x30
	s_add_i32 s47, s23, -3
	v_mul_lo_u32 v3, s6, v2
	s_abs_i32 s6, s13
	s_sub_i32 s7, 1, s6
	s_cmp_lt_u32 s6, 2
	v_and_b32_e32 v0, 0x3ff, v0
	s_cselect_b32 s7, s7, 1
	v_lshlrev_b32_e32 v67, 3, v0
	s_mul_i32 s46, s46, s9
	v_cmp_eq_u32_e64 s[0:1], 63, v0
	s_sub_i32 s9, s7, s6
	v_lshlrev_b32_e32 v0, 4, v0
	s_cmp_ge_u32 s7, s6
	v_lshl_add_u32 v79, v1, 10, v0
	v_cndmask_b32_e64 v0, 0, 1, s[2:3]
	v_mul_hi_u32 v3, v2, v3
	s_cselect_b32 s13, s9, s7
	s_waitcnt lgkmcnt(0)
	s_add_u32 s30, s24, 2
	v_lshl_add_u32 v80, v1, 9, v67
	v_cmp_ne_u32_e64 s[2:3], 1, v0
	v_cndmask_b32_e64 v0, 0, 1, s[4:5]
	s_mov_b64 s[26:27], 0
	v_add_u32_e32 v78, v2, v3
	v_mov_b32_e32 v71, 0
	s_mul_i32 s13, s13, s12
	s_addc_u32 s31, s25, 0
	s_lshl_b32 s48, s42, 1
	s_lshl_b32 s49, s8, 10
	v_add_u32_e32 v81, s22, v80
	v_cmp_ne_u32_e64 s[4:5], 1, v0
	s_mov_b32 s50, 0x7f800000
	s_movk_i32 s51, 0x7fff
	s_branch .LBB211_12
.LBB211_9:                              ;   in Loop: Header=BB211_12 Depth=1
	s_or_b64 exec, exec, s[10:11]
	v_mov_b32_e32 v68, s47
.LBB211_10:                             ;   in Loop: Header=BB211_12 Depth=1
	s_or_b64 exec, exec, s[8:9]
.LBB211_11:                             ;   in Loop: Header=BB211_12 Depth=1
	s_or_b64 exec, exec, s[34:35]
	v_cmp_le_u32_e32 vcc, s33, v68
	s_or_b64 s[26:27], vcc, s[26:27]
	s_andn2_b64 exec, exec, s[26:27]
	s_cbranch_execz .LBB211_76
.LBB211_12:                             ; =>This Loop Header: Depth=1
                                        ;     Child Loop BB211_17 Depth 2
                                        ;       Child Loop BB211_22 Depth 3
                                        ;     Child Loop BB211_74 Depth 2
	s_and_b64 vcc, exec, s[2:3]
	v_mov_b32_e32 v3, v71
	v_mov_b32_e32 v2, v71
	;; [unrolled: 1-line block ×4, first 2 shown]
	s_waitcnt vmcnt(1)
	v_mov_b32_e32 v7, v71
	v_mov_b32_e32 v6, v71
	;; [unrolled: 1-line block ×3, first 2 shown]
	s_waitcnt vmcnt(0)
	v_mov_b32_e32 v4, v71
	v_mov_b32_e32 v11, v71
	;; [unrolled: 1-line block ×17, first 2 shown]
	s_cbranch_vccnz .LBB211_29
; %bb.13:                               ;   in Loop: Header=BB211_12 Depth=1
	v_min_u32_e32 v0, s45, v68
	v_mul_lo_u32 v70, v0, s21
	v_add_u32_e32 v0, 1, v68
	v_add_u32_e32 v2, 2, v68
	v_min_u32_e32 v0, s45, v0
	v_min_u32_e32 v2, s45, v2
	v_mul_lo_u32 v0, v0, s21
	v_mov_b32_e32 v1, v71
	v_mul_lo_u32 v2, v2, s21
	v_mov_b32_e32 v3, v71
	v_mov_b32_e32 v20, 0
	v_cmp_gt_u32_e64 s[6:7], s23, v68
	s_mov_b32 s36, 0
	v_lshlrev_b64 v[72:73], 1, v[70:71]
	v_lshlrev_b64 v[74:75], 1, v[0:1]
	;; [unrolled: 1-line block ×3, first 2 shown]
	s_mov_b32 s37, 0
	v_mov_b32_e32 v21, v20
	v_mov_b32_e32 v22, v20
	v_mov_b32_e32 v23, v20
	v_mov_b32_e32 v16, v20
	v_mov_b32_e32 v17, v20
	v_mov_b32_e32 v18, v20
	v_mov_b32_e32 v19, v20
	v_mov_b32_e32 v12, v20
	v_mov_b32_e32 v13, v20
	v_mov_b32_e32 v14, v20
	v_mov_b32_e32 v15, v20
	v_mov_b32_e32 v8, v20
	v_mov_b32_e32 v9, v20
	v_mov_b32_e32 v10, v20
	v_mov_b32_e32 v11, v20
	v_mov_b32_e32 v4, v20
	v_mov_b32_e32 v5, v20
	v_mov_b32_e32 v6, v20
	v_mov_b32_e32 v7, v20
	v_mov_b32_e32 v0, v20
	v_mov_b32_e32 v1, v20
	v_mov_b32_e32 v2, v20
	v_mov_b32_e32 v3, v20
	s_branch .LBB211_17
.LBB211_14:                             ;   in Loop: Header=BB211_17 Depth=2
	s_or_b64 exec, exec, s[34:35]
.LBB211_15:                             ;   in Loop: Header=BB211_17 Depth=2
	s_or_b64 exec, exec, s[10:11]
	s_waitcnt vmcnt(5) lgkmcnt(1)
	v_mfma_f32_4x4x4_16b_bf16 v[20:23], v[60:61], v[40:41], v[20:23]
	s_waitcnt vmcnt(4)
	v_mfma_f32_4x4x4_16b_bf16 v[16:19], v[60:61], v[36:37], v[16:19]
	s_waitcnt vmcnt(3)
	v_mfma_f32_4x4x4_16b_bf16 v[12:15], v[60:61], v[52:53], v[12:15]
	s_waitcnt lgkmcnt(0)
	v_mfma_f32_4x4x4_16b_bf16 v[8:11], v[56:57], v[40:41], v[8:11]
	v_mfma_f32_4x4x4_16b_bf16 v[4:7], v[56:57], v[36:37], v[4:7]
	;; [unrolled: 1-line block ×9, first 2 shown]
	s_waitcnt vmcnt(2)
	v_mfma_f32_4x4x4_16b_bf16 v[20:23], v[48:49], v[24:25], v[20:23]
	s_waitcnt vmcnt(1)
	v_mfma_f32_4x4x4_16b_bf16 v[16:19], v[48:49], v[32:33], v[16:19]
	;; [unrolled: 2-line block ×3, first 2 shown]
	v_mfma_f32_4x4x4_16b_bf16 v[8:11], v[44:45], v[24:25], v[8:11]
	v_mfma_f32_4x4x4_16b_bf16 v[4:7], v[44:45], v[32:33], v[4:7]
	;; [unrolled: 1-line block ×9, first 2 shown]
.LBB211_16:                             ;   in Loop: Header=BB211_17 Depth=2
	s_or_b64 exec, exec, s[8:9]
	s_addk_i32 s37, 0x400
	s_cmp_ge_u32 s37, s20
	s_cbranch_scc1 .LBB211_29
.LBB211_17:                             ;   Parent Loop BB211_12 Depth=1
                                        ; =>  This Loop Header: Depth=2
                                        ;       Child Loop BB211_22 Depth 3
	s_cmp_eq_u32 s37, 0
	s_cselect_b64 s[8:9], -1, 0
	s_add_i32 s10, s36, s42
	s_cmp_eq_u32 s37, s10
	s_cselect_b64 s[34:35], -1, 0
	s_or_b64 s[34:35], s[8:9], s[34:35]
	s_andn2_b64 vcc, exec, s[34:35]
	s_cbranch_vccz .LBB211_19
; %bb.18:                               ;   in Loop: Header=BB211_17 Depth=2
	s_and_saveexec_b64 s[8:9], s[6:7]
	s_cbranch_execz .LBB211_16
	s_branch .LBB211_26
.LBB211_19:                             ;   in Loop: Header=BB211_17 Depth=2
	s_and_b64 s[8:9], s[8:9], exec
	s_cselect_b32 s36, s36, s10
	s_and_b64 vcc, exec, s[4:5]
	s_barrier
	s_cbranch_vccnz .LBB211_25
; %bb.20:                               ;   in Loop: Header=BB211_17 Depth=2
	v_add_u32_e32 v24, s36, v81
	v_add_u32_e32 v25, s36, v80
	s_mov_b32 s38, 0
	s_mov_b64 s[10:11], 0
	v_mov_b32_e32 v26, v79
                                        ; implicit-def: $sgpr34_sgpr35
	s_branch .LBB211_22
.LBB211_21:                             ;   in Loop: Header=BB211_22 Depth=3
	s_or_b64 exec, exec, s[8:9]
	s_and_b64 s[8:9], exec, s[34:35]
	s_or_b64 s[10:11], s[8:9], s[10:11]
	s_andn2_b64 exec, exec, s[10:11]
	s_cbranch_execz .LBB211_24
.LBB211_22:                             ;   Parent Loop BB211_12 Depth=1
                                        ;     Parent Loop BB211_17 Depth=2
                                        ; =>    This Inner Loop Header: Depth=3
	v_add_u32_e32 v27, s38, v80
	v_add_u32_e32 v70, s38, v25
	v_cmp_gt_u32_e32 vcc, s22, v70
	v_cmp_gt_u32_e64 s[8:9], s42, v27
	s_and_b64 s[40:41], s[8:9], vcc
	s_or_b64 s[34:35], s[34:35], exec
	s_and_saveexec_b64 s[8:9], s[40:41]
	s_cbranch_execz .LBB211_21
; %bb.23:                               ;   in Loop: Header=BB211_22 Depth=3
	v_lshl_add_u64 v[28:29], v[70:71], 1, s[16:17]
	v_add_u32_e32 v70, s38, v24
	global_load_dwordx4 v[28:31], v[28:29], off
	v_lshl_add_u64 v[32:33], v[70:71], 1, s[16:17]
	global_load_dwordx4 v[32:35], v[32:33], off
	s_add_i32 s38, s38, s43
	s_cmp_ge_u32 s38, s42
	s_cselect_b64 s[40:41], -1, 0
	s_andn2_b64 s[34:35], s[34:35], exec
	s_and_b64 s[40:41], s[40:41], exec
	v_add_u32_e32 v27, s48, v26
	s_or_b64 s[34:35], s[34:35], s[40:41]
	s_waitcnt vmcnt(1)
	ds_write_b128 v26, v[28:31]
	v_add_u32_e32 v26, s49, v26
	s_waitcnt vmcnt(0)
	ds_write2_b64 v27, v[32:33], v[34:35] offset1:1
	s_branch .LBB211_21
.LBB211_24:                             ;   in Loop: Header=BB211_17 Depth=2
	s_or_b64 exec, exec, s[10:11]
.LBB211_25:                             ;   in Loop: Header=BB211_17 Depth=2
	s_waitcnt lgkmcnt(0)
	s_barrier
	s_and_saveexec_b64 s[8:9], s[6:7]
	s_cbranch_execz .LBB211_16
.LBB211_26:                             ;   in Loop: Header=BB211_17 Depth=2
	v_add_u32_e32 v69, s37, v67
	v_min_u32_e32 v70, s44, v69
	v_lshl_add_u64 v[24:25], v[70:71], 1, s[14:15]
	v_add_u32_e32 v82, 0x200, v69
	v_lshl_add_u64 v[26:27], v[24:25], 0, v[72:73]
	v_lshl_add_u64 v[28:29], v[24:25], 0, v[74:75]
	v_min_u32_e32 v70, s44, v82
	global_load_dwordx4 v[40:43], v[26:27], off nt
	global_load_dwordx4 v[36:39], v[28:29], off nt
	v_lshl_add_u64 v[28:29], v[24:25], 0, v[76:77]
	v_lshl_add_u64 v[30:31], v[70:71], 1, s[14:15]
	;; [unrolled: 1-line block ×3, first 2 shown]
	global_load_dwordx4 v[52:55], v[28:29], off nt
	global_load_dwordx4 v[24:27], v[32:33], off nt
	v_lshl_add_u64 v[28:29], v[30:31], 0, v[74:75]
	v_lshl_add_u64 v[30:31], v[30:31], 0, v[76:77]
	global_load_dwordx4 v[32:35], v[28:29], off nt
	s_nop 0
	global_load_dwordx4 v[28:31], v[30:31], off nt
	v_cmp_gt_u32_e32 vcc, s20, v69
	v_mov_b32_e32 v46, 0
	v_mov_b32_e32 v47, 0
	v_mov_b32_e32 v44, 0
	v_mov_b32_e32 v45, 0
	v_mov_b32_e32 v58, 0
	v_mov_b32_e32 v59, 0
	v_mov_b32_e32 v56, 0
	v_mov_b32_e32 v57, 0
	v_mov_b32_e32 v50, 0
	v_mov_b32_e32 v51, 0
	v_mov_b32_e32 v48, 0
	v_mov_b32_e32 v49, 0
	v_mov_b32_e32 v62, 0
	v_mov_b32_e32 v63, 0
	v_mov_b32_e32 v60, 0
	v_mov_b32_e32 v61, 0
	s_and_saveexec_b64 s[10:11], vcc
	s_cbranch_execz .LBB211_15
; %bb.27:                               ;   in Loop: Header=BB211_17 Depth=2
	v_subrev_u32_e32 v44, s36, v69
	v_lshlrev_b32_e32 v70, 1, v44
	v_lshl_add_u32 v69, s42, 1, v70
	ds_read_b128 v[60:63], v70
	ds_read_b128 v[56:59], v69
	v_cmp_gt_u32_e32 vcc, s20, v82
	v_mov_b32_e32 v49, 0
	v_mov_b32_e32 v48, 0
	;; [unrolled: 1-line block ×8, first 2 shown]
	s_and_saveexec_b64 s[34:35], vcc
	s_cbranch_execz .LBB211_14
; %bb.28:                               ;   in Loop: Header=BB211_17 Depth=2
	ds_read_b128 v[48:51], v70 offset:1024
	ds_read_b128 v[44:47], v69 offset:1024
	s_branch .LBB211_14
.LBB211_29:                             ;   in Loop: Header=BB211_12 Depth=1
	v_cmp_le_u32_e32 vcc, s23, v68
	s_and_saveexec_b64 s[6:7], vcc
	s_xor_b64 s[6:7], exec, s[6:7]
; %bb.30:                               ;   in Loop: Header=BB211_12 Depth=1
	v_add_u32_e32 v68, s46, v68
                                        ; implicit-def: $vgpr3
                                        ; implicit-def: $vgpr7
                                        ; implicit-def: $vgpr11
                                        ; implicit-def: $vgpr15
                                        ; implicit-def: $vgpr19
                                        ; implicit-def: $vgpr23
; %bb.31:                               ;   in Loop: Header=BB211_12 Depth=1
	s_andn2_saveexec_b64 s[34:35], s[6:7]
	s_cbranch_execz .LBB211_11
; %bb.32:                               ;   in Loop: Header=BB211_12 Depth=1
	v_cvt_i32_f32_e32 v21, v21
	v_cvt_i32_f32_e32 v22, v22
	;; [unrolled: 1-line block ×4, first 2 shown]
	v_cvt_f32_i32_dpp v21, v21 row_shl:1 row_mask:0xf bank_mask:0xf bound_ctrl:1
	v_cvt_f32_i32_dpp v22, v22 row_shl:2 row_mask:0xf bank_mask:0xf bound_ctrl:1
	v_cvt_i32_f32_e32 v18, v18
	v_cvt_f32_i32_dpp v23, v23 row_shl:3 row_mask:0xf bank_mask:0xf bound_ctrl:1
	v_cvt_i32_f32_e32 v19, v19
	v_add_f32_e32 v20, v20, v21
	v_add_f32_e32 v20, v20, v22
	v_cvt_f32_i32_dpp v17, v17 row_shl:1 row_mask:0xf bank_mask:0xf bound_ctrl:1
	v_add_f32_e32 v20, v20, v23
	v_cvt_f32_i32_dpp v18, v18 row_shl:2 row_mask:0xf bank_mask:0xf bound_ctrl:1
	v_cvt_f32_i32_dpp v19, v19 row_shl:3 row_mask:0xf bank_mask:0xf bound_ctrl:1
	v_cvt_i32_f32_e32 v21, v20
	v_add_f32_e32 v16, v16, v17
	v_add_f32_e32 v16, v16, v18
	;; [unrolled: 1-line block ×3, first 2 shown]
	v_cvt_f32_i32_dpp v18, v21 row_shl:4 row_mask:0xf bank_mask:0xf bound_ctrl:1
	v_cvt_i32_f32_e32 v17, v16
	v_cvt_i32_f32_e32 v13, v13
	;; [unrolled: 1-line block ×3, first 2 shown]
	v_add_f32_e32 v18, v20, v18
	v_cvt_f32_i32_dpp v17, v17 row_shl:4 row_mask:0xf bank_mask:0xf bound_ctrl:1
	v_cvt_i32_f32_e32 v19, v18
	v_cvt_i32_f32_e32 v15, v15
	v_cvt_f32_i32_dpp v13, v13 row_shl:1 row_mask:0xf bank_mask:0xf bound_ctrl:1
	v_add_f32_e32 v16, v16, v17
	v_cvt_f32_i32_dpp v19, v19 row_shl:8 row_mask:0xf bank_mask:0xf bound_ctrl:1
	v_cvt_i32_f32_e32 v17, v16
	v_cvt_i32_f32_e32 v9, v9
	v_cvt_f32_i32_dpp v14, v14 row_shl:2 row_mask:0xf bank_mask:0xf bound_ctrl:1
	;; [unrolled: 5-line block ×3, first 2 shown]
	v_add_f32_e32 v16, v16, v17
	v_cvt_f32_i32_dpp v17, v18 row_shr:15 row_mask:0xf bank_mask:0xf bound_ctrl:1
	v_cvt_i32_f32_e32 v16, v16
	v_cvt_i32_f32_e32 v11, v11
	;; [unrolled: 1-line block ×4, first 2 shown]
	v_cvt_f32_i32_dpp v16, v16 row_shr:15 row_mask:0xf bank_mask:0xf bound_ctrl:1
	v_add_f32_e32 v12, v12, v13
	v_cvt_f32_i32_dpp v9, v9 row_shl:1 row_mask:0xf bank_mask:0xf bound_ctrl:1
	v_cvt_i32_f32_e32 v1, v1
	v_add_f32_e32 v12, v12, v14
	v_cvt_f32_i32_dpp v10, v10 row_shl:2 row_mask:0xf bank_mask:0xf bound_ctrl:1
	v_cvt_i32_f32_e32 v6, v6
	v_cvt_i32_f32_e32 v2, v2
	v_add_f32_e32 v14, v12, v15
	v_cvt_f32_i32_dpp v11, v11 row_shl:3 row_mask:0xf bank_mask:0xf bound_ctrl:1
	v_cvt_f32_i32_dpp v5, v5 row_shl:1 row_mask:0xf bank_mask:0xf bound_ctrl:1
	v_cvt_i32_f32_e32 v7, v7
	v_cvt_i32_f32_e32 v3, v3
	v_cvt_f32_i32_dpp v18, v18 row_bcast:15 row_mask:0xf bank_mask:0xf bound_ctrl:1
	v_cvt_i32_f32_e32 v12, v14
	v_cvt_i32_f32_e32 v19, v16
	v_add_f32_e32 v8, v8, v9
	v_cvt_f32_i32_dpp v1, v1 row_shl:1 row_mask:0xf bank_mask:0xf bound_ctrl:1
	v_add_f32_e32 v8, v8, v10
	v_cvt_f32_i32_dpp v6, v6 row_shl:2 row_mask:0xf bank_mask:0xf bound_ctrl:1
	v_cvt_f32_i32_dpp v2, v2 row_shl:2 row_mask:0xf bank_mask:0xf bound_ctrl:1
	v_add_f32_e32 v9, v8, v11
	v_add_f32_e32 v4, v4, v5
	v_cvt_f32_i32_dpp v5, v7 row_shl:3 row_mask:0xf bank_mask:0xf bound_ctrl:1
	v_cvt_f32_i32_dpp v3, v3 row_shl:3 row_mask:0xf bank_mask:0xf bound_ctrl:1
	v_add_f32_e32 v13, v17, v18
	v_cvt_f32_i32_dpp v17, v12 row_shl:4 row_mask:0xf bank_mask:0xf bound_ctrl:1
	v_cvt_i32_f32_e32 v10, v9
	v_cvt_f32_i32_dpp v15, v19 row_bcast:15 row_mask:0xf bank_mask:0xf bound_ctrl:1
	v_add_f32_e32 v0, v0, v1
	v_add_f32_e32 v4, v4, v6
	;; [unrolled: 1-line block ×6, first 2 shown]
	v_cvt_f32_i32_dpp v10, v10 row_shl:4 row_mask:0xf bank_mask:0xf bound_ctrl:1
	v_cvt_i32_f32_e32 v5, v4
	v_cvt_i32_f32_e32 v1, v0
	v_add_f32_e32 v12, v16, v15
	v_cvt_i32_f32_e32 v16, v14
	v_add_f32_e32 v9, v9, v10
	v_cvt_f32_i32_dpp v3, v5 row_shl:4 row_mask:0xf bank_mask:0xf bound_ctrl:1
	v_cvt_f32_i32_dpp v1, v1 row_shl:4 row_mask:0xf bank_mask:0xf bound_ctrl:1
	;; [unrolled: 1-line block ×3, first 2 shown]
	v_cvt_i32_f32_e32 v10, v9
	v_add_f32_e32 v3, v4, v3
	v_add_f32_e32 v0, v0, v1
	;; [unrolled: 1-line block ×3, first 2 shown]
	v_cvt_f32_i32_dpp v2, v10 row_shl:8 row_mask:0xf bank_mask:0xf bound_ctrl:1
	v_cvt_i32_f32_e32 v4, v3
	v_cvt_i32_f32_e32 v1, v0
	;; [unrolled: 1-line block ×3, first 2 shown]
	v_add_f32_e32 v2, v9, v2
	v_cvt_f32_i32_dpp v4, v4 row_shl:8 row_mask:0xf bank_mask:0xf bound_ctrl:1
	v_cvt_f32_i32_dpp v1, v1 row_shl:8 row_mask:0xf bank_mask:0xf bound_ctrl:1
	v_cvt_f32_i32_dpp v5, v14 row_shr:15 row_mask:0xf bank_mask:0xf bound_ctrl:1
	v_cvt_i32_f32_e32 v2, v2
	v_add_f32_e32 v3, v3, v4
	v_add_f32_e32 v0, v0, v1
	v_cvt_i32_f32_e32 v6, v5
	v_cvt_f32_i32_dpp v2, v2 row_shr:15 row_mask:0xf bank_mask:0xf bound_ctrl:1
	v_cvt_i32_f32_e32 v3, v3
	v_cvt_i32_f32_e32 v0, v0
	v_cvt_f32_i32_dpp v1, v6 row_bcast:15 row_mask:0xf bank_mask:0xf bound_ctrl:1
	v_cvt_i32_f32_e32 v4, v2
	v_cvt_f32_i32_dpp v3, v3 row_shr:15 row_mask:0xf bank_mask:0xf bound_ctrl:1
	v_cvt_f32_i32_dpp v0, v0 row_shr:15 row_mask:0xf bank_mask:0xf bound_ctrl:1
	v_add_f32_e32 v9, v5, v1
	v_cvt_f32_i32_dpp v4, v4 row_bcast:15 row_mask:0xf bank_mask:0xf bound_ctrl:1
	v_cvt_i32_f32_e32 v1, v3
	v_cvt_i32_f32_e32 v6, v0
	;; [unrolled: 1-line block ×3, first 2 shown]
	v_add_f32_e32 v5, v2, v4
	v_cvt_f32_i32_dpp v1, v1 row_bcast:15 row_mask:0xf bank_mask:0xf bound_ctrl:1
	v_cvt_f32_i32_dpp v4, v6 row_bcast:15 row_mask:0xf bank_mask:0xf bound_ctrl:1
	v_cvt_i32_f32_e32 v15, v12
	v_cvt_i32_f32_e32 v7, v9
	v_add_f32_e32 v2, v3, v1
	v_add_f32_e32 v0, v0, v4
	v_cvt_i32_f32_e32 v6, v5
	v_cvt_i32_f32_e32 v1, v2
	;; [unrolled: 1-line block ×3, first 2 shown]
	v_mov_b32_dpp v11, v18 row_bcast:31 row_mask:0xf bank_mask:0xf bound_ctrl:1
	v_mov_b32_dpp v8, v15 row_bcast:31 row_mask:0xf bank_mask:0xf bound_ctrl:1
	;; [unrolled: 1-line block ×6, first 2 shown]
	s_and_saveexec_b64 s[36:37], s[0:1]
	s_cbranch_execz .LBB211_71
; %bb.33:                               ;   in Loop: Header=BB211_12 Depth=1
	s_andn2_b64 vcc, exec, s[28:29]
	v_mov_b32_e32 v17, 0
	v_add_u32_e32 v70, 2, v68
	v_mov_b32_e32 v16, 0
	v_mov_b32_e32 v15, 0
	;; [unrolled: 1-line block ×5, first 2 shown]
	s_cbranch_vccnz .LBB211_35
; %bb.34:                               ;   in Loop: Header=BB211_12 Depth=1
	v_mul_hi_u32 v4, v68, v78
	v_mul_lo_u32 v4, v4, s12
	v_sub_u32_e32 v4, v68, v4
	v_subrev_u32_e32 v7, s12, v4
	v_cmp_le_u32_e32 vcc, s12, v4
	v_mov_b32_e32 v15, v71
	v_mov_b32_e32 v17, v71
	v_cndmask_b32_e32 v4, v4, v7, vcc
	v_subrev_u32_e32 v7, s12, v4
	v_cmp_le_u32_e32 vcc, s12, v4
	v_mov_b32_e32 v23, v71
	s_nop 0
	v_cndmask_b32_e32 v14, v4, v7, vcc
	v_add_u32_e32 v4, 1, v68
	v_mul_hi_u32 v7, v4, v78
	v_mul_lo_u32 v7, v7, s12
	v_sub_u32_e32 v4, v4, v7
	v_subrev_u32_e32 v7, s12, v4
	v_cmp_le_u32_e32 vcc, s12, v4
	v_lshl_add_u64 v[18:19], v[14:15], 1, s[18:19]
	v_add_u32_e32 v14, s13, v14
	v_cndmask_b32_e32 v4, v4, v7, vcc
	v_subrev_u32_e32 v7, s12, v4
	v_cmp_le_u32_e32 vcc, s12, v4
	v_lshl_add_u64 v[26:27], v[14:15], 1, s[18:19]
	s_nop 0
	v_cndmask_b32_e32 v16, v4, v7, vcc
	v_mul_hi_u32 v4, v70, v78
	v_mul_lo_u32 v4, v4, s12
	v_sub_u32_e32 v4, v70, v4
	v_subrev_u32_e32 v7, s12, v4
	v_cmp_le_u32_e32 vcc, s12, v4
	v_add_u32_e32 v14, s13, v16
	v_lshl_add_u64 v[28:29], v[14:15], 1, s[18:19]
	v_cndmask_b32_e32 v4, v4, v7, vcc
	v_subrev_u32_e32 v7, s12, v4
	v_cmp_le_u32_e32 vcc, s12, v4
	v_lshl_add_u64 v[20:21], v[16:17], 1, s[18:19]
	s_nop 0
	v_cndmask_b32_e32 v22, v4, v7, vcc
	v_add_u32_e32 v14, s13, v22
	v_lshl_add_u64 v[24:25], v[22:23], 1, s[18:19]
	v_lshl_add_u64 v[22:23], v[14:15], 1, s[18:19]
	global_load_ushort v17, v[18:19], off
	global_load_ushort v16, v[20:21], off
	;; [unrolled: 1-line block ×6, first 2 shown]
.LBB211_35:                             ;   in Loop: Header=BB211_12 Depth=1
	v_cmp_ne_u32_e32 vcc, 0, v64
	s_and_saveexec_b64 s[8:9], vcc
	s_cbranch_execnz .LBB211_41
; %bb.36:                               ;   in Loop: Header=BB211_12 Depth=1
	s_or_b64 exec, exec, s[8:9]
	v_cmp_ne_u32_e64 s[6:7], 0, v65
	s_and_saveexec_b64 s[10:11], s[6:7]
	s_cbranch_execnz .LBB211_46
.LBB211_37:                             ;   in Loop: Header=BB211_12 Depth=1
	s_or_b64 exec, exec, s[10:11]
	v_cmp_ne_u32_e64 s[8:9], 0, v66
	s_and_saveexec_b64 s[38:39], s[8:9]
	s_cbranch_execnz .LBB211_51
.LBB211_38:                             ;   in Loop: Header=BB211_12 Depth=1
	s_or_b64 exec, exec, s[38:39]
	v_add_u32_e32 v70, s23, v68
	s_and_saveexec_b64 s[10:11], vcc
	s_cbranch_execnz .LBB211_56
.LBB211_39:                             ;   in Loop: Header=BB211_12 Depth=1
	s_or_b64 exec, exec, s[10:11]
	s_and_saveexec_b64 s[10:11], s[6:7]
	s_cbranch_execnz .LBB211_61
.LBB211_40:                             ;   in Loop: Header=BB211_12 Depth=1
	s_or_b64 exec, exec, s[10:11]
	s_and_b64 exec, exec, s[8:9]
	s_cbranch_execnz .LBB211_66
	s_branch .LBB211_71
.LBB211_41:                             ;   in Loop: Header=BB211_12 Depth=1
	v_cvt_f32_i32_e32 v11, v11
	v_add_f32_e32 v11, v13, v11
	s_waitcnt vmcnt(5)
	v_lshlrev_b32_e32 v13, 16, v17
	v_add_f32_e32 v13, v11, v13
	v_and_b32_e32 v11, 0x7f800000, v13
	v_cmp_ne_u32_e64 s[6:7], s50, v11
                                        ; implicit-def: $vgpr11
	s_and_saveexec_b64 s[10:11], s[6:7]
	s_xor_b64 s[6:7], exec, s[10:11]
; %bb.42:                               ;   in Loop: Header=BB211_12 Depth=1
	v_bfe_u32 v11, v13, 16, 1
	v_add3_u32 v11, v13, v11, s51
                                        ; implicit-def: $vgpr13
; %bb.43:                               ;   in Loop: Header=BB211_12 Depth=1
	s_andn2_saveexec_b64 s[10:11], s[6:7]
; %bb.44:                               ;   in Loop: Header=BB211_12 Depth=1
	v_or_b32_e32 v11, 0x10000, v13
	v_cmp_eq_u32_sdwa s[6:7], v13, v71 src0_sel:WORD_0 src1_sel:DWORD
	s_nop 1
	v_cndmask_b32_e64 v11, v11, v13, s[6:7]
; %bb.45:                               ;   in Loop: Header=BB211_12 Depth=1
	s_or_b64 exec, exec, s[10:11]
	v_mov_b32_e32 v69, v71
	v_lshl_add_u64 v[18:19], v[68:69], 1, s[24:25]
	global_store_short_d16_hi v[18:19], v11, off
	s_or_b64 exec, exec, s[8:9]
	v_cmp_ne_u32_e64 s[6:7], 0, v65
	s_and_saveexec_b64 s[10:11], s[6:7]
	s_cbranch_execz .LBB211_37
.LBB211_46:                             ;   in Loop: Header=BB211_12 Depth=1
	v_cvt_f32_i32_e32 v8, v8
	s_waitcnt vmcnt(4)
	v_lshlrev_b32_e32 v11, 16, v16
	v_add_f32_e32 v8, v12, v8
	v_add_f32_e32 v11, v8, v11
	v_and_b32_e32 v8, 0x7f800000, v11
	v_cmp_ne_u32_e64 s[8:9], s50, v8
                                        ; implicit-def: $vgpr8
	s_and_saveexec_b64 s[38:39], s[8:9]
	s_xor_b64 s[8:9], exec, s[38:39]
; %bb.47:                               ;   in Loop: Header=BB211_12 Depth=1
	v_bfe_u32 v8, v11, 16, 1
	v_add3_u32 v8, v11, v8, s51
                                        ; implicit-def: $vgpr11
; %bb.48:                               ;   in Loop: Header=BB211_12 Depth=1
	s_andn2_saveexec_b64 s[38:39], s[8:9]
; %bb.49:                               ;   in Loop: Header=BB211_12 Depth=1
	v_or_b32_e32 v8, 0x10000, v11
	v_cmp_eq_u32_sdwa s[8:9], v11, v71 src0_sel:WORD_0 src1_sel:DWORD
	s_nop 1
	v_cndmask_b32_e64 v8, v8, v11, s[8:9]
; %bb.50:                               ;   in Loop: Header=BB211_12 Depth=1
	s_or_b64 exec, exec, s[38:39]
	v_mov_b32_e32 v69, v71
	v_lshl_add_u64 v[12:13], v[68:69], 1, s[30:31]
	global_store_short_d16_hi v[12:13], v8, off
	s_or_b64 exec, exec, s[10:11]
	v_cmp_ne_u32_e64 s[8:9], 0, v66
	s_and_saveexec_b64 s[38:39], s[8:9]
	s_cbranch_execz .LBB211_38
.LBB211_51:                             ;   in Loop: Header=BB211_12 Depth=1
	v_cvt_f32_i32_e32 v8, v10
	v_add_f32_e32 v8, v9, v8
	s_waitcnt vmcnt(3)
	v_lshlrev_b32_e32 v9, 16, v15
	v_add_f32_e32 v9, v8, v9
	v_and_b32_e32 v8, 0x7f800000, v9
	v_cmp_ne_u32_e64 s[10:11], s50, v8
                                        ; implicit-def: $vgpr8
	s_and_saveexec_b64 s[40:41], s[10:11]
	s_xor_b64 s[10:11], exec, s[40:41]
; %bb.52:                               ;   in Loop: Header=BB211_12 Depth=1
	v_bfe_u32 v8, v9, 16, 1
	v_add3_u32 v8, v9, v8, s51
                                        ; implicit-def: $vgpr9
; %bb.53:                               ;   in Loop: Header=BB211_12 Depth=1
	s_andn2_saveexec_b64 s[40:41], s[10:11]
; %bb.54:                               ;   in Loop: Header=BB211_12 Depth=1
	v_or_b32_e32 v8, 0x10000, v9
	v_cmp_eq_u32_sdwa s[10:11], v9, v71 src0_sel:WORD_0 src1_sel:DWORD
	s_nop 1
	v_cndmask_b32_e64 v8, v8, v9, s[10:11]
; %bb.55:                               ;   in Loop: Header=BB211_12 Depth=1
	s_or_b64 exec, exec, s[40:41]
	v_lshl_add_u64 v[10:11], v[70:71], 1, s[24:25]
	global_store_short_d16_hi v[10:11], v8, off
	s_or_b64 exec, exec, s[38:39]
	v_add_u32_e32 v70, s23, v68
	s_and_saveexec_b64 s[10:11], vcc
	s_cbranch_execz .LBB211_39
.LBB211_56:                             ;   in Loop: Header=BB211_12 Depth=1
	v_cvt_f32_i32_e32 v6, v6
	v_add_f32_e32 v5, v5, v6
	s_waitcnt vmcnt(2)
	v_lshlrev_b32_e32 v6, 16, v14
	v_add_f32_e32 v6, v5, v6
	v_and_b32_e32 v5, 0x7f800000, v6
	v_cmp_ne_u32_e32 vcc, s50, v5
                                        ; implicit-def: $vgpr5
	s_and_saveexec_b64 s[38:39], vcc
	s_xor_b64 s[38:39], exec, s[38:39]
; %bb.57:                               ;   in Loop: Header=BB211_12 Depth=1
	v_bfe_u32 v5, v6, 16, 1
	v_add3_u32 v5, v6, v5, s51
                                        ; implicit-def: $vgpr6
; %bb.58:                               ;   in Loop: Header=BB211_12 Depth=1
	s_andn2_saveexec_b64 s[38:39], s[38:39]
; %bb.59:                               ;   in Loop: Header=BB211_12 Depth=1
	v_or_b32_e32 v5, 0x10000, v6
	v_cmp_eq_u32_sdwa vcc, v6, v71 src0_sel:WORD_0 src1_sel:DWORD
	s_nop 1
	v_cndmask_b32_e32 v5, v5, v6, vcc
; %bb.60:                               ;   in Loop: Header=BB211_12 Depth=1
	s_or_b64 exec, exec, s[38:39]
	v_lshl_add_u64 v[8:9], v[70:71], 1, s[24:25]
	global_store_short_d16_hi v[8:9], v5, off
	s_or_b64 exec, exec, s[10:11]
	s_and_saveexec_b64 s[10:11], s[6:7]
	s_cbranch_execz .LBB211_40
.LBB211_61:                             ;   in Loop: Header=BB211_12 Depth=1
	v_cvt_f32_i32_e32 v3, v3
	v_add_f32_e32 v2, v2, v3
	s_waitcnt vmcnt(1)
	v_lshlrev_b32_e32 v3, 16, v7
	v_add_f32_e32 v3, v2, v3
	v_and_b32_e32 v2, 0x7f800000, v3
	v_cmp_ne_u32_e32 vcc, s50, v2
                                        ; implicit-def: $vgpr2
	s_and_saveexec_b64 s[6:7], vcc
	s_xor_b64 s[6:7], exec, s[6:7]
; %bb.62:                               ;   in Loop: Header=BB211_12 Depth=1
	v_bfe_u32 v2, v3, 16, 1
	v_add3_u32 v2, v3, v2, s51
                                        ; implicit-def: $vgpr3
; %bb.63:                               ;   in Loop: Header=BB211_12 Depth=1
	s_andn2_saveexec_b64 s[6:7], s[6:7]
; %bb.64:                               ;   in Loop: Header=BB211_12 Depth=1
	v_or_b32_e32 v2, 0x10000, v3
	v_cmp_eq_u32_sdwa vcc, v3, v71 src0_sel:WORD_0 src1_sel:DWORD
	s_nop 1
	v_cndmask_b32_e32 v2, v2, v3, vcc
; %bb.65:                               ;   in Loop: Header=BB211_12 Depth=1
	s_or_b64 exec, exec, s[6:7]
	v_add_u32_e32 v6, 1, v70
	v_mov_b32_e32 v7, v71
	v_lshl_add_u64 v[6:7], v[6:7], 1, s[24:25]
	global_store_short_d16_hi v[6:7], v2, off
	s_or_b64 exec, exec, s[10:11]
	s_and_b64 exec, exec, s[8:9]
	s_cbranch_execz .LBB211_71
.LBB211_66:                             ;   in Loop: Header=BB211_12 Depth=1
	v_cvt_f32_i32_e32 v1, v1
	v_add_f32_e32 v0, v0, v1
	s_waitcnt vmcnt(0)
	v_lshlrev_b32_e32 v1, 16, v4
	v_add_f32_e32 v1, v0, v1
	v_and_b32_e32 v0, 0x7f800000, v1
	v_cmp_ne_u32_e32 vcc, s50, v0
                                        ; implicit-def: $vgpr0
	s_and_saveexec_b64 s[6:7], vcc
	s_xor_b64 s[6:7], exec, s[6:7]
; %bb.67:                               ;   in Loop: Header=BB211_12 Depth=1
	v_bfe_u32 v0, v1, 16, 1
	v_add3_u32 v0, v1, v0, s51
                                        ; implicit-def: $vgpr1
; %bb.68:                               ;   in Loop: Header=BB211_12 Depth=1
	s_andn2_saveexec_b64 s[6:7], s[6:7]
; %bb.69:                               ;   in Loop: Header=BB211_12 Depth=1
	v_or_b32_e32 v0, 0x10000, v1
	v_cmp_eq_u32_sdwa vcc, v1, v71 src0_sel:WORD_0 src1_sel:DWORD
	s_nop 1
	v_cndmask_b32_e32 v0, v0, v1, vcc
; %bb.70:                               ;   in Loop: Header=BB211_12 Depth=1
	s_or_b64 exec, exec, s[6:7]
	v_add_u32_e32 v70, 2, v70
	v_lshl_add_u64 v[2:3], v[70:71], 1, s[24:25]
	global_store_short_d16_hi v[2:3], v0, off
.LBB211_71:                             ;   in Loop: Header=BB211_12 Depth=1
	s_or_b64 exec, exec, s[36:37]
	v_add_u32_e32 v68, s46, v68
	v_add_u32_e32 v0, 3, v68
	v_cmp_gt_u32_e32 vcc, s23, v68
	v_cmp_le_u32_e64 s[6:7], s23, v0
	s_and_b64 s[6:7], vcc, s[6:7]
	s_and_saveexec_b64 s[8:9], s[6:7]
	s_cbranch_execz .LBB211_10
; %bb.72:                               ;   in Loop: Header=BB211_12 Depth=1
	v_cmp_ne_u32_e32 vcc, s47, v68
	s_and_saveexec_b64 s[10:11], vcc
	s_cbranch_execz .LBB211_9
; %bb.73:                               ;   in Loop: Header=BB211_12 Depth=1
	v_subrev_u32_e32 v0, s47, v68
	v_cmp_lt_u32_e32 vcc, 1, v0
	s_mov_b64 s[36:37], 0
	s_mov_b64 s[38:39], 0
	v_cndmask_b32_e32 v0, 1, v0, vcc
.LBB211_74:                             ;   Parent Loop BB211_12 Depth=1
                                        ; =>  This Inner Loop Header: Depth=2
	s_cmp_lg_u32 s38, 2
	s_cselect_b64 vcc, -1, 0
	s_cmp_lg_u32 s38, 1
	v_cndmask_b32_e32 v66, 0, v66, vcc
	s_cselect_b64 vcc, -1, 0
	s_cmp_lg_u32 s38, 0
	v_cndmask_b32_e32 v65, 0, v65, vcc
	s_cselect_b64 vcc, -1, 0
	s_add_u32 s38, s38, 1
	s_addc_u32 s39, s39, 0
	v_cmp_eq_u32_e64 s[6:7], s38, v0
	s_or_b64 s[36:37], s[6:7], s[36:37]
	v_cndmask_b32_e32 v64, 0, v64, vcc
	s_andn2_b64 exec, exec, s[36:37]
	s_cbranch_execnz .LBB211_74
; %bb.75:                               ;   in Loop: Header=BB211_12 Depth=1
	s_or_b64 exec, exec, s[36:37]
	s_branch .LBB211_9
.LBB211_76:
	s_endpgm
	.section	.rodata,"a",@progbits
	.p2align	6, 0x0
	.amdhsa_kernel _Z16wvSplitK_hf_big_I14__hip_bfloat16Li64ELi3ELi16ELi8ELi2ELi2EEviiiiiiPKT_S3_S3_PS1_ii
		.amdhsa_group_segment_fixed_size 65536
		.amdhsa_private_segment_fixed_size 0
		.amdhsa_kernarg_size 64
		.amdhsa_user_sgpr_count 2
		.amdhsa_user_sgpr_dispatch_ptr 0
		.amdhsa_user_sgpr_queue_ptr 0
		.amdhsa_user_sgpr_kernarg_segment_ptr 1
		.amdhsa_user_sgpr_dispatch_id 0
		.amdhsa_user_sgpr_kernarg_preload_length 0
		.amdhsa_user_sgpr_kernarg_preload_offset 0
		.amdhsa_user_sgpr_private_segment_size 0
		.amdhsa_uses_dynamic_stack 0
		.amdhsa_enable_private_segment 0
		.amdhsa_system_sgpr_workgroup_id_x 1
		.amdhsa_system_sgpr_workgroup_id_y 0
		.amdhsa_system_sgpr_workgroup_id_z 0
		.amdhsa_system_sgpr_workgroup_info 0
		.amdhsa_system_vgpr_workitem_id 1
		.amdhsa_next_free_vgpr 83
		.amdhsa_next_free_sgpr 52
		.amdhsa_accum_offset 84
		.amdhsa_reserve_vcc 1
		.amdhsa_float_round_mode_32 0
		.amdhsa_float_round_mode_16_64 0
		.amdhsa_float_denorm_mode_32 3
		.amdhsa_float_denorm_mode_16_64 3
		.amdhsa_dx10_clamp 1
		.amdhsa_ieee_mode 1
		.amdhsa_fp16_overflow 0
		.amdhsa_tg_split 0
		.amdhsa_exception_fp_ieee_invalid_op 0
		.amdhsa_exception_fp_denorm_src 0
		.amdhsa_exception_fp_ieee_div_zero 0
		.amdhsa_exception_fp_ieee_overflow 0
		.amdhsa_exception_fp_ieee_underflow 0
		.amdhsa_exception_fp_ieee_inexact 0
		.amdhsa_exception_int_div_zero 0
	.end_amdhsa_kernel
	.section	.text._Z16wvSplitK_hf_big_I14__hip_bfloat16Li64ELi3ELi16ELi8ELi2ELi2EEviiiiiiPKT_S3_S3_PS1_ii,"axG",@progbits,_Z16wvSplitK_hf_big_I14__hip_bfloat16Li64ELi3ELi16ELi8ELi2ELi2EEviiiiiiPKT_S3_S3_PS1_ii,comdat
.Lfunc_end211:
	.size	_Z16wvSplitK_hf_big_I14__hip_bfloat16Li64ELi3ELi16ELi8ELi2ELi2EEviiiiiiPKT_S3_S3_PS1_ii, .Lfunc_end211-_Z16wvSplitK_hf_big_I14__hip_bfloat16Li64ELi3ELi16ELi8ELi2ELi2EEviiiiiiPKT_S3_S3_PS1_ii
                                        ; -- End function
	.section	.AMDGPU.csdata,"",@progbits
; Kernel info:
; codeLenInByte = 3840
; NumSgprs: 58
; NumVgprs: 83
; NumAgprs: 0
; TotalNumVgprs: 83
; ScratchSize: 0
; MemoryBound: 0
; FloatMode: 240
; IeeeMode: 1
; LDSByteSize: 65536 bytes/workgroup (compile time only)
; SGPRBlocks: 7
; VGPRBlocks: 10
; NumSGPRsForWavesPerEU: 58
; NumVGPRsForWavesPerEU: 83
; AccumOffset: 84
; Occupancy: 4
; WaveLimiterHint : 0
; COMPUTE_PGM_RSRC2:SCRATCH_EN: 0
; COMPUTE_PGM_RSRC2:USER_SGPR: 2
; COMPUTE_PGM_RSRC2:TRAP_HANDLER: 0
; COMPUTE_PGM_RSRC2:TGID_X_EN: 1
; COMPUTE_PGM_RSRC2:TGID_Y_EN: 0
; COMPUTE_PGM_RSRC2:TGID_Z_EN: 0
; COMPUTE_PGM_RSRC2:TIDIG_COMP_CNT: 1
; COMPUTE_PGM_RSRC3_GFX90A:ACCUM_OFFSET: 20
; COMPUTE_PGM_RSRC3_GFX90A:TG_SPLIT: 0
	.section	.text._Z16wvSplitK_hf_sml_I14__hip_bfloat16Li64ELi4ELi16ELi8ELi1ELi2EEviiiiiiPKT_S3_S3_PS1_ii,"axG",@progbits,_Z16wvSplitK_hf_sml_I14__hip_bfloat16Li64ELi4ELi16ELi8ELi1ELi2EEviiiiiiPKT_S3_S3_PS1_ii,comdat
	.protected	_Z16wvSplitK_hf_sml_I14__hip_bfloat16Li64ELi4ELi16ELi8ELi1ELi2EEviiiiiiPKT_S3_S3_PS1_ii ; -- Begin function _Z16wvSplitK_hf_sml_I14__hip_bfloat16Li64ELi4ELi16ELi8ELi1ELi2EEviiiiiiPKT_S3_S3_PS1_ii
	.globl	_Z16wvSplitK_hf_sml_I14__hip_bfloat16Li64ELi4ELi16ELi8ELi1ELi2EEviiiiiiPKT_S3_S3_PS1_ii
	.p2align	8
	.type	_Z16wvSplitK_hf_sml_I14__hip_bfloat16Li64ELi4ELi16ELi8ELi1ELi2EEviiiiiiPKT_S3_S3_PS1_ii,@function
_Z16wvSplitK_hf_sml_I14__hip_bfloat16Li64ELi4ELi16ELi8ELi1ELi2EEviiiiiiPKT_S3_S3_PS1_ii: ; @_Z16wvSplitK_hf_sml_I14__hip_bfloat16Li64ELi4ELi16ELi8ELi1ELi2EEviiiiiiPKT_S3_S3_PS1_ii
; %bb.0:
	s_load_dwordx4 s[4:7], s[0:1], 0x0
	s_load_dwordx2 s[8:9], s[0:1], 0x10
	s_load_dwordx2 s[10:11], s[0:1], 0x28
	v_and_b32_e32 v2, 0x3ff, v0
	v_bfe_u32 v3, v0, 10, 10
	v_lshlrev_b32_e32 v68, 3, v2
	s_waitcnt lgkmcnt(0)
	s_lshl_b32 s6, s6, 1
	v_lshl_add_u32 v4, v3, 9, v68
	s_min_u32 s3, s6, 0x8000
	v_cmp_gt_u32_e32 vcc, s3, v4
	s_and_saveexec_b64 s[12:13], vcc
	s_cbranch_execz .LBB212_3
; %bb.1:
	s_load_dwordx2 s[14:15], s[0:1], 0x20
	v_mov_b32_e32 v7, 0
	v_lshlrev_b32_e32 v6, 10, v3
	v_lshlrev_b32_e32 v8, 4, v2
	v_mov_b32_e32 v9, v7
	v_lshl_add_u64 v[0:1], v[6:7], 0, v[8:9]
	s_waitcnt lgkmcnt(0)
	v_lshl_add_u64 v[0:1], s[14:15], 0, v[0:1]
	v_add_u32_e32 v5, v6, v8
	s_mov_b64 s[14:15], 0
	s_mov_b64 s[16:17], 0x4000
.LBB212_2:                              ; =>This Inner Loop Header: Depth=1
	global_load_dwordx4 v[6:9], v[0:1], off
	v_add_u32_e32 v4, 0x2000, v4
	v_cmp_le_u32_e32 vcc, s3, v4
	v_lshl_add_u64 v[0:1], v[0:1], 0, s[16:17]
	s_or_b64 s[14:15], vcc, s[14:15]
	s_waitcnt vmcnt(0)
	ds_write_b128 v5, v[6:9]
	v_add_u32_e32 v5, 0x4000, v5
	s_andn2_b64 exec, exec, s[14:15]
	s_cbranch_execnz .LBB212_2
.LBB212_3:
	s_or_b64 exec, exec, s[12:13]
	s_load_dwordx2 s[16:17], s[0:1], 0x38
	s_waitcnt lgkmcnt(0)
	s_barrier
	v_cmp_gt_u32_e32 vcc, s16, v3
	s_and_saveexec_b64 s[12:13], vcc
	s_cbranch_execz .LBB212_48
; %bb.4:
	s_mul_i32 s2, s2, s16
	v_add_lshl_u32 v56, s2, v3, 2
	v_cmp_gt_u32_e32 vcc, s7, v56
	s_and_b64 exec, exec, vcc
	s_cbranch_execz .LBB212_48
; %bb.5:
	v_cvt_f32_u32_e32 v0, s8
	s_cmp_lg_u32 s4, 0
	s_cselect_b64 s[2:3], -1, 0
	s_add_i32 s24, s4, -8
	v_rcp_iflag_f32_e32 v0, v0
	s_add_i32 s25, s7, -1
	s_mul_i32 s20, s16, s17
	s_cmp_lg_u64 s[10:11], 0
	v_mul_f32_e32 v0, 0x4f7ffffe, v0
	v_cvt_u32_f32_e32 v0, v0
	s_cselect_b64 s[18:19], -1, 0
	s_lshl_b32 s26, s20, 2
	s_sub_i32 s20, 0, s8
	s_abs_i32 s9, s9
	v_mul_lo_u32 v1, s20, v0
	s_sub_i32 s20, 1, s9
	s_cmp_lt_u32 s9, 2
	s_load_dwordx2 s[12:13], s[0:1], 0x18
	s_load_dwordx2 s[14:15], s[0:1], 0x30
	s_cselect_b32 s20, s20, 1
	s_sub_i32 s21, s20, s9
	v_mul_hi_u32 v1, v0, v1
	s_cmp_ge_u32 s20, s9
	v_add_u32_e32 v69, v0, v1
	s_cselect_b32 s9, s21, s20
	v_cndmask_b32_e64 v0, 0, 1, s[2:3]
	v_cmp_eq_u32_e64 s[0:1], 63, v2
	s_mov_b64 s[16:17], 0
	v_mov_b32_e32 v59, 0
	s_mul_i32 s9, s9, s8
	v_lshlrev_b32_e32 v70, 4, v2
	v_cmp_ne_u32_e64 s[2:3], 1, v0
	s_mov_b32 s27, 0x7f800000
	s_movk_i32 s28, 0x7fff
	s_branch .LBB212_8
.LBB212_6:                              ;   in Loop: Header=BB212_8 Depth=1
	s_or_b64 exec, exec, s[22:23]
	v_add_u32_e32 v58, 3, v58
	v_lshl_add_u64 v[2:3], v[58:59], 1, s[14:15]
	global_store_short_d16_hi v[2:3], v0, off
.LBB212_7:                              ;   in Loop: Header=BB212_8 Depth=1
	s_or_b64 exec, exec, s[20:21]
	v_add_u32_e32 v56, s26, v56
	v_cmp_le_u32_e32 vcc, s7, v56
	s_or_b64 s[16:17], vcc, s[16:17]
	s_andn2_b64 exec, exec, s[16:17]
	s_cbranch_execz .LBB212_48
.LBB212_8:                              ; =>This Loop Header: Depth=1
                                        ;     Child Loop BB212_11 Depth 2
	s_and_b64 vcc, exec, s[2:3]
	v_mov_b32_e32 v7, v59
	v_mov_b32_e32 v6, v59
	;; [unrolled: 1-line block ×32, first 2 shown]
	s_cbranch_vccnz .LBB212_13
; %bb.9:                                ;   in Loop: Header=BB212_8 Depth=1
	v_min_u32_e32 v0, s25, v56
	v_mul_lo_u32 v60, v0, s5
	v_or_b32_e32 v0, 1, v56
	v_min_u32_e32 v0, s25, v0
	v_mul_lo_u32 v62, v0, s5
	v_or_b32_e32 v0, 2, v56
	;; [unrolled: 3-line block ×3, first 2 shown]
	v_min_u32_e32 v0, s25, v0
	v_mov_b32_e32 v16, 0
	v_mov_b32_e32 v61, v59
	v_mov_b32_e32 v63, v59
	v_mov_b32_e32 v65, v59
	v_mul_lo_u32 v66, v0, s5
	v_mov_b32_e32 v67, v59
	s_mov_b32 s22, 0
	v_mov_b32_e32 v57, v70
	v_mov_b32_e32 v17, v16
	;; [unrolled: 1-line block ×32, first 2 shown]
	s_branch .LBB212_11
.LBB212_10:                             ;   in Loop: Header=BB212_11 Depth=2
	s_or_b64 exec, exec, s[20:21]
	s_waitcnt vmcnt(3) lgkmcnt(1)
	v_mfma_f32_4x4x4_16b_bf16 v[28:31], v[52:53], v[44:45], v[28:31]
	s_addk_i32 s22, 0x200
	s_waitcnt vmcnt(2)
	v_mfma_f32_4x4x4_16b_bf16 v[24:27], v[52:53], v[40:41], v[24:27]
	v_add_u32_e32 v57, 0x400, v57
	s_waitcnt vmcnt(1)
	v_mfma_f32_4x4x4_16b_bf16 v[20:23], v[52:53], v[48:49], v[20:23]
	s_cmp_ge_u32 s22, s4
	s_waitcnt vmcnt(0)
	v_mfma_f32_4x4x4_16b_bf16 v[16:19], v[52:53], v[32:33], v[16:19]
	s_waitcnt lgkmcnt(0)
	v_mfma_f32_4x4x4_16b_bf16 v[12:15], v[36:37], v[44:45], v[12:15]
	v_mfma_f32_4x4x4_16b_bf16 v[8:11], v[36:37], v[40:41], v[8:11]
	;; [unrolled: 1-line block ×12, first 2 shown]
	s_cbranch_scc1 .LBB212_13
.LBB212_11:                             ;   Parent Loop BB212_8 Depth=1
                                        ; =>  This Inner Loop Header: Depth=2
	v_add_u32_e32 v38, s22, v68
	v_min_u32_e32 v58, s24, v38
	s_waitcnt lgkmcnt(0)
	v_lshl_add_u64 v[32:33], v[58:59], 1, s[12:13]
	v_lshl_add_u64 v[34:35], v[60:61], 1, v[32:33]
	v_lshl_add_u64 v[36:37], v[62:63], 1, v[32:33]
	global_load_dwordx4 v[44:47], v[34:35], off nt
	global_load_dwordx4 v[40:43], v[36:37], off nt
	v_lshl_add_u64 v[34:35], v[64:65], 1, v[32:33]
	v_lshl_add_u64 v[32:33], v[66:67], 1, v[32:33]
	global_load_dwordx4 v[48:51], v[34:35], off nt
	s_nop 0
	global_load_dwordx4 v[32:35], v[32:33], off nt
	v_cmp_gt_u32_e32 vcc, s4, v38
	v_mov_b32_e32 v38, 0
	v_mov_b32_e32 v39, 0
	;; [unrolled: 1-line block ×8, first 2 shown]
	s_and_saveexec_b64 s[20:21], vcc
	s_cbranch_execz .LBB212_10
; %bb.12:                               ;   in Loop: Header=BB212_11 Depth=2
	v_add_u32_e32 v36, s6, v57
	ds_read_b128 v[52:55], v57
	ds_read_b128 v[36:39], v36
	s_branch .LBB212_10
.LBB212_13:                             ;   in Loop: Header=BB212_8 Depth=1
	; sched_barrier mask(0x00000000)
	v_cvt_i32_f32_e32 v29, v29
	v_cvt_i32_f32_e32 v30, v30
	;; [unrolled: 1-line block ×4, first 2 shown]
	v_cvt_f32_i32_dpp v29, v29 row_shl:1 row_mask:0xf bank_mask:0xf bound_ctrl:1
	v_cvt_f32_i32_dpp v30, v30 row_shl:2 row_mask:0xf bank_mask:0xf bound_ctrl:1
	;; [unrolled: 1-line block ×3, first 2 shown]
	v_cvt_i32_f32_e32 v26, v26
	v_add_f32_e32 v28, v28, v29
	v_add_f32_e32 v28, v28, v30
	;; [unrolled: 1-line block ×3, first 2 shown]
	v_cvt_i32_f32_e32 v29, v28
	v_cvt_i32_f32_e32 v27, v27
	v_cvt_f32_i32_dpp v25, v25 row_shl:1 row_mask:0xf bank_mask:0xf bound_ctrl:1
	v_cvt_f32_i32_dpp v26, v26 row_shl:2 row_mask:0xf bank_mask:0xf bound_ctrl:1
	v_cvt_f32_i32_dpp v29, v29 row_shl:4 row_mask:0xf bank_mask:0xf bound_ctrl:1
	v_cvt_f32_i32_dpp v27, v27 row_shl:3 row_mask:0xf bank_mask:0xf bound_ctrl:1
	v_add_f32_e32 v24, v24, v25
	v_cvt_i32_f32_e32 v21, v21
	v_add_f32_e32 v28, v28, v29
	v_cvt_i32_f32_e32 v29, v28
	;; [unrolled: 2-line block ×3, first 2 shown]
	v_add_f32_e32 v24, v24, v27
	v_cvt_f32_i32_dpp v25, v29 row_shl:8 row_mask:0xf bank_mask:0xf bound_ctrl:1
	v_cvt_i32_f32_e32 v23, v23
	v_cvt_i32_f32_e32 v26, v24
	v_cvt_f32_i32_dpp v21, v21 row_shl:1 row_mask:0xf bank_mask:0xf bound_ctrl:1
	v_add_f32_e32 v25, v28, v25
	v_cvt_i32_f32_e32 v25, v25
	v_cvt_f32_i32_dpp v22, v22 row_shl:2 row_mask:0xf bank_mask:0xf bound_ctrl:1
	v_cvt_f32_i32_dpp v26, v26 row_shl:4 row_mask:0xf bank_mask:0xf bound_ctrl:1
	;; [unrolled: 1-line block ×3, first 2 shown]
	v_cvt_f32_i32_dpp v25, v25 row_shr:15 row_mask:0xf bank_mask:0xf bound_ctrl:1
	v_add_f32_e32 v20, v20, v21
	v_add_f32_e32 v20, v20, v22
	;; [unrolled: 1-line block ×4, first 2 shown]
	v_cvt_i32_f32_e32 v24, v21
	v_cvt_i32_f32_e32 v26, v25
	;; [unrolled: 1-line block ×4, first 2 shown]
	v_cvt_f32_i32_dpp v23, v24 row_shl:8 row_mask:0xf bank_mask:0xf bound_ctrl:1
	v_cvt_f32_i32_dpp v24, v26 row_bcast:15 row_mask:0xf bank_mask:0xf bound_ctrl:1
	v_cvt_f32_i32_dpp v26, v20 row_shl:4 row_mask:0xf bank_mask:0xf bound_ctrl:1
	v_cvt_i32_f32_e32 v18, v18
	v_add_f32_e32 v21, v21, v23
	v_cvt_i32_f32_e32 v19, v19
	v_add_f32_e32 v22, v22, v26
	v_cvt_i32_f32_e32 v23, v22
	v_cvt_f32_i32_dpp v17, v17 row_shl:1 row_mask:0xf bank_mask:0xf bound_ctrl:1
	v_cvt_f32_i32_dpp v18, v18 row_shl:2 row_mask:0xf bank_mask:0xf bound_ctrl:1
	;; [unrolled: 1-line block ×4, first 2 shown]
	v_add_f32_e32 v16, v16, v17
	v_add_f32_e32 v16, v16, v18
	;; [unrolled: 1-line block ×4, first 2 shown]
	v_cvt_i32_f32_e32 v21, v21
	v_cvt_i32_f32_e32 v17, v16
	;; [unrolled: 1-line block ×7, first 2 shown]
	v_add_f32_e32 v20, v25, v24
	v_cvt_i32_f32_e32 v15, v15
	v_cvt_f32_i32_dpp v18, v21 row_shr:15 row_mask:0xf bank_mask:0xf bound_ctrl:1
	v_cvt_f32_i32_dpp v17, v17 row_shl:4 row_mask:0xf bank_mask:0xf bound_ctrl:1
	v_cvt_i32_f32_e32 v21, v20
	v_cvt_f32_i32_dpp v19, v19 row_shr:15 row_mask:0xf bank_mask:0xf bound_ctrl:1
	v_cvt_f32_i32_dpp v1, v1 row_shl:1 row_mask:0xf bank_mask:0xf bound_ctrl:1
	v_cvt_f32_i32_dpp v13, v13 row_shl:1 row_mask:0xf bank_mask:0xf bound_ctrl:1
	v_cvt_i32_f32_e32 v9, v9
	v_cvt_f32_i32_dpp v2, v2 row_shl:2 row_mask:0xf bank_mask:0xf bound_ctrl:1
	v_cvt_i32_f32_e32 v3, v3
	;; [unrolled: 2-line block ×4, first 2 shown]
	v_add_f32_e32 v23, v16, v17
	v_mov_b32_dpp v17, v21 row_bcast:31 row_mask:0xf bank_mask:0xf bound_ctrl:1
	v_cvt_i32_f32_e32 v21, v19
	v_add_f32_e32 v0, v0, v1
	v_add_f32_e32 v12, v12, v13
	v_cvt_f32_i32_dpp v9, v9 row_shl:1 row_mask:0xf bank_mask:0xf bound_ctrl:1
	v_add_f32_e32 v0, v0, v2
	v_cvt_f32_i32_dpp v1, v3 row_shl:3 row_mask:0xf bank_mask:0xf bound_ctrl:1
	v_cvt_i32_f32_e32 v2, v5
	v_add_f32_e32 v12, v12, v14
	v_cvt_f32_i32_dpp v10, v10 row_shl:2 row_mask:0xf bank_mask:0xf bound_ctrl:1
	v_cvt_i32_f32_e32 v3, v6
	;; [unrolled: 3-line block ×3, first 2 shown]
	v_cvt_f32_i32_dpp v21, v21 row_bcast:15 row_mask:0xf bank_mask:0xf bound_ctrl:1
	v_cvt_i32_f32_e32 v12, v15
	v_add_f32_e32 v8, v8, v9
	v_add_f32_e32 v0, v0, v1
	v_cvt_f32_i32_dpp v1, v2 row_shl:1 row_mask:0xf bank_mask:0xf bound_ctrl:1
	v_add_f32_e32 v8, v8, v10
	v_cvt_f32_i32_dpp v2, v3 row_shl:2 row_mask:0xf bank_mask:0xf bound_ctrl:1
	;; [unrolled: 2-line block ×4, first 2 shown]
	v_cvt_i32_f32_e32 v11, v9
	v_add_f32_e32 v1, v4, v1
	v_add_f32_e32 v1, v1, v2
	;; [unrolled: 1-line block ×4, first 2 shown]
	v_cvt_f32_i32_dpp v11, v11 row_shl:4 row_mask:0xf bank_mask:0xf bound_ctrl:1
	v_cvt_i32_f32_e32 v5, v0
	v_cvt_i32_f32_e32 v2, v1
	;; [unrolled: 1-line block ×3, first 2 shown]
	v_add_f32_e32 v9, v9, v11
	v_cvt_f32_i32_dpp v4, v5 row_shl:4 row_mask:0xf bank_mask:0xf bound_ctrl:1
	v_cvt_f32_i32_dpp v2, v2 row_shl:4 row_mask:0xf bank_mask:0xf bound_ctrl:1
	;; [unrolled: 1-line block ×3, first 2 shown]
	v_cvt_i32_f32_e32 v11, v9
	v_add_f32_e32 v0, v0, v4
	v_add_f32_e32 v1, v1, v2
	v_cvt_i32_f32_e32 v22, v18
	v_cvt_i32_f32_e32 v16, v23
	v_add_f32_e32 v15, v15, v19
	v_cvt_f32_i32_dpp v3, v11 row_shl:8 row_mask:0xf bank_mask:0xf bound_ctrl:1
	v_cvt_i32_f32_e32 v4, v0
	v_cvt_i32_f32_e32 v2, v1
	;; [unrolled: 1-line block ×3, first 2 shown]
	v_cvt_f32_i32_dpp v22, v22 row_bcast:15 row_mask:0xf bank_mask:0xf bound_ctrl:1
	v_cvt_f32_i32_dpp v24, v16 row_shl:8 row_mask:0xf bank_mask:0xf bound_ctrl:1
	v_add_f32_e32 v3, v9, v3
	v_cvt_f32_i32_dpp v4, v4 row_shl:8 row_mask:0xf bank_mask:0xf bound_ctrl:1
	v_cvt_f32_i32_dpp v2, v2 row_shl:8 row_mask:0xf bank_mask:0xf bound_ctrl:1
	v_cvt_f32_i32_dpp v5, v15 row_shr:15 row_mask:0xf bank_mask:0xf bound_ctrl:1
	v_cvt_i32_f32_e32 v3, v3
	v_add_f32_e32 v16, v18, v22
	v_add_f32_e32 v22, v23, v24
	;; [unrolled: 1-line block ×4, first 2 shown]
	v_cvt_i32_f32_e32 v22, v22
	v_cvt_i32_f32_e32 v6, v5
	v_cvt_f32_i32_dpp v3, v3 row_shr:15 row_mask:0xf bank_mask:0xf bound_ctrl:1
	v_cvt_i32_f32_e32 v0, v0
	v_cvt_i32_f32_e32 v1, v1
	v_cvt_f32_i32_dpp v22, v22 row_shr:15 row_mask:0xf bank_mask:0xf bound_ctrl:1
	v_cvt_f32_i32_dpp v2, v6 row_bcast:15 row_mask:0xf bank_mask:0xf bound_ctrl:1
	v_cvt_f32_i32_dpp v0, v0 row_shr:15 row_mask:0xf bank_mask:0xf bound_ctrl:1
	v_cvt_i32_f32_e32 v4, v3
	v_cvt_f32_i32_dpp v1, v1 row_shr:15 row_mask:0xf bank_mask:0xf bound_ctrl:1
	v_cvt_i32_f32_e32 v18, v16
	v_cvt_i32_f32_e32 v23, v22
	v_add_f32_e32 v11, v5, v2
	v_cvt_i32_f32_e32 v2, v0
	v_cvt_f32_i32_dpp v4, v4 row_bcast:15 row_mask:0xf bank_mask:0xf bound_ctrl:1
	v_cvt_i32_f32_e32 v5, v1
	v_mov_b32_dpp v14, v18 row_bcast:31 row_mask:0xf bank_mask:0xf bound_ctrl:1
	v_cvt_f32_i32_dpp v18, v23 row_bcast:15 row_mask:0xf bank_mask:0xf bound_ctrl:1
	v_cvt_f32_i32_dpp v2, v2 row_bcast:15 row_mask:0xf bank_mask:0xf bound_ctrl:1
	v_add_f32_e32 v6, v3, v4
	v_cvt_f32_i32_dpp v3, v5 row_bcast:15 row_mask:0xf bank_mask:0xf bound_ctrl:1
	v_add_f32_e32 v12, v22, v18
	v_add_f32_e32 v4, v0, v2
	v_cvt_i32_f32_e32 v21, v13
	v_add_f32_e32 v2, v1, v3
	v_cvt_i32_f32_e32 v18, v12
	v_cvt_i32_f32_e32 v7, v11
	;; [unrolled: 1-line block ×5, first 2 shown]
	v_mov_b32_dpp v10, v21 row_bcast:31 row_mask:0xf bank_mask:0xf bound_ctrl:1
	v_mov_b32_dpp v8, v18 row_bcast:31 row_mask:0xf bank_mask:0xf bound_ctrl:1
	v_mov_b32_dpp v15, v7 row_bcast:31 row_mask:0xf bank_mask:0xf bound_ctrl:1
	v_mov_b32_dpp v7, v5 row_bcast:31 row_mask:0xf bank_mask:0xf bound_ctrl:1
	v_mov_b32_dpp v5, v0 row_bcast:31 row_mask:0xf bank_mask:0xf bound_ctrl:1
	v_mov_b32_dpp v3, v1 row_bcast:31 row_mask:0xf bank_mask:0xf bound_ctrl:1
	s_and_saveexec_b64 s[20:21], s[0:1]
	s_cbranch_execz .LBB212_7
; %bb.14:                               ;   in Loop: Header=BB212_8 Depth=1
	s_andn2_b64 vcc, exec, s[18:19]
	v_mov_b32_e32 v0, 0
	v_mov_b32_e32 v24, 0
	v_mov_b32_e32 v23, 0
	v_mov_b32_e32 v22, 0
	v_mov_b32_e32 v21, 0
	v_mov_b32_e32 v19, 0
	v_mov_b32_e32 v18, 0
	v_mov_b32_e32 v9, 0
	s_cbranch_vccnz .LBB212_16
; %bb.15:                               ;   in Loop: Header=BB212_8 Depth=1
	v_mul_hi_u32 v0, v56, v69
	v_mul_lo_u32 v0, v0, s8
	v_sub_u32_e32 v0, v56, v0
	v_subrev_u32_e32 v1, s8, v0
	v_cmp_le_u32_e32 vcc, s8, v0
	v_mov_b32_e32 v19, v59
	v_mov_b32_e32 v23, v59
	v_cndmask_b32_e32 v0, v0, v1, vcc
	v_subrev_u32_e32 v1, s8, v0
	v_cmp_le_u32_e32 vcc, s8, v0
	s_nop 1
	v_cndmask_b32_e32 v58, v0, v1, vcc
	v_or_b32_e32 v0, 1, v56
	v_mul_hi_u32 v1, v0, v69
	v_mul_lo_u32 v1, v1, s8
	v_sub_u32_e32 v0, v0, v1
	v_subrev_u32_e32 v1, s8, v0
	v_cmp_le_u32_e32 vcc, s8, v0
	v_lshl_add_u64 v[26:27], v[58:59], 1, s[10:11]
	v_add_u32_e32 v58, s9, v58
	v_cndmask_b32_e32 v0, v0, v1, vcc
	v_subrev_u32_e32 v1, s8, v0
	v_cmp_le_u32_e32 vcc, s8, v0
	v_lshl_add_u64 v[34:35], v[58:59], 1, s[10:11]
	s_nop 0
	v_cndmask_b32_e32 v0, v0, v1, vcc
	v_mov_b32_e32 v1, v59
	v_lshl_add_u64 v[28:29], v[0:1], 1, s[10:11]
	v_or_b32_e32 v1, 2, v56
	v_mul_hi_u32 v9, v1, v69
	v_mul_lo_u32 v9, v9, s8
	v_sub_u32_e32 v1, v1, v9
	v_subrev_u32_e32 v9, s8, v1
	v_cmp_le_u32_e32 vcc, s8, v1
	v_add_u32_e32 v58, s9, v0
	v_lshl_add_u64 v[36:37], v[58:59], 1, s[10:11]
	v_cndmask_b32_e32 v1, v1, v9, vcc
	v_subrev_u32_e32 v9, s8, v1
	v_cmp_le_u32_e32 vcc, s8, v1
	s_nop 1
	v_cndmask_b32_e32 v18, v1, v9, vcc
	v_or_b32_e32 v1, 3, v56
	v_mul_hi_u32 v9, v1, v69
	v_mul_lo_u32 v9, v9, s8
	v_sub_u32_e32 v1, v1, v9
	v_subrev_u32_e32 v9, s8, v1
	v_cmp_le_u32_e32 vcc, s8, v1
	v_add_u32_e32 v58, s9, v18
	v_lshl_add_u64 v[38:39], v[58:59], 1, s[10:11]
	v_cndmask_b32_e32 v1, v1, v9, vcc
	v_subrev_u32_e32 v9, s8, v1
	v_cmp_le_u32_e32 vcc, s8, v1
	v_lshl_add_u64 v[30:31], v[18:19], 1, s[10:11]
	s_nop 0
	v_cndmask_b32_e32 v22, v1, v9, vcc
	v_add_u32_e32 v58, s9, v22
	v_lshl_add_u64 v[32:33], v[22:23], 1, s[10:11]
	v_lshl_add_u64 v[40:41], v[58:59], 1, s[10:11]
	global_load_ushort v0, v[26:27], off
	global_load_ushort v24, v[28:29], off
	;; [unrolled: 1-line block ×8, first 2 shown]
.LBB212_16:                             ;   in Loop: Header=BB212_8 Depth=1
	v_cvt_f32_i32_e32 v1, v17
	s_waitcnt vmcnt(7)
	v_lshlrev_b32_e32 v0, 16, v0
                                        ; implicit-def: $vgpr17
	v_add_f32_e32 v1, v20, v1
	v_add_f32_e32 v0, v1, v0
	v_and_b32_e32 v1, 0x7f800000, v0
	v_cmp_ne_u32_e32 vcc, s27, v1
	s_and_saveexec_b64 s[22:23], vcc
	s_xor_b64 s[22:23], exec, s[22:23]
; %bb.17:                               ;   in Loop: Header=BB212_8 Depth=1
	v_bfe_u32 v1, v0, 16, 1
	v_add3_u32 v17, v0, v1, s28
                                        ; implicit-def: $vgpr0
; %bb.18:                               ;   in Loop: Header=BB212_8 Depth=1
	s_andn2_saveexec_b64 s[22:23], s[22:23]
; %bb.19:                               ;   in Loop: Header=BB212_8 Depth=1
	v_or_b32_e32 v1, 0x10000, v0
	v_cmp_eq_u32_sdwa vcc, v0, v59 src0_sel:WORD_0 src1_sel:DWORD
	s_nop 1
	v_cndmask_b32_e32 v17, v1, v0, vcc
; %bb.20:                               ;   in Loop: Header=BB212_8 Depth=1
	s_or_b64 exec, exec, s[22:23]
	v_cvt_f32_i32_e32 v14, v14
	v_mov_b32_e32 v57, v59
	s_waitcnt lgkmcnt(0)
	v_lshl_add_u64 v[0:1], v[56:57], 1, s[14:15]
	global_store_short_d16_hi v[0:1], v17, off
	v_add_f32_e32 v14, v16, v14
	s_waitcnt vmcnt(7)
	v_lshlrev_b32_e32 v16, 16, v24
	v_add_f32_e32 v14, v14, v16
	v_and_b32_e32 v16, 0x7f800000, v14
	v_cmp_ne_u32_e32 vcc, s27, v16
                                        ; implicit-def: $vgpr16
	s_and_saveexec_b64 s[22:23], vcc
	s_xor_b64 s[22:23], exec, s[22:23]
; %bb.21:                               ;   in Loop: Header=BB212_8 Depth=1
	v_bfe_u32 v16, v14, 16, 1
	v_add3_u32 v16, v14, v16, s28
                                        ; implicit-def: $vgpr14
; %bb.22:                               ;   in Loop: Header=BB212_8 Depth=1
	s_andn2_saveexec_b64 s[22:23], s[22:23]
; %bb.23:                               ;   in Loop: Header=BB212_8 Depth=1
	v_or_b32_e32 v16, 0x10000, v14
	v_cmp_eq_u32_sdwa vcc, v14, v59 src0_sel:WORD_0 src1_sel:DWORD
	s_nop 1
	v_cndmask_b32_e32 v16, v16, v14, vcc
; %bb.24:                               ;   in Loop: Header=BB212_8 Depth=1
	s_or_b64 exec, exec, s[22:23]
	v_cvt_f32_i32_e32 v10, v10
	global_store_short_d16_hi v[0:1], v16, off offset:2
	v_add_f32_e32 v10, v13, v10
	s_waitcnt vmcnt(7)
	v_lshlrev_b32_e32 v13, 16, v23
	v_add_f32_e32 v10, v10, v13
	v_and_b32_e32 v13, 0x7f800000, v10
	v_cmp_ne_u32_e32 vcc, s27, v13
                                        ; implicit-def: $vgpr13
	s_and_saveexec_b64 s[22:23], vcc
	s_xor_b64 s[22:23], exec, s[22:23]
; %bb.25:                               ;   in Loop: Header=BB212_8 Depth=1
	v_bfe_u32 v13, v10, 16, 1
	v_add3_u32 v13, v10, v13, s28
                                        ; implicit-def: $vgpr10
; %bb.26:                               ;   in Loop: Header=BB212_8 Depth=1
	s_andn2_saveexec_b64 s[22:23], s[22:23]
; %bb.27:                               ;   in Loop: Header=BB212_8 Depth=1
	v_or_b32_e32 v13, 0x10000, v10
	v_cmp_eq_u32_sdwa vcc, v10, v59 src0_sel:WORD_0 src1_sel:DWORD
	s_nop 1
	v_cndmask_b32_e32 v13, v13, v10, vcc
; %bb.28:                               ;   in Loop: Header=BB212_8 Depth=1
	s_or_b64 exec, exec, s[22:23]
	v_cvt_f32_i32_e32 v8, v8
	s_waitcnt vmcnt(6)
	v_lshlrev_b32_e32 v10, 16, v22
	global_store_short_d16_hi v[0:1], v13, off offset:4
	v_add_f32_e32 v8, v12, v8
	v_add_f32_e32 v8, v8, v10
	v_and_b32_e32 v10, 0x7f800000, v8
	v_cmp_ne_u32_e32 vcc, s27, v10
                                        ; implicit-def: $vgpr10
	s_and_saveexec_b64 s[22:23], vcc
	s_xor_b64 s[22:23], exec, s[22:23]
; %bb.29:                               ;   in Loop: Header=BB212_8 Depth=1
	v_bfe_u32 v10, v8, 16, 1
	v_add3_u32 v10, v8, v10, s28
                                        ; implicit-def: $vgpr8
; %bb.30:                               ;   in Loop: Header=BB212_8 Depth=1
	s_andn2_saveexec_b64 s[22:23], s[22:23]
; %bb.31:                               ;   in Loop: Header=BB212_8 Depth=1
	v_or_b32_e32 v10, 0x10000, v8
	v_cmp_eq_u32_sdwa vcc, v8, v59 src0_sel:WORD_0 src1_sel:DWORD
	s_nop 1
	v_cndmask_b32_e32 v10, v10, v8, vcc
; %bb.32:                               ;   in Loop: Header=BB212_8 Depth=1
	s_or_b64 exec, exec, s[22:23]
	v_cvt_f32_i32_e32 v8, v15
	global_store_short_d16_hi v[0:1], v10, off offset:6
	s_waitcnt vmcnt(7)
	v_lshlrev_b32_e32 v1, 16, v21
	v_add_f32_e32 v0, v11, v8
	v_add_f32_e32 v1, v0, v1
	v_and_b32_e32 v0, 0x7f800000, v1
	v_cmp_ne_u32_e32 vcc, s27, v0
                                        ; implicit-def: $vgpr0
	s_and_saveexec_b64 s[22:23], vcc
	s_xor_b64 s[22:23], exec, s[22:23]
; %bb.33:                               ;   in Loop: Header=BB212_8 Depth=1
	v_bfe_u32 v0, v1, 16, 1
	v_add3_u32 v0, v1, v0, s28
                                        ; implicit-def: $vgpr1
; %bb.34:                               ;   in Loop: Header=BB212_8 Depth=1
	s_andn2_saveexec_b64 s[22:23], s[22:23]
; %bb.35:                               ;   in Loop: Header=BB212_8 Depth=1
	v_or_b32_e32 v0, 0x10000, v1
	v_cmp_eq_u32_sdwa vcc, v1, v59 src0_sel:WORD_0 src1_sel:DWORD
	s_nop 1
	v_cndmask_b32_e32 v0, v0, v1, vcc
; %bb.36:                               ;   in Loop: Header=BB212_8 Depth=1
	s_or_b64 exec, exec, s[22:23]
	v_cvt_f32_i32_e32 v1, v7
	v_add_u32_e32 v58, s7, v56
	v_lshl_add_u64 v[10:11], v[58:59], 1, s[14:15]
	global_store_short_d16_hi v[10:11], v0, off
	v_add_f32_e32 v0, v6, v1
	s_waitcnt vmcnt(7)
	v_lshlrev_b32_e32 v1, 16, v19
	v_add_f32_e32 v1, v0, v1
	v_and_b32_e32 v0, 0x7f800000, v1
	v_cmp_ne_u32_e32 vcc, s27, v0
                                        ; implicit-def: $vgpr0
	s_and_saveexec_b64 s[22:23], vcc
	s_xor_b64 s[22:23], exec, s[22:23]
; %bb.37:                               ;   in Loop: Header=BB212_8 Depth=1
	v_bfe_u32 v0, v1, 16, 1
	v_add3_u32 v0, v1, v0, s28
                                        ; implicit-def: $vgpr1
; %bb.38:                               ;   in Loop: Header=BB212_8 Depth=1
	s_andn2_saveexec_b64 s[22:23], s[22:23]
; %bb.39:                               ;   in Loop: Header=BB212_8 Depth=1
	v_or_b32_e32 v0, 0x10000, v1
	v_cmp_eq_u32_sdwa vcc, v1, v59 src0_sel:WORD_0 src1_sel:DWORD
	s_nop 1
	v_cndmask_b32_e32 v0, v0, v1, vcc
; %bb.40:                               ;   in Loop: Header=BB212_8 Depth=1
	s_or_b64 exec, exec, s[22:23]
	v_cvt_f32_i32_e32 v1, v5
	v_add_u32_e32 v6, 1, v58
	v_mov_b32_e32 v7, v59
	v_lshl_add_u64 v[6:7], v[6:7], 1, s[14:15]
	v_add_f32_e32 v1, v4, v1
	global_store_short_d16_hi v[6:7], v0, off
	s_waitcnt vmcnt(7)
	v_lshlrev_b32_e32 v0, 16, v18
	v_add_f32_e32 v1, v1, v0
	v_and_b32_e32 v0, 0x7f800000, v1
	v_cmp_ne_u32_e32 vcc, s27, v0
                                        ; implicit-def: $vgpr0
	s_and_saveexec_b64 s[22:23], vcc
	s_xor_b64 s[22:23], exec, s[22:23]
; %bb.41:                               ;   in Loop: Header=BB212_8 Depth=1
	v_bfe_u32 v0, v1, 16, 1
	v_add3_u32 v0, v1, v0, s28
                                        ; implicit-def: $vgpr1
; %bb.42:                               ;   in Loop: Header=BB212_8 Depth=1
	s_andn2_saveexec_b64 s[22:23], s[22:23]
; %bb.43:                               ;   in Loop: Header=BB212_8 Depth=1
	v_or_b32_e32 v0, 0x10000, v1
	v_cmp_eq_u32_sdwa vcc, v1, v59 src0_sel:WORD_0 src1_sel:DWORD
	s_nop 1
	v_cndmask_b32_e32 v0, v0, v1, vcc
; %bb.44:                               ;   in Loop: Header=BB212_8 Depth=1
	s_or_b64 exec, exec, s[22:23]
	v_cvt_f32_i32_e32 v1, v3
	v_add_u32_e32 v4, 2, v58
	v_mov_b32_e32 v5, v59
	v_lshl_add_u64 v[4:5], v[4:5], 1, s[14:15]
	v_add_f32_e32 v1, v2, v1
	global_store_short_d16_hi v[4:5], v0, off
	s_waitcnt vmcnt(7)
	v_lshlrev_b32_e32 v0, 16, v9
	v_add_f32_e32 v1, v1, v0
	v_and_b32_e32 v0, 0x7f800000, v1
	v_cmp_ne_u32_e32 vcc, s27, v0
                                        ; implicit-def: $vgpr0
	s_and_saveexec_b64 s[22:23], vcc
	s_xor_b64 s[22:23], exec, s[22:23]
; %bb.45:                               ;   in Loop: Header=BB212_8 Depth=1
	v_bfe_u32 v0, v1, 16, 1
	v_add3_u32 v0, v1, v0, s28
                                        ; implicit-def: $vgpr1
; %bb.46:                               ;   in Loop: Header=BB212_8 Depth=1
	s_andn2_saveexec_b64 s[22:23], s[22:23]
	s_cbranch_execz .LBB212_6
; %bb.47:                               ;   in Loop: Header=BB212_8 Depth=1
	v_or_b32_e32 v0, 0x10000, v1
	v_cmp_eq_u32_sdwa vcc, v1, v59 src0_sel:WORD_0 src1_sel:DWORD
	s_nop 1
	v_cndmask_b32_e32 v0, v0, v1, vcc
	s_branch .LBB212_6
.LBB212_48:
	s_endpgm
	.section	.rodata,"a",@progbits
	.p2align	6, 0x0
	.amdhsa_kernel _Z16wvSplitK_hf_sml_I14__hip_bfloat16Li64ELi4ELi16ELi8ELi1ELi2EEviiiiiiPKT_S3_S3_PS1_ii
		.amdhsa_group_segment_fixed_size 65536
		.amdhsa_private_segment_fixed_size 0
		.amdhsa_kernarg_size 64
		.amdhsa_user_sgpr_count 2
		.amdhsa_user_sgpr_dispatch_ptr 0
		.amdhsa_user_sgpr_queue_ptr 0
		.amdhsa_user_sgpr_kernarg_segment_ptr 1
		.amdhsa_user_sgpr_dispatch_id 0
		.amdhsa_user_sgpr_kernarg_preload_length 0
		.amdhsa_user_sgpr_kernarg_preload_offset 0
		.amdhsa_user_sgpr_private_segment_size 0
		.amdhsa_uses_dynamic_stack 0
		.amdhsa_enable_private_segment 0
		.amdhsa_system_sgpr_workgroup_id_x 1
		.amdhsa_system_sgpr_workgroup_id_y 0
		.amdhsa_system_sgpr_workgroup_id_z 0
		.amdhsa_system_sgpr_workgroup_info 0
		.amdhsa_system_vgpr_workitem_id 1
		.amdhsa_next_free_vgpr 71
		.amdhsa_next_free_sgpr 29
		.amdhsa_accum_offset 72
		.amdhsa_reserve_vcc 1
		.amdhsa_float_round_mode_32 0
		.amdhsa_float_round_mode_16_64 0
		.amdhsa_float_denorm_mode_32 3
		.amdhsa_float_denorm_mode_16_64 3
		.amdhsa_dx10_clamp 1
		.amdhsa_ieee_mode 1
		.amdhsa_fp16_overflow 0
		.amdhsa_tg_split 0
		.amdhsa_exception_fp_ieee_invalid_op 0
		.amdhsa_exception_fp_denorm_src 0
		.amdhsa_exception_fp_ieee_div_zero 0
		.amdhsa_exception_fp_ieee_overflow 0
		.amdhsa_exception_fp_ieee_underflow 0
		.amdhsa_exception_fp_ieee_inexact 0
		.amdhsa_exception_int_div_zero 0
	.end_amdhsa_kernel
	.section	.text._Z16wvSplitK_hf_sml_I14__hip_bfloat16Li64ELi4ELi16ELi8ELi1ELi2EEviiiiiiPKT_S3_S3_PS1_ii,"axG",@progbits,_Z16wvSplitK_hf_sml_I14__hip_bfloat16Li64ELi4ELi16ELi8ELi1ELi2EEviiiiiiPKT_S3_S3_PS1_ii,comdat
.Lfunc_end212:
	.size	_Z16wvSplitK_hf_sml_I14__hip_bfloat16Li64ELi4ELi16ELi8ELi1ELi2EEviiiiiiPKT_S3_S3_PS1_ii, .Lfunc_end212-_Z16wvSplitK_hf_sml_I14__hip_bfloat16Li64ELi4ELi16ELi8ELi1ELi2EEviiiiiiPKT_S3_S3_PS1_ii
                                        ; -- End function
	.section	.AMDGPU.csdata,"",@progbits
; Kernel info:
; codeLenInByte = 3356
; NumSgprs: 35
; NumVgprs: 71
; NumAgprs: 0
; TotalNumVgprs: 71
; ScratchSize: 0
; MemoryBound: 0
; FloatMode: 240
; IeeeMode: 1
; LDSByteSize: 65536 bytes/workgroup (compile time only)
; SGPRBlocks: 4
; VGPRBlocks: 8
; NumSGPRsForWavesPerEU: 35
; NumVGPRsForWavesPerEU: 71
; AccumOffset: 72
; Occupancy: 4
; WaveLimiterHint : 0
; COMPUTE_PGM_RSRC2:SCRATCH_EN: 0
; COMPUTE_PGM_RSRC2:USER_SGPR: 2
; COMPUTE_PGM_RSRC2:TRAP_HANDLER: 0
; COMPUTE_PGM_RSRC2:TGID_X_EN: 1
; COMPUTE_PGM_RSRC2:TGID_Y_EN: 0
; COMPUTE_PGM_RSRC2:TGID_Z_EN: 0
; COMPUTE_PGM_RSRC2:TIDIG_COMP_CNT: 1
; COMPUTE_PGM_RSRC3_GFX90A:ACCUM_OFFSET: 17
; COMPUTE_PGM_RSRC3_GFX90A:TG_SPLIT: 0
	.section	.text._Z12wvSplitK_hf_I14__hip_bfloat16Li64ELi4ELi16ELi8ELi1ELi2EEviiiiiiPKT_S3_S3_PS1_ii,"axG",@progbits,_Z12wvSplitK_hf_I14__hip_bfloat16Li64ELi4ELi16ELi8ELi1ELi2EEviiiiiiPKT_S3_S3_PS1_ii,comdat
	.protected	_Z12wvSplitK_hf_I14__hip_bfloat16Li64ELi4ELi16ELi8ELi1ELi2EEviiiiiiPKT_S3_S3_PS1_ii ; -- Begin function _Z12wvSplitK_hf_I14__hip_bfloat16Li64ELi4ELi16ELi8ELi1ELi2EEviiiiiiPKT_S3_S3_PS1_ii
	.globl	_Z12wvSplitK_hf_I14__hip_bfloat16Li64ELi4ELi16ELi8ELi1ELi2EEviiiiiiPKT_S3_S3_PS1_ii
	.p2align	8
	.type	_Z12wvSplitK_hf_I14__hip_bfloat16Li64ELi4ELi16ELi8ELi1ELi2EEviiiiiiPKT_S3_S3_PS1_ii,@function
_Z12wvSplitK_hf_I14__hip_bfloat16Li64ELi4ELi16ELi8ELi1ELi2EEviiiiiiPKT_S3_S3_PS1_ii: ; @_Z12wvSplitK_hf_I14__hip_bfloat16Li64ELi4ELi16ELi8ELi1ELi2EEviiiiiiPKT_S3_S3_PS1_ii
; %bb.0:
	s_load_dwordx2 s[8:9], s[0:1], 0x38
	s_load_dwordx4 s[12:15], s[0:1], 0x0
	s_load_dwordx2 s[20:21], s[0:1], 0x10
	v_bfe_u32 v7, v0, 10, 10
	s_mov_b32 s4, 1
	s_waitcnt lgkmcnt(0)
	s_mul_i32 s2, s2, s8
	v_add_lshl_u32 v62, s2, v7, 2
	v_add_u32_e32 v1, 4, v62
	s_mov_b32 s5, s4
	v_cmp_gt_u32_e32 vcc, s15, v62
	v_cmp_le_u32_e64 s[2:3], s15, v1
	s_mov_b32 s6, s4
	s_mov_b32 s7, s4
	v_mov_b64_e32 v[2:3], s[4:5]
	s_and_b64 s[10:11], vcc, s[2:3]
	v_mov_b64_e32 v[4:5], s[6:7]
	s_and_saveexec_b64 s[2:3], s[10:11]
	s_cbranch_execz .LBB213_6
; %bb.1:
	s_add_i32 s22, s15, -4
	v_mov_b64_e32 v[2:3], s[4:5]
	v_cmp_ne_u32_e32 vcc, s22, v62
	v_mov_b64_e32 v[4:5], s[6:7]
	s_and_saveexec_b64 s[10:11], vcc
	s_cbranch_execz .LBB213_5
; %bb.2:
	v_subrev_u32_e32 v1, s22, v62
	v_cmp_lt_u32_e32 vcc, 1, v1
	s_mov_b64 s[16:17], 0
	s_mov_b64 s[18:19], 0
	v_cndmask_b32_e32 v6, 1, v1, vcc
	s_mov_b32 s5, s4
	s_mov_b32 s6, s4
	s_mov_b32 s7, s4
.LBB213_3:                              ; =>This Inner Loop Header: Depth=1
	s_cmp_lg_u32 s18, 3
	s_cselect_b32 s7, s7, 0
	s_cmp_lg_u32 s18, 2
	s_cselect_b32 s6, s6, 0
	s_cmp_lg_u32 s18, 1
	s_cselect_b32 s5, s5, 0
	s_cmp_lg_u32 s18, 0
	s_cselect_b32 s4, s4, 0
	s_add_u32 s18, s18, 1
	s_addc_u32 s19, s19, 0
	v_cmp_eq_u32_e32 vcc, s18, v6
	v_mov_b64_e32 v[2:3], s[4:5]
	s_or_b64 s[16:17], vcc, s[16:17]
	v_mov_b64_e32 v[4:5], s[6:7]
	s_andn2_b64 exec, exec, s[16:17]
	s_cbranch_execnz .LBB213_3
; %bb.4:
	s_or_b64 exec, exec, s[16:17]
	v_mov_b32_e32 v62, s22
.LBB213_5:
	s_or_b64 exec, exec, s[10:11]
.LBB213_6:
	s_or_b64 exec, exec, s[2:3]
	s_load_dwordx4 s[16:19], s[0:1], 0x20
	v_and_b32_e32 v6, 0x3ff, v0
	v_lshlrev_b32_e32 v80, 3, v6
	s_lshl_b32 s33, s14, 1
	v_lshl_add_u32 v8, v7, 9, v80
	s_min_u32 s10, s33, 0x8000
	v_cmp_gt_u32_e32 vcc, s10, v8
	s_and_saveexec_b64 s[2:3], vcc
	s_cbranch_execz .LBB213_9
; %bb.7:
	v_mov_b32_e32 v11, 0
	v_lshlrev_b32_e32 v10, 10, v7
	v_lshlrev_b32_e32 v12, 4, v6
	v_mov_b32_e32 v13, v11
	v_lshl_add_u64 v[0:1], v[10:11], 0, v[12:13]
	s_waitcnt lgkmcnt(0)
	v_lshl_add_u64 v[0:1], s[16:17], 0, v[0:1]
	v_add_u32_e32 v9, v10, v12
	s_mov_b64 s[4:5], 0
	s_mov_b64 s[6:7], 0x4000
.LBB213_8:                              ; =>This Inner Loop Header: Depth=1
	global_load_dwordx4 v[10:13], v[0:1], off
	v_add_u32_e32 v8, 0x2000, v8
	v_cmp_le_u32_e32 vcc, s10, v8
	v_lshl_add_u64 v[0:1], v[0:1], 0, s[6:7]
	s_or_b64 s[4:5], vcc, s[4:5]
	s_waitcnt vmcnt(0)
	ds_write_b128 v9, v[10:13]
	v_add_u32_e32 v9, 0x4000, v9
	s_andn2_b64 exec, exec, s[4:5]
	s_cbranch_execnz .LBB213_8
.LBB213_9:
	s_or_b64 exec, exec, s[2:3]
	v_cmp_gt_u32_e32 vcc, s8, v7
	v_cmp_gt_u32_e64 s[2:3], s15, v62
	s_and_b64 s[2:3], vcc, s[2:3]
	s_waitcnt lgkmcnt(0)
	s_barrier
	s_and_saveexec_b64 s[4:5], s[2:3]
	s_cbranch_execz .LBB213_82
; %bb.10:
	v_cvt_f32_u32_e32 v0, s20
	s_cmp_lg_u32 s12, 0
	s_cselect_b64 s[2:3], -1, 0
	s_add_i32 s38, s12, -8
	v_rcp_iflag_f32_e32 v0, v0
	s_add_i32 s39, s15, -1
	s_mul_i32 s4, s8, s9
	s_cmp_lg_u64 s[18:19], 0
	v_mul_f32_e32 v0, 0x4f7ffffe, v0
	v_cvt_u32_f32_e32 v0, v0
	s_cselect_b64 s[28:29], -1, 0
	s_lshl_b32 s40, s4, 2
	s_sub_i32 s4, 0, s20
	v_mul_lo_u32 v1, s4, v0
	s_abs_i32 s4, s21
	s_add_i32 s41, s15, -4
	s_sub_i32 s5, 1, s4
	s_cmp_lt_u32 s4, 2
	s_load_dwordx2 s[22:23], s[0:1], 0x18
	s_load_dwordx2 s[24:25], s[0:1], 0x30
	s_cselect_b32 s5, s5, 1
	s_sub_i32 s6, s5, s4
	v_mul_hi_u32 v1, v0, v1
	s_cmp_ge_u32 s5, s4
	v_add_u32_e32 v81, v0, v1
	s_cselect_b32 s21, s6, s5
	v_cndmask_b32_e64 v0, 0, 1, s[2:3]
	v_cmp_eq_u32_e64 s[0:1], 63, v6
	s_mov_b64 s[26:27], 0
	v_mov_b32_e32 v1, 0
	s_mul_i32 s21, s21, s20
	v_lshlrev_b32_e32 v82, 4, v6
	v_add_u32_e32 v83, s14, v80
	v_cmp_ne_u32_e64 s[2:3], 1, v0
	s_movk_i32 s14, 0x7fff
	s_mov_b32 s42, 0x7f800000
	s_branch .LBB213_13
.LBB213_11:                             ;   in Loop: Header=BB213_13 Depth=1
	s_or_b64 exec, exec, s[8:9]
	v_mov_b32_e32 v62, s41
.LBB213_12:                             ;   in Loop: Header=BB213_13 Depth=1
	s_or_b64 exec, exec, s[6:7]
	v_cmp_le_u32_e32 vcc, s15, v62
	s_or_b64 s[26:27], vcc, s[26:27]
	s_andn2_b64 exec, exec, s[26:27]
	s_cbranch_execz .LBB213_82
.LBB213_13:                             ; =>This Loop Header: Depth=1
                                        ;     Child Loop BB213_17 Depth 2
                                        ;     Child Loop BB213_80 Depth 2
	s_and_b64 vcc, exec, s[2:3]
	v_add_u32_e32 v68, 1, v62
	v_add_u32_e32 v66, 2, v62
	;; [unrolled: 1-line block ×3, first 2 shown]
	v_mov_b32_e32 v13, v1
	v_mov_b32_e32 v12, v1
	s_waitcnt vmcnt(0)
	v_mov_b32_e32 v11, v1
	v_mov_b32_e32 v10, v1
	v_mov_b32_e32 v9, v1
	v_mov_b32_e32 v8, v1
	v_mov_b32_e32 v7, v1
	v_mov_b32_e32 v6, v1
	v_mov_b32_e32 v17, v1
	v_mov_b32_e32 v16, v1
	v_mov_b32_e32 v15, v1
	v_mov_b32_e32 v14, v1
	v_mov_b32_e32 v21, v1
	v_mov_b32_e32 v20, v1
	v_mov_b32_e32 v19, v1
	v_mov_b32_e32 v18, v1
	v_mov_b32_e32 v37, v1
	v_mov_b32_e32 v36, v1
	v_mov_b32_e32 v35, v1
	v_mov_b32_e32 v34, v1
	v_mov_b32_e32 v33, v1
	v_mov_b32_e32 v32, v1
	v_mov_b32_e32 v31, v1
	v_mov_b32_e32 v30, v1
	v_mov_b32_e32 v29, v1
	v_mov_b32_e32 v28, v1
	v_mov_b32_e32 v27, v1
	v_mov_b32_e32 v26, v1
	v_mov_b32_e32 v25, v1
	v_mov_b32_e32 v24, v1
	v_mov_b32_e32 v23, v1
	v_mov_b32_e32 v22, v1
	s_cbranch_vccnz .LBB213_26
; %bb.14:                               ;   in Loop: Header=BB213_13 Depth=1
	v_min_u32_e32 v0, s39, v62
	v_mul_lo_u32 v70, v0, s13
	v_min_u32_e32 v0, s39, v68
	v_mul_lo_u32 v72, v0, s13
	;; [unrolled: 2-line block ×3, first 2 shown]
	v_min_u32_e32 v0, s39, v64
	v_mov_b32_e32 v22, 0
	v_mov_b32_e32 v71, v1
	;; [unrolled: 1-line block ×4, first 2 shown]
	v_mul_lo_u32 v76, v0, s13
	v_mov_b32_e32 v77, v1
	s_mov_b32 s4, 0
	v_mov_b32_e32 v63, v82
	s_mov_b32 s10, 0
	v_mov_b32_e32 v23, v22
	v_mov_b32_e32 v24, v22
	;; [unrolled: 1-line block ×31, first 2 shown]
	s_branch .LBB213_17
.LBB213_15:                             ;   in Loop: Header=BB213_17 Depth=2
	s_or_b64 exec, exec, s[8:9]
.LBB213_16:                             ;   in Loop: Header=BB213_17 Depth=2
	s_or_b64 exec, exec, s[6:7]
	s_waitcnt vmcnt(0) lgkmcnt(0)
	v_mfma_f32_4x4x4_16b_bf16 v[34:37], v[54:55], v[46:47], v[34:37]
	s_addk_i32 s10, 0x200
	v_mfma_f32_4x4x4_16b_bf16 v[30:33], v[54:55], v[42:43], v[30:33]
	v_add_u32_e32 v63, 0x400, v63
	v_mfma_f32_4x4x4_16b_bf16 v[26:29], v[54:55], v[50:51], v[26:29]
	s_cmp_ge_u32 s10, s12
	v_mfma_f32_4x4x4_16b_bf16 v[22:25], v[54:55], v[38:39], v[22:25]
	v_mfma_f32_4x4x4_16b_bf16 v[18:21], v[58:59], v[46:47], v[18:21]
	;; [unrolled: 1-line block ×13, first 2 shown]
	s_cbranch_scc1 .LBB213_26
.LBB213_17:                             ;   Parent Loop BB213_13 Depth=1
                                        ; =>  This Inner Loop Header: Depth=2
	v_add_u32_e32 v78, s10, v80
	v_min_u32_e32 v0, s38, v78
	s_waitcnt lgkmcnt(0)
	v_lshl_add_u64 v[38:39], v[0:1], 1, s[22:23]
	v_lshl_add_u64 v[40:41], v[70:71], 1, v[38:39]
	;; [unrolled: 1-line block ×3, first 2 shown]
	global_load_dwordx4 v[46:49], v[40:41], off nt
	s_nop 0
	global_load_dwordx4 v[42:45], v[42:43], off nt
	v_lshl_add_u64 v[40:41], v[74:75], 1, v[38:39]
	v_lshl_add_u64 v[38:39], v[76:77], 1, v[38:39]
	global_load_dwordx4 v[50:53], v[40:41], off nt
	s_nop 0
	global_load_dwordx4 v[38:41], v[38:39], off nt
	s_mov_b32 s5, s4
	v_cmp_gt_u32_e32 vcc, s12, v78
	v_mov_b64_e32 v[54:55], s[4:5]
	v_mov_b32_e32 v59, 0
	v_mov_b32_e32 v58, 0
	;; [unrolled: 1-line block ×4, first 2 shown]
	v_mov_b64_e32 v[56:57], s[4:5]
	s_and_saveexec_b64 s[6:7], vcc
	s_cbranch_execz .LBB213_16
; %bb.18:                               ;   in Loop: Header=BB213_17 Depth=2
	v_cmp_lt_u32_e32 vcc, s14, v78
                                        ; implicit-def: $vgpr54_vgpr55
	s_and_saveexec_b64 s[8:9], vcc
	s_xor_b64 s[8:9], exec, s[8:9]
	s_cbranch_execz .LBB213_20
; %bb.19:                               ;   in Loop: Header=BB213_17 Depth=2
	v_mov_b32_e32 v79, v1
	v_lshl_add_u64 v[54:55], v[78:79], 1, s[16:17]
	global_load_dwordx4 v[54:57], v[54:55], off
.LBB213_20:                             ;   in Loop: Header=BB213_17 Depth=2
	s_andn2_saveexec_b64 s[8:9], s[8:9]
	s_cbranch_execz .LBB213_22
; %bb.21:                               ;   in Loop: Header=BB213_17 Depth=2
	s_waitcnt vmcnt(0)
	ds_read_b128 v[54:57], v63
.LBB213_22:                             ;   in Loop: Header=BB213_17 Depth=2
	s_or_b64 exec, exec, s[8:9]
	v_add_u32_e32 v0, s10, v83
	v_cmp_lt_u32_e32 vcc, s14, v0
                                        ; implicit-def: $vgpr59
	s_and_saveexec_b64 s[8:9], vcc
	s_xor_b64 s[8:9], exec, s[8:9]
	s_cbranch_execz .LBB213_24
; %bb.23:                               ;   in Loop: Header=BB213_17 Depth=2
	v_lshl_add_u64 v[58:59], v[0:1], 1, s[16:17]
	global_load_dwordx4 v[58:61], v[58:59], off
.LBB213_24:                             ;   in Loop: Header=BB213_17 Depth=2
	s_andn2_saveexec_b64 s[8:9], s[8:9]
	s_cbranch_execz .LBB213_15
; %bb.25:                               ;   in Loop: Header=BB213_17 Depth=2
	v_add_u32_e32 v0, s33, v63
	s_waitcnt vmcnt(0)
	ds_read_b128 v[58:61], v0
	s_branch .LBB213_15
.LBB213_26:                             ;   in Loop: Header=BB213_13 Depth=1
	v_cvt_i32_f32_e32 v0, v35
	v_cvt_i32_f32_e32 v35, v36
	;; [unrolled: 1-line block ×4, first 2 shown]
	v_cvt_f32_i32_dpp v0, v0 row_shl:1 row_mask:0xf bank_mask:0xf bound_ctrl:1
	v_cvt_f32_i32_dpp v35, v35 row_shl:2 row_mask:0xf bank_mask:0xf bound_ctrl:1
	;; [unrolled: 1-line block ×3, first 2 shown]
	v_cvt_i32_f32_e32 v32, v32
	v_add_f32_e32 v0, v34, v0
	v_add_f32_e32 v0, v0, v35
	;; [unrolled: 1-line block ×3, first 2 shown]
	v_cvt_i32_f32_e32 v34, v0
	v_cvt_i32_f32_e32 v33, v33
	v_cvt_f32_i32_dpp v31, v31 row_shl:1 row_mask:0xf bank_mask:0xf bound_ctrl:1
	v_cvt_f32_i32_dpp v32, v32 row_shl:2 row_mask:0xf bank_mask:0xf bound_ctrl:1
	v_cvt_f32_i32_dpp v34, v34 row_shl:4 row_mask:0xf bank_mask:0xf bound_ctrl:1
	v_cvt_f32_i32_dpp v33, v33 row_shl:3 row_mask:0xf bank_mask:0xf bound_ctrl:1
	v_add_f32_e32 v30, v30, v31
	v_add_f32_e32 v30, v30, v32
	;; [unrolled: 1-line block ×3, first 2 shown]
	v_cvt_i32_f32_e32 v34, v0
	v_cvt_i32_f32_e32 v27, v27
	v_add_f32_e32 v30, v30, v33
	v_cvt_i32_f32_e32 v28, v28
	v_cvt_f32_i32_dpp v31, v34 row_shl:8 row_mask:0xf bank_mask:0xf bound_ctrl:1
	v_cvt_i32_f32_e32 v32, v30
	v_cvt_i32_f32_e32 v29, v29
	v_cvt_f32_i32_dpp v27, v27 row_shl:1 row_mask:0xf bank_mask:0xf bound_ctrl:1
	v_add_f32_e32 v0, v0, v31
	v_cvt_i32_f32_e32 v0, v0
	v_cvt_f32_i32_dpp v28, v28 row_shl:2 row_mask:0xf bank_mask:0xf bound_ctrl:1
	v_cvt_f32_i32_dpp v31, v32 row_shl:4 row_mask:0xf bank_mask:0xf bound_ctrl:1
	;; [unrolled: 1-line block ×3, first 2 shown]
	v_cvt_f32_i32_dpp v0, v0 row_shr:15 row_mask:0xf bank_mask:0xf bound_ctrl:1
	v_add_f32_e32 v26, v26, v27
	v_add_f32_e32 v27, v30, v31
	;; [unrolled: 1-line block ×3, first 2 shown]
	v_cvt_i32_f32_e32 v23, v23
	v_cvt_i32_f32_e32 v30, v27
	v_add_f32_e32 v28, v26, v29
	v_cvt_i32_f32_e32 v24, v24
	v_cvt_i32_f32_e32 v31, v0
	v_cvt_i32_f32_e32 v26, v28
	v_cvt_i32_f32_e32 v25, v25
	v_cvt_f32_i32_dpp v23, v23 row_shl:1 row_mask:0xf bank_mask:0xf bound_ctrl:1
	v_cvt_f32_i32_dpp v29, v30 row_shl:8 row_mask:0xf bank_mask:0xf bound_ctrl:1
	;; [unrolled: 1-line block ×3, first 2 shown]
	v_cvt_f32_i32_dpp v30, v31 row_bcast:15 row_mask:0xf bank_mask:0xf bound_ctrl:1
	v_cvt_f32_i32_dpp v31, v26 row_shl:4 row_mask:0xf bank_mask:0xf bound_ctrl:1
	v_cvt_f32_i32_dpp v25, v25 row_shl:3 row_mask:0xf bank_mask:0xf bound_ctrl:1
	v_add_f32_e32 v22, v22, v23
	v_add_f32_e32 v27, v27, v29
	;; [unrolled: 1-line block ×4, first 2 shown]
	v_cvt_i32_f32_e32 v0, v27
	v_add_f32_e32 v27, v28, v31
	v_add_f32_e32 v22, v22, v25
	v_cvt_i32_f32_e32 v28, v27
	v_cvt_i32_f32_e32 v23, v22
	v_cvt_f32_i32_dpp v0, v0 row_shr:15 row_mask:0xf bank_mask:0xf bound_ctrl:1
	v_cvt_i32_f32_e32 v7, v7
	v_cvt_f32_i32_dpp v28, v28 row_shl:8 row_mask:0xf bank_mask:0xf bound_ctrl:1
	v_cvt_f32_i32_dpp v23, v23 row_shl:4 row_mask:0xf bank_mask:0xf bound_ctrl:1
	v_cvt_i32_f32_e32 v19, v19
	v_cvt_i32_f32_e32 v8, v8
	v_add_f32_e32 v24, v27, v28
	v_add_f32_e32 v28, v22, v23
	v_cvt_i32_f32_e32 v27, v0
	v_cvt_i32_f32_e32 v22, v28
	;; [unrolled: 1-line block ×4, first 2 shown]
	v_cvt_f32_i32_dpp v27, v27 row_bcast:15 row_mask:0xf bank_mask:0xf bound_ctrl:1
	v_cvt_f32_i32_dpp v29, v22 row_shl:8 row_mask:0xf bank_mask:0xf bound_ctrl:1
	v_cvt_i32_f32_e32 v21, v21
	v_cvt_i32_f32_e32 v25, v26
	v_cvt_f32_i32_dpp v24, v24 row_shr:15 row_mask:0xf bank_mask:0xf bound_ctrl:1
	v_cvt_f32_i32_dpp v7, v7 row_shl:1 row_mask:0xf bank_mask:0xf bound_ctrl:1
	v_cvt_f32_i32_dpp v19, v19 row_shl:1 row_mask:0xf bank_mask:0xf bound_ctrl:1
	v_cvt_i32_f32_e32 v15, v15
	v_cvt_f32_i32_dpp v8, v8 row_shl:2 row_mask:0xf bank_mask:0xf bound_ctrl:1
	v_cvt_i32_f32_e32 v9, v9
	;; [unrolled: 2-line block ×3, first 2 shown]
	v_add_f32_e32 v22, v0, v27
	v_add_f32_e32 v27, v28, v29
	v_cvt_f32_i32_dpp v21, v21 row_shl:3 row_mask:0xf bank_mask:0xf bound_ctrl:1
	v_cvt_i32_f32_e32 v17, v17
	v_mov_b32_dpp v23, v25 row_bcast:31 row_mask:0xf bank_mask:0xf bound_ctrl:1
	v_cvt_i32_f32_e32 v25, v24
	v_cvt_i32_f32_e32 v27, v27
	v_add_f32_e32 v6, v6, v7
	v_add_f32_e32 v18, v18, v19
	v_cvt_f32_i32_dpp v15, v15 row_shl:1 row_mask:0xf bank_mask:0xf bound_ctrl:1
	v_add_f32_e32 v6, v6, v8
	v_cvt_f32_i32_dpp v7, v9 row_shl:3 row_mask:0xf bank_mask:0xf bound_ctrl:1
	v_cvt_i32_f32_e32 v8, v11
	v_add_f32_e32 v18, v18, v20
	v_cvt_f32_i32_dpp v16, v16 row_shl:2 row_mask:0xf bank_mask:0xf bound_ctrl:1
	v_cvt_i32_f32_e32 v9, v12
	;; [unrolled: 3-line block ×3, first 2 shown]
	v_cvt_f32_i32_dpp v25, v25 row_bcast:15 row_mask:0xf bank_mask:0xf bound_ctrl:1
	v_cvt_f32_i32_dpp v27, v27 row_shr:15 row_mask:0xf bank_mask:0xf bound_ctrl:1
	v_cvt_i32_f32_e32 v18, v21
	v_add_f32_e32 v14, v14, v15
	v_add_f32_e32 v6, v6, v7
	v_cvt_f32_i32_dpp v7, v8 row_shl:1 row_mask:0xf bank_mask:0xf bound_ctrl:1
	v_add_f32_e32 v14, v14, v16
	v_cvt_f32_i32_dpp v8, v9 row_shl:2 row_mask:0xf bank_mask:0xf bound_ctrl:1
	;; [unrolled: 2-line block ×3, first 2 shown]
	v_cvt_i32_f32_e32 v0, v22
	v_cvt_i32_f32_e32 v28, v27
	v_add_f32_e32 v19, v24, v25
	v_cvt_f32_i32_dpp v24, v18 row_shl:4 row_mask:0xf bank_mask:0xf bound_ctrl:1
	v_cvt_i32_f32_e32 v16, v15
	v_add_f32_e32 v7, v10, v7
	v_add_f32_e32 v7, v7, v8
	;; [unrolled: 1-line block ×3, first 2 shown]
	v_mov_b32_dpp v20, v0 row_bcast:31 row_mask:0xf bank_mask:0xf bound_ctrl:1
	v_cvt_f32_i32_dpp v0, v28 row_bcast:15 row_mask:0xf bank_mask:0xf bound_ctrl:1
	v_add_f32_e32 v21, v21, v24
	v_cvt_f32_i32_dpp v16, v16 row_shl:4 row_mask:0xf bank_mask:0xf bound_ctrl:1
	v_cvt_i32_f32_e32 v11, v6
	v_cvt_i32_f32_e32 v8, v7
	;; [unrolled: 1-line block ×3, first 2 shown]
	v_add_f32_e32 v18, v27, v0
	v_add_f32_e32 v15, v15, v16
	v_cvt_f32_i32_dpp v10, v11 row_shl:4 row_mask:0xf bank_mask:0xf bound_ctrl:1
	v_cvt_f32_i32_dpp v8, v8 row_shl:4 row_mask:0xf bank_mask:0xf bound_ctrl:1
	v_cvt_i32_f32_e32 v0, v18
	v_cvt_f32_i32_dpp v24, v24 row_shl:8 row_mask:0xf bank_mask:0xf bound_ctrl:1
	v_cvt_i32_f32_e32 v16, v15
	v_add_f32_e32 v6, v6, v10
	v_add_f32_e32 v7, v7, v8
	v_mov_b32_dpp v14, v0 row_bcast:31 row_mask:0xf bank_mask:0xf bound_ctrl:1
	v_add_f32_e32 v0, v21, v24
	v_cvt_f32_i32_dpp v9, v16 row_shl:8 row_mask:0xf bank_mask:0xf bound_ctrl:1
	v_cvt_i32_f32_e32 v10, v6
	v_cvt_i32_f32_e32 v8, v7
	;; [unrolled: 1-line block ×3, first 2 shown]
	v_add_f32_e32 v9, v15, v9
	v_cvt_f32_i32_dpp v10, v10 row_shl:8 row_mask:0xf bank_mask:0xf bound_ctrl:1
	v_cvt_f32_i32_dpp v8, v8 row_shl:8 row_mask:0xf bank_mask:0xf bound_ctrl:1
	v_cvt_f32_i32_dpp v0, v0 row_shr:15 row_mask:0xf bank_mask:0xf bound_ctrl:1
	v_cvt_i32_f32_e32 v9, v9
	v_add_f32_e32 v6, v6, v10
	v_add_f32_e32 v7, v7, v8
	v_cvt_i32_f32_e32 v11, v0
	v_cvt_f32_i32_dpp v9, v9 row_shr:15 row_mask:0xf bank_mask:0xf bound_ctrl:1
	v_cvt_i32_f32_e32 v6, v6
	v_cvt_i32_f32_e32 v7, v7
	v_cvt_f32_i32_dpp v8, v11 row_bcast:15 row_mask:0xf bank_mask:0xf bound_ctrl:1
	v_cvt_i32_f32_e32 v10, v9
	v_cvt_f32_i32_dpp v6, v6 row_shr:15 row_mask:0xf bank_mask:0xf bound_ctrl:1
	v_cvt_f32_i32_dpp v7, v7 row_shr:15 row_mask:0xf bank_mask:0xf bound_ctrl:1
	v_add_f32_e32 v13, v0, v8
	v_cvt_f32_i32_dpp v8, v10 row_bcast:15 row_mask:0xf bank_mask:0xf bound_ctrl:1
	v_cvt_i32_f32_e32 v0, v6
	v_cvt_i32_f32_e32 v11, v7
	;; [unrolled: 1-line block ×3, first 2 shown]
	v_add_f32_e32 v10, v9, v8
	v_cvt_f32_i32_dpp v0, v0 row_bcast:15 row_mask:0xf bank_mask:0xf bound_ctrl:1
	v_cvt_f32_i32_dpp v9, v11 row_bcast:15 row_mask:0xf bank_mask:0xf bound_ctrl:1
	v_cvt_i32_f32_e32 v12, v13
	v_cvt_i32_f32_e32 v11, v10
	v_add_f32_e32 v8, v6, v0
	v_add_f32_e32 v6, v7, v9
	v_cvt_i32_f32_e32 v0, v8
	v_cvt_i32_f32_e32 v7, v6
	v_mov_b32_dpp v17, v25 row_bcast:31 row_mask:0xf bank_mask:0xf bound_ctrl:1
	v_mov_b32_dpp v16, v12 row_bcast:31 row_mask:0xf bank_mask:0xf bound_ctrl:1
	;; [unrolled: 1-line block ×5, first 2 shown]
	s_and_saveexec_b64 s[30:31], s[0:1]
	s_cbranch_execz .LBB213_77
; %bb.27:                               ;   in Loop: Header=BB213_13 Depth=1
	s_andn2_b64 vcc, exec, s[28:29]
	v_mov_b32_e32 v28, 0
	v_mov_b32_e32 v27, 0
	;; [unrolled: 1-line block ×8, first 2 shown]
	s_cbranch_vccnz .LBB213_29
; %bb.28:                               ;   in Loop: Header=BB213_13 Depth=1
	v_mul_hi_u32 v0, v62, v81
	v_mul_lo_u32 v0, v0, s20
	v_sub_u32_e32 v0, v62, v0
	v_subrev_u32_e32 v11, s20, v0
	v_cmp_le_u32_e32 vcc, s20, v0
	v_mov_b32_e32 v25, v1
	v_mov_b32_e32 v29, v1
	v_cndmask_b32_e32 v0, v0, v11, vcc
	v_subrev_u32_e32 v11, s20, v0
	v_cmp_le_u32_e32 vcc, s20, v0
	v_mov_b32_e32 v37, v1
	s_nop 0
	v_cndmask_b32_e32 v0, v0, v11, vcc
	v_mul_hi_u32 v11, v68, v81
	v_mul_lo_u32 v11, v11, s20
	v_sub_u32_e32 v11, v68, v11
	v_subrev_u32_e32 v15, s20, v11
	v_cmp_le_u32_e32 vcc, s20, v11
	v_lshl_add_u64 v[30:31], v[0:1], 1, s[18:19]
	v_add_u32_e32 v0, s21, v0
	v_cndmask_b32_e32 v11, v11, v15, vcc
	v_subrev_u32_e32 v15, s20, v11
	v_cmp_le_u32_e32 vcc, s20, v11
	v_lshl_add_u64 v[40:41], v[0:1], 1, s[18:19]
	s_nop 0
	v_cndmask_b32_e32 v24, v11, v15, vcc
	v_mul_hi_u32 v11, v66, v81
	v_mul_lo_u32 v11, v11, s20
	v_sub_u32_e32 v11, v66, v11
	v_subrev_u32_e32 v15, s20, v11
	v_cmp_le_u32_e32 vcc, s20, v11
	v_add_u32_e32 v0, s21, v24
	v_lshl_add_u64 v[42:43], v[0:1], 1, s[18:19]
	v_cndmask_b32_e32 v11, v11, v15, vcc
	v_subrev_u32_e32 v15, s20, v11
	v_cmp_le_u32_e32 vcc, s20, v11
	v_lshl_add_u64 v[32:33], v[24:25], 1, s[18:19]
	s_nop 0
	v_cndmask_b32_e32 v28, v11, v15, vcc
	v_mul_hi_u32 v11, v64, v81
	v_mul_lo_u32 v11, v11, s20
	v_sub_u32_e32 v11, v64, v11
	v_subrev_u32_e32 v15, s20, v11
	v_cmp_le_u32_e32 vcc, s20, v11
	v_add_u32_e32 v0, s21, v28
	v_lshl_add_u64 v[44:45], v[0:1], 1, s[18:19]
	v_cndmask_b32_e32 v11, v11, v15, vcc
	v_subrev_u32_e32 v15, s20, v11
	v_cmp_le_u32_e32 vcc, s20, v11
	v_lshl_add_u64 v[34:35], v[28:29], 1, s[18:19]
	s_nop 0
	v_cndmask_b32_e32 v36, v11, v15, vcc
	v_add_u32_e32 v0, s21, v36
	v_lshl_add_u64 v[38:39], v[36:37], 1, s[18:19]
	v_lshl_add_u64 v[36:37], v[0:1], 1, s[18:19]
	global_load_ushort v28, v[30:31], off
	global_load_ushort v27, v[32:33], off
	;; [unrolled: 1-line block ×8, first 2 shown]
.LBB213_29:                             ;   in Loop: Header=BB213_13 Depth=1
	v_cmp_ne_u32_e32 vcc, 0, v2
	s_and_saveexec_b64 s[6:7], vcc
	s_cbranch_execnz .LBB213_37
; %bb.30:                               ;   in Loop: Header=BB213_13 Depth=1
	s_or_b64 exec, exec, s[6:7]
	v_cmp_ne_u32_e64 s[4:5], 0, v3
	s_and_saveexec_b64 s[8:9], s[4:5]
	s_cbranch_execnz .LBB213_42
.LBB213_31:                             ;   in Loop: Header=BB213_13 Depth=1
	s_or_b64 exec, exec, s[8:9]
	v_cmp_ne_u32_e64 s[6:7], 0, v4
	s_and_saveexec_b64 s[10:11], s[6:7]
	s_cbranch_execnz .LBB213_47
.LBB213_32:                             ;   in Loop: Header=BB213_13 Depth=1
	s_or_b64 exec, exec, s[10:11]
	v_cmp_ne_u32_e64 s[8:9], 0, v5
	s_and_saveexec_b64 s[34:35], s[8:9]
	s_cbranch_execnz .LBB213_52
.LBB213_33:                             ;   in Loop: Header=BB213_13 Depth=1
	s_or_b64 exec, exec, s[34:35]
	s_waitcnt vmcnt(4)
	v_add_u32_e32 v0, s15, v62
	s_and_saveexec_b64 s[10:11], vcc
	s_cbranch_execnz .LBB213_57
.LBB213_34:                             ;   in Loop: Header=BB213_13 Depth=1
	s_or_b64 exec, exec, s[10:11]
	s_and_saveexec_b64 s[10:11], s[4:5]
	s_cbranch_execnz .LBB213_62
.LBB213_35:                             ;   in Loop: Header=BB213_13 Depth=1
	s_or_b64 exec, exec, s[10:11]
	s_and_saveexec_b64 s[4:5], s[6:7]
	s_cbranch_execnz .LBB213_67
.LBB213_36:                             ;   in Loop: Header=BB213_13 Depth=1
	s_or_b64 exec, exec, s[4:5]
	s_and_b64 exec, exec, s[8:9]
	s_cbranch_execnz .LBB213_72
	s_branch .LBB213_77
.LBB213_37:                             ;   in Loop: Header=BB213_13 Depth=1
	v_cvt_f32_i32_e32 v23, v23
	v_add_f32_e32 v23, v26, v23
	s_waitcnt vmcnt(7)
	v_lshlrev_b32_e32 v26, 16, v28
	v_add_f32_e32 v26, v23, v26
	v_and_b32_e32 v23, 0x7f800000, v26
	v_cmp_ne_u32_e64 s[4:5], s42, v23
                                        ; implicit-def: $vgpr23
	s_and_saveexec_b64 s[8:9], s[4:5]
	s_xor_b64 s[4:5], exec, s[8:9]
; %bb.38:                               ;   in Loop: Header=BB213_13 Depth=1
	v_bfe_u32 v23, v26, 16, 1
	v_add3_u32 v23, v26, v23, s14
                                        ; implicit-def: $vgpr26
; %bb.39:                               ;   in Loop: Header=BB213_13 Depth=1
	s_andn2_saveexec_b64 s[8:9], s[4:5]
; %bb.40:                               ;   in Loop: Header=BB213_13 Depth=1
	v_or_b32_e32 v23, 0x10000, v26
	v_cmp_eq_u32_sdwa s[4:5], v26, v1 src0_sel:WORD_0 src1_sel:DWORD
	s_nop 1
	v_cndmask_b32_e64 v23, v23, v26, s[4:5]
; %bb.41:                               ;   in Loop: Header=BB213_13 Depth=1
	s_or_b64 exec, exec, s[8:9]
	v_mov_b32_e32 v63, v1
	s_waitcnt lgkmcnt(0)
	v_lshl_add_u64 v[28:29], v[62:63], 1, s[24:25]
	global_store_short_d16_hi v[28:29], v23, off
	s_or_b64 exec, exec, s[6:7]
	v_cmp_ne_u32_e64 s[4:5], 0, v3
	s_and_saveexec_b64 s[8:9], s[4:5]
	s_cbranch_execz .LBB213_31
.LBB213_42:                             ;   in Loop: Header=BB213_13 Depth=1
	v_cvt_f32_i32_e32 v20, v20
	v_add_f32_e32 v20, v22, v20
	s_waitcnt vmcnt(6)
	v_lshlrev_b32_e32 v22, 16, v27
	v_add_f32_e32 v22, v20, v22
	v_and_b32_e32 v20, 0x7f800000, v22
	v_cmp_ne_u32_e64 s[6:7], s42, v20
                                        ; implicit-def: $vgpr20
	s_and_saveexec_b64 s[10:11], s[6:7]
	s_xor_b64 s[6:7], exec, s[10:11]
; %bb.43:                               ;   in Loop: Header=BB213_13 Depth=1
	v_bfe_u32 v20, v22, 16, 1
	v_add3_u32 v20, v22, v20, s14
                                        ; implicit-def: $vgpr22
; %bb.44:                               ;   in Loop: Header=BB213_13 Depth=1
	s_andn2_saveexec_b64 s[10:11], s[6:7]
; %bb.45:                               ;   in Loop: Header=BB213_13 Depth=1
	v_or_b32_e32 v20, 0x10000, v22
	v_cmp_eq_u32_sdwa s[6:7], v22, v1 src0_sel:WORD_0 src1_sel:DWORD
	s_nop 1
	v_cndmask_b32_e64 v20, v20, v22, s[6:7]
; %bb.46:                               ;   in Loop: Header=BB213_13 Depth=1
	s_or_b64 exec, exec, s[10:11]
	v_mov_b32_e32 v69, v1
	s_waitcnt lgkmcnt(0)
	v_lshl_add_u64 v[22:23], v[68:69], 1, s[24:25]
	global_store_short_d16_hi v[22:23], v20, off
	s_or_b64 exec, exec, s[8:9]
	v_cmp_ne_u32_e64 s[6:7], 0, v4
	s_and_saveexec_b64 s[10:11], s[6:7]
	s_cbranch_execz .LBB213_32
.LBB213_47:                             ;   in Loop: Header=BB213_13 Depth=1
	v_cvt_f32_i32_e32 v17, v17
	v_add_f32_e32 v17, v19, v17
	s_waitcnt vmcnt(5)
	v_lshlrev_b32_e32 v19, 16, v25
	v_add_f32_e32 v19, v17, v19
	v_and_b32_e32 v17, 0x7f800000, v19
	v_cmp_ne_u32_e64 s[8:9], s42, v17
                                        ; implicit-def: $vgpr17
	s_and_saveexec_b64 s[34:35], s[8:9]
	s_xor_b64 s[8:9], exec, s[34:35]
; %bb.48:                               ;   in Loop: Header=BB213_13 Depth=1
	v_bfe_u32 v17, v19, 16, 1
	v_add3_u32 v17, v19, v17, s14
                                        ; implicit-def: $vgpr19
; %bb.49:                               ;   in Loop: Header=BB213_13 Depth=1
	s_andn2_saveexec_b64 s[34:35], s[8:9]
; %bb.50:                               ;   in Loop: Header=BB213_13 Depth=1
	v_or_b32_e32 v17, 0x10000, v19
	v_cmp_eq_u32_sdwa s[8:9], v19, v1 src0_sel:WORD_0 src1_sel:DWORD
	s_nop 1
	v_cndmask_b32_e64 v17, v17, v19, s[8:9]
; %bb.51:                               ;   in Loop: Header=BB213_13 Depth=1
	s_or_b64 exec, exec, s[34:35]
	v_mov_b32_e32 v67, v1
	s_waitcnt lgkmcnt(0)
	v_lshl_add_u64 v[22:23], v[66:67], 1, s[24:25]
	global_store_short_d16_hi v[22:23], v17, off
	s_or_b64 exec, exec, s[10:11]
	v_cmp_ne_u32_e64 s[8:9], 0, v5
	s_and_saveexec_b64 s[34:35], s[8:9]
	s_cbranch_execz .LBB213_33
.LBB213_52:                             ;   in Loop: Header=BB213_13 Depth=1
	v_cvt_f32_i32_e32 v14, v14
	s_waitcnt vmcnt(4)
	v_lshlrev_b32_e32 v0, 16, v0
	v_add_f32_e32 v14, v18, v14
	v_add_f32_e32 v14, v14, v0
	v_and_b32_e32 v0, 0x7f800000, v14
	v_cmp_ne_u32_e64 s[10:11], s42, v0
                                        ; implicit-def: $vgpr0
	s_and_saveexec_b64 s[36:37], s[10:11]
	s_xor_b64 s[10:11], exec, s[36:37]
; %bb.53:                               ;   in Loop: Header=BB213_13 Depth=1
	v_bfe_u32 v0, v14, 16, 1
	v_add3_u32 v0, v14, v0, s14
                                        ; implicit-def: $vgpr14
; %bb.54:                               ;   in Loop: Header=BB213_13 Depth=1
	s_andn2_saveexec_b64 s[36:37], s[10:11]
; %bb.55:                               ;   in Loop: Header=BB213_13 Depth=1
	v_or_b32_e32 v0, 0x10000, v14
	v_cmp_eq_u32_sdwa s[10:11], v14, v1 src0_sel:WORD_0 src1_sel:DWORD
	s_nop 1
	v_cndmask_b32_e64 v0, v0, v14, s[10:11]
; %bb.56:                               ;   in Loop: Header=BB213_13 Depth=1
	s_or_b64 exec, exec, s[36:37]
	v_mov_b32_e32 v65, v1
	s_waitcnt lgkmcnt(0)
	v_lshl_add_u64 v[18:19], v[64:65], 1, s[24:25]
	global_store_short_d16_hi v[18:19], v0, off
	s_or_b64 exec, exec, s[34:35]
	v_add_u32_e32 v0, s15, v62
	s_and_saveexec_b64 s[10:11], vcc
	s_cbranch_execz .LBB213_34
.LBB213_57:                             ;   in Loop: Header=BB213_13 Depth=1
	v_cvt_f32_i32_e32 v14, v16
	v_add_f32_e32 v13, v13, v14
	s_waitcnt vmcnt(3)
	v_lshlrev_b32_e32 v14, 16, v24
	v_add_f32_e32 v14, v13, v14
	v_and_b32_e32 v13, 0x7f800000, v14
	v_cmp_ne_u32_e32 vcc, s42, v13
                                        ; implicit-def: $vgpr13
	s_and_saveexec_b64 s[34:35], vcc
	s_xor_b64 s[34:35], exec, s[34:35]
; %bb.58:                               ;   in Loop: Header=BB213_13 Depth=1
	v_bfe_u32 v13, v14, 16, 1
	v_add3_u32 v13, v14, v13, s14
                                        ; implicit-def: $vgpr14
; %bb.59:                               ;   in Loop: Header=BB213_13 Depth=1
	s_andn2_saveexec_b64 s[34:35], s[34:35]
; %bb.60:                               ;   in Loop: Header=BB213_13 Depth=1
	v_or_b32_e32 v13, 0x10000, v14
	v_cmp_eq_u32_sdwa vcc, v14, v1 src0_sel:WORD_0 src1_sel:DWORD
	s_nop 1
	v_cndmask_b32_e32 v13, v13, v14, vcc
; %bb.61:                               ;   in Loop: Header=BB213_13 Depth=1
	s_or_b64 exec, exec, s[34:35]
	s_waitcnt lgkmcnt(0)
	v_lshl_add_u64 v[16:17], v[0:1], 1, s[24:25]
	global_store_short_d16_hi v[16:17], v13, off
	s_or_b64 exec, exec, s[10:11]
	s_and_saveexec_b64 s[10:11], s[4:5]
	s_cbranch_execz .LBB213_35
.LBB213_62:                             ;   in Loop: Header=BB213_13 Depth=1
	v_cvt_f32_i32_e32 v12, v12
	v_add_f32_e32 v10, v10, v12
	s_waitcnt vmcnt(2)
	v_lshlrev_b32_e32 v12, 16, v21
	v_add_f32_e32 v12, v10, v12
	v_and_b32_e32 v10, 0x7f800000, v12
	v_cmp_ne_u32_e32 vcc, s42, v10
                                        ; implicit-def: $vgpr10
	s_and_saveexec_b64 s[4:5], vcc
	s_xor_b64 s[4:5], exec, s[4:5]
; %bb.63:                               ;   in Loop: Header=BB213_13 Depth=1
	v_bfe_u32 v10, v12, 16, 1
	v_add3_u32 v10, v12, v10, s14
                                        ; implicit-def: $vgpr12
; %bb.64:                               ;   in Loop: Header=BB213_13 Depth=1
	s_andn2_saveexec_b64 s[4:5], s[4:5]
; %bb.65:                               ;   in Loop: Header=BB213_13 Depth=1
	v_or_b32_e32 v10, 0x10000, v12
	v_cmp_eq_u32_sdwa vcc, v12, v1 src0_sel:WORD_0 src1_sel:DWORD
	s_nop 1
	v_cndmask_b32_e32 v10, v10, v12, vcc
; %bb.66:                               ;   in Loop: Header=BB213_13 Depth=1
	s_or_b64 exec, exec, s[4:5]
	v_add_u32_e32 v12, 1, v0
	v_mov_b32_e32 v13, v1
	s_waitcnt lgkmcnt(0)
	v_lshl_add_u64 v[12:13], v[12:13], 1, s[24:25]
	global_store_short_d16_hi v[12:13], v10, off
	s_or_b64 exec, exec, s[10:11]
	s_and_saveexec_b64 s[4:5], s[6:7]
	s_cbranch_execz .LBB213_36
.LBB213_67:                             ;   in Loop: Header=BB213_13 Depth=1
	v_cvt_f32_i32_e32 v9, v9
	v_add_f32_e32 v8, v8, v9
	s_waitcnt vmcnt(1)
	v_lshlrev_b32_e32 v9, 16, v15
	v_add_f32_e32 v9, v8, v9
	v_and_b32_e32 v8, 0x7f800000, v9
	v_cmp_ne_u32_e32 vcc, s42, v8
                                        ; implicit-def: $vgpr8
	s_and_saveexec_b64 s[6:7], vcc
	s_xor_b64 s[6:7], exec, s[6:7]
; %bb.68:                               ;   in Loop: Header=BB213_13 Depth=1
	v_bfe_u32 v8, v9, 16, 1
	v_add3_u32 v8, v9, v8, s14
                                        ; implicit-def: $vgpr9
; %bb.69:                               ;   in Loop: Header=BB213_13 Depth=1
	s_andn2_saveexec_b64 s[6:7], s[6:7]
; %bb.70:                               ;   in Loop: Header=BB213_13 Depth=1
	v_or_b32_e32 v8, 0x10000, v9
	v_cmp_eq_u32_sdwa vcc, v9, v1 src0_sel:WORD_0 src1_sel:DWORD
	s_nop 1
	v_cndmask_b32_e32 v8, v8, v9, vcc
; %bb.71:                               ;   in Loop: Header=BB213_13 Depth=1
	s_or_b64 exec, exec, s[6:7]
	v_add_u32_e32 v12, 2, v0
	v_mov_b32_e32 v13, v1
	s_waitcnt lgkmcnt(0)
	v_lshl_add_u64 v[12:13], v[12:13], 1, s[24:25]
	global_store_short_d16_hi v[12:13], v8, off
	s_or_b64 exec, exec, s[4:5]
	s_and_b64 exec, exec, s[8:9]
	s_cbranch_execz .LBB213_77
.LBB213_72:                             ;   in Loop: Header=BB213_13 Depth=1
	v_cvt_f32_i32_e32 v7, v7
	v_add_f32_e32 v6, v6, v7
	s_waitcnt vmcnt(0)
	v_lshlrev_b32_e32 v7, 16, v11
	v_add_f32_e32 v7, v6, v7
	v_and_b32_e32 v6, 0x7f800000, v7
	v_cmp_ne_u32_e32 vcc, s42, v6
                                        ; implicit-def: $vgpr6
	s_and_saveexec_b64 s[4:5], vcc
	s_xor_b64 s[4:5], exec, s[4:5]
; %bb.73:                               ;   in Loop: Header=BB213_13 Depth=1
	v_bfe_u32 v6, v7, 16, 1
	v_add3_u32 v6, v7, v6, s14
                                        ; implicit-def: $vgpr7
; %bb.74:                               ;   in Loop: Header=BB213_13 Depth=1
	s_andn2_saveexec_b64 s[4:5], s[4:5]
; %bb.75:                               ;   in Loop: Header=BB213_13 Depth=1
	v_or_b32_e32 v6, 0x10000, v7
	v_cmp_eq_u32_sdwa vcc, v7, v1 src0_sel:WORD_0 src1_sel:DWORD
	s_nop 1
	v_cndmask_b32_e32 v6, v6, v7, vcc
; %bb.76:                               ;   in Loop: Header=BB213_13 Depth=1
	s_or_b64 exec, exec, s[4:5]
	v_add_u32_e32 v0, 3, v0
	s_waitcnt lgkmcnt(0)
	v_lshl_add_u64 v[8:9], v[0:1], 1, s[24:25]
	global_store_short_d16_hi v[8:9], v6, off
.LBB213_77:                             ;   in Loop: Header=BB213_13 Depth=1
	s_or_b64 exec, exec, s[30:31]
	v_add_u32_e32 v62, s40, v62
	v_add_u32_e32 v0, 4, v62
	v_cmp_gt_u32_e32 vcc, s15, v62
	v_cmp_le_u32_e64 s[4:5], s15, v0
	s_and_b64 s[4:5], vcc, s[4:5]
	s_and_saveexec_b64 s[6:7], s[4:5]
	s_cbranch_execz .LBB213_12
; %bb.78:                               ;   in Loop: Header=BB213_13 Depth=1
	v_cmp_ne_u32_e32 vcc, s41, v62
	s_and_saveexec_b64 s[8:9], vcc
	s_cbranch_execz .LBB213_11
; %bb.79:                               ;   in Loop: Header=BB213_13 Depth=1
	v_subrev_u32_e32 v0, s41, v62
	v_cmp_lt_u32_e32 vcc, 1, v0
	s_mov_b64 s[10:11], 0
	s_mov_b64 s[30:31], 0
	v_cndmask_b32_e32 v0, 1, v0, vcc
.LBB213_80:                             ;   Parent Loop BB213_13 Depth=1
                                        ; =>  This Inner Loop Header: Depth=2
	s_cmp_lg_u32 s30, 3
	s_cselect_b64 vcc, -1, 0
	s_cmp_lg_u32 s30, 2
	v_cndmask_b32_e32 v5, 0, v5, vcc
	s_cselect_b64 vcc, -1, 0
	s_cmp_lg_u32 s30, 1
	v_cndmask_b32_e32 v4, 0, v4, vcc
	;; [unrolled: 3-line block ×3, first 2 shown]
	s_cselect_b64 vcc, -1, 0
	s_add_u32 s30, s30, 1
	s_addc_u32 s31, s31, 0
	v_cmp_eq_u32_e64 s[4:5], s30, v0
	s_or_b64 s[10:11], s[4:5], s[10:11]
	v_cndmask_b32_e32 v2, 0, v2, vcc
	s_andn2_b64 exec, exec, s[10:11]
	s_cbranch_execnz .LBB213_80
; %bb.81:                               ;   in Loop: Header=BB213_13 Depth=1
	s_or_b64 exec, exec, s[10:11]
	s_branch .LBB213_11
.LBB213_82:
	s_endpgm
	.section	.rodata,"a",@progbits
	.p2align	6, 0x0
	.amdhsa_kernel _Z12wvSplitK_hf_I14__hip_bfloat16Li64ELi4ELi16ELi8ELi1ELi2EEviiiiiiPKT_S3_S3_PS1_ii
		.amdhsa_group_segment_fixed_size 65536
		.amdhsa_private_segment_fixed_size 0
		.amdhsa_kernarg_size 64
		.amdhsa_user_sgpr_count 2
		.amdhsa_user_sgpr_dispatch_ptr 0
		.amdhsa_user_sgpr_queue_ptr 0
		.amdhsa_user_sgpr_kernarg_segment_ptr 1
		.amdhsa_user_sgpr_dispatch_id 0
		.amdhsa_user_sgpr_kernarg_preload_length 0
		.amdhsa_user_sgpr_kernarg_preload_offset 0
		.amdhsa_user_sgpr_private_segment_size 0
		.amdhsa_uses_dynamic_stack 0
		.amdhsa_enable_private_segment 0
		.amdhsa_system_sgpr_workgroup_id_x 1
		.amdhsa_system_sgpr_workgroup_id_y 0
		.amdhsa_system_sgpr_workgroup_id_z 0
		.amdhsa_system_sgpr_workgroup_info 0
		.amdhsa_system_vgpr_workitem_id 1
		.amdhsa_next_free_vgpr 84
		.amdhsa_next_free_sgpr 43
		.amdhsa_accum_offset 84
		.amdhsa_reserve_vcc 1
		.amdhsa_float_round_mode_32 0
		.amdhsa_float_round_mode_16_64 0
		.amdhsa_float_denorm_mode_32 3
		.amdhsa_float_denorm_mode_16_64 3
		.amdhsa_dx10_clamp 1
		.amdhsa_ieee_mode 1
		.amdhsa_fp16_overflow 0
		.amdhsa_tg_split 0
		.amdhsa_exception_fp_ieee_invalid_op 0
		.amdhsa_exception_fp_denorm_src 0
		.amdhsa_exception_fp_ieee_div_zero 0
		.amdhsa_exception_fp_ieee_overflow 0
		.amdhsa_exception_fp_ieee_underflow 0
		.amdhsa_exception_fp_ieee_inexact 0
		.amdhsa_exception_int_div_zero 0
	.end_amdhsa_kernel
	.section	.text._Z12wvSplitK_hf_I14__hip_bfloat16Li64ELi4ELi16ELi8ELi1ELi2EEviiiiiiPKT_S3_S3_PS1_ii,"axG",@progbits,_Z12wvSplitK_hf_I14__hip_bfloat16Li64ELi4ELi16ELi8ELi1ELi2EEviiiiiiPKT_S3_S3_PS1_ii,comdat
.Lfunc_end213:
	.size	_Z12wvSplitK_hf_I14__hip_bfloat16Li64ELi4ELi16ELi8ELi1ELi2EEviiiiiiPKT_S3_S3_PS1_ii, .Lfunc_end213-_Z12wvSplitK_hf_I14__hip_bfloat16Li64ELi4ELi16ELi8ELi1ELi2EEviiiiiiPKT_S3_S3_PS1_ii
                                        ; -- End function
	.section	.AMDGPU.csdata,"",@progbits
; Kernel info:
; codeLenInByte = 4112
; NumSgprs: 49
; NumVgprs: 84
; NumAgprs: 0
; TotalNumVgprs: 84
; ScratchSize: 0
; MemoryBound: 1
; FloatMode: 240
; IeeeMode: 1
; LDSByteSize: 65536 bytes/workgroup (compile time only)
; SGPRBlocks: 6
; VGPRBlocks: 10
; NumSGPRsForWavesPerEU: 49
; NumVGPRsForWavesPerEU: 84
; AccumOffset: 84
; Occupancy: 4
; WaveLimiterHint : 0
; COMPUTE_PGM_RSRC2:SCRATCH_EN: 0
; COMPUTE_PGM_RSRC2:USER_SGPR: 2
; COMPUTE_PGM_RSRC2:TRAP_HANDLER: 0
; COMPUTE_PGM_RSRC2:TGID_X_EN: 1
; COMPUTE_PGM_RSRC2:TGID_Y_EN: 0
; COMPUTE_PGM_RSRC2:TGID_Z_EN: 0
; COMPUTE_PGM_RSRC2:TIDIG_COMP_CNT: 1
; COMPUTE_PGM_RSRC3_GFX90A:ACCUM_OFFSET: 20
; COMPUTE_PGM_RSRC3_GFX90A:TG_SPLIT: 0
	.section	.text._Z16wvSplitK_hf_big_I14__hip_bfloat16Li64ELi4ELi16ELi8ELi1ELi2EEviiiiiiPKT_S3_S3_PS1_ii,"axG",@progbits,_Z16wvSplitK_hf_big_I14__hip_bfloat16Li64ELi4ELi16ELi8ELi1ELi2EEviiiiiiPKT_S3_S3_PS1_ii,comdat
	.protected	_Z16wvSplitK_hf_big_I14__hip_bfloat16Li64ELi4ELi16ELi8ELi1ELi2EEviiiiiiPKT_S3_S3_PS1_ii ; -- Begin function _Z16wvSplitK_hf_big_I14__hip_bfloat16Li64ELi4ELi16ELi8ELi1ELi2EEviiiiiiPKT_S3_S3_PS1_ii
	.globl	_Z16wvSplitK_hf_big_I14__hip_bfloat16Li64ELi4ELi16ELi8ELi1ELi2EEviiiiiiPKT_S3_S3_PS1_ii
	.p2align	8
	.type	_Z16wvSplitK_hf_big_I14__hip_bfloat16Li64ELi4ELi16ELi8ELi1ELi2EEviiiiiiPKT_S3_S3_PS1_ii,@function
_Z16wvSplitK_hf_big_I14__hip_bfloat16Li64ELi4ELi16ELi8ELi1ELi2EEviiiiiiPKT_S3_S3_PS1_ii: ; @_Z16wvSplitK_hf_big_I14__hip_bfloat16Li64ELi4ELi16ELi8ELi1ELi2EEviiiiiiPKT_S3_S3_PS1_ii
; %bb.0:
	s_load_dwordx2 s[8:9], s[0:1], 0x38
	v_bfe_u32 v7, v0, 10, 10
	s_waitcnt lgkmcnt(0)
	v_cmp_gt_u32_e32 vcc, s8, v7
	s_and_saveexec_b64 s[4:5], vcc
	s_cbranch_execz .LBB214_86
; %bb.1:
	s_load_dwordx4 s[24:27], s[0:1], 0x0
	s_mul_i32 s2, s2, s8
	v_add_lshl_u32 v62, s2, v7, 2
	s_mov_b32 s4, 1
	v_add_u32_e32 v1, 4, v62
	s_mov_b32 s5, s4
	s_waitcnt lgkmcnt(0)
	v_cmp_gt_u32_e32 vcc, s27, v62
	v_cmp_le_u32_e64 s[2:3], s27, v1
	s_mov_b32 s6, s4
	s_mov_b32 s7, s4
	v_mov_b64_e32 v[2:3], s[4:5]
	s_and_b64 s[10:11], vcc, s[2:3]
	v_mov_b64_e32 v[4:5], s[6:7]
	s_and_saveexec_b64 s[2:3], s[10:11]
	s_cbranch_execz .LBB214_7
; %bb.2:
	s_add_i32 s16, s27, -4
	v_mov_b64_e32 v[2:3], s[4:5]
	v_cmp_ne_u32_e32 vcc, s16, v62
	v_mov_b64_e32 v[4:5], s[6:7]
	s_and_saveexec_b64 s[10:11], vcc
	s_cbranch_execz .LBB214_6
; %bb.3:
	v_subrev_u32_e32 v1, s16, v62
	v_cmp_lt_u32_e32 vcc, 1, v1
	s_mov_b64 s[12:13], 0
	s_mov_b64 s[14:15], 0
	v_cndmask_b32_e32 v6, 1, v1, vcc
	s_mov_b32 s5, s4
	s_mov_b32 s6, s4
	;; [unrolled: 1-line block ×3, first 2 shown]
.LBB214_4:                              ; =>This Inner Loop Header: Depth=1
	s_cmp_lg_u32 s14, 3
	s_cselect_b32 s7, s7, 0
	s_cmp_lg_u32 s14, 2
	s_cselect_b32 s6, s6, 0
	;; [unrolled: 2-line block ×4, first 2 shown]
	s_add_u32 s14, s14, 1
	s_addc_u32 s15, s15, 0
	v_cmp_eq_u32_e32 vcc, s14, v6
	v_mov_b64_e32 v[2:3], s[4:5]
	s_or_b64 s[12:13], vcc, s[12:13]
	v_mov_b64_e32 v[4:5], s[6:7]
	s_andn2_b64 exec, exec, s[12:13]
	s_cbranch_execnz .LBB214_4
; %bb.5:
	s_or_b64 exec, exec, s[12:13]
	v_mov_b32_e32 v62, s16
.LBB214_6:
	s_or_b64 exec, exec, s[10:11]
.LBB214_7:
	s_or_b64 exec, exec, s[2:3]
	s_lshl_b32 s2, s8, 2
	s_abs_i32 s3, s2
	v_cvt_f32_u32_e32 v1, s3
	s_sub_i32 s6, 0, s3
	s_abs_i32 s5, s27
	s_ashr_i32 s4, s27, 31
	v_rcp_iflag_f32_e32 v1, v1
	s_nop 0
	v_mul_f32_e32 v1, 0x4f7ffffe, v1
	v_cvt_u32_f32_e32 v1, v1
	s_nop 0
	v_readfirstlane_b32 s7, v1
	s_mul_i32 s6, s6, s7
	s_mul_hi_u32 s6, s7, s6
	s_add_i32 s7, s7, s6
	s_mul_hi_u32 s6, s5, s7
	s_mul_i32 s6, s6, s3
	s_sub_i32 s5, s5, s6
	s_sub_i32 s6, s5, s3
	s_cmp_ge_u32 s5, s3
	s_cselect_b32 s5, s6, s5
	s_sub_i32 s6, s5, s3
	s_cmp_ge_u32 s5, s3
	s_cselect_b32 s3, s6, s5
	s_xor_b32 s3, s3, s4
	s_sub_i32 s3, s3, s4
	s_add_i32 s2, s2, s27
	s_sub_i32 s2, s2, s3
	s_cmp_eq_u32 s3, 0
	s_cselect_b32 s33, s27, s2
	v_cmp_gt_u32_e32 vcc, s33, v62
	s_and_b64 exec, exec, vcc
	s_cbranch_execz .LBB214_86
; %bb.8:
	s_load_dwordx8 s[16:23], s[0:1], 0x10
	s_min_u32 s44, s26, 0x4000
	s_cmp_lg_u32 s24, 0
	s_load_dwordx2 s[14:15], s[0:1], 0x30
	s_cselect_b64 s[2:3], -1, 0
	s_waitcnt lgkmcnt(0)
	v_cvt_f32_u32_e32 v1, s16
	s_cmp_lg_u32 s26, 0
	s_mul_i32 s0, s9, s8
	s_cselect_b64 s[4:5], -1, 0
	v_rcp_iflag_f32_e32 v1, v1
	s_lshl_b32 s45, s8, 9
	s_add_i32 s46, s24, -8
	s_add_i32 s47, s27, -1
	v_mul_f32_e32 v1, 0x4f7ffffe, v1
	v_cvt_u32_f32_e32 v1, v1
	s_lshl_b32 s48, s0, 2
	s_cmp_lg_u64 s[22:23], 0
	s_cselect_b64 s[30:31], -1, 0
	s_sub_i32 s6, 0, s16
	v_mul_lo_u32 v6, s6, v1
	s_abs_i32 s6, s17
	s_add_i32 s49, s27, -4
	s_sub_i32 s7, 1, s6
	s_cmp_lt_u32 s6, 2
	v_and_b32_e32 v0, 0x3ff, v0
	s_cselect_b32 s7, s7, 1
	v_lshlrev_b32_e32 v72, 3, v0
	v_cmp_eq_u32_e64 s[0:1], 63, v0
	s_sub_i32 s9, s7, s6
	v_lshlrev_b32_e32 v0, 4, v0
	s_cmp_ge_u32 s7, s6
	v_lshl_add_u32 v74, v7, 10, v0
	v_cndmask_b32_e64 v0, 0, 1, s[2:3]
	v_mul_hi_u32 v6, v1, v6
	s_cselect_b32 s17, s9, s7
	s_add_u32 s34, s14, 2
	v_lshl_add_u32 v75, v7, 9, v72
	v_cmp_ne_u32_e64 s[2:3], 1, v0
	v_cndmask_b32_e64 v0, 0, 1, s[4:5]
	s_mov_b64 s[28:29], 0
	v_add_u32_e32 v73, v1, v6
	v_mov_b32_e32 v1, 0
	s_mul_i32 s17, s17, s16
	s_addc_u32 s35, s15, 0
	s_lshl_b32 s50, s44, 1
	s_lshl_b32 s51, s8, 10
	v_add_u32_e32 v76, s26, v75
	s_mov_b32 s52, 0x7f800000
	s_movk_i32 s53, 0x7fff
	v_cmp_ne_u32_e64 s[4:5], 1, v0
	s_branch .LBB214_12
.LBB214_9:                              ;   in Loop: Header=BB214_12 Depth=1
	s_or_b64 exec, exec, s[10:11]
	v_mov_b32_e32 v62, s49
.LBB214_10:                             ;   in Loop: Header=BB214_12 Depth=1
	s_or_b64 exec, exec, s[8:9]
.LBB214_11:                             ;   in Loop: Header=BB214_12 Depth=1
	s_or_b64 exec, exec, s[36:37]
	v_cmp_le_u32_e32 vcc, s33, v62
	s_or_b64 s[28:29], vcc, s[28:29]
	s_andn2_b64 exec, exec, s[28:29]
	s_cbranch_execz .LBB214_86
.LBB214_12:                             ; =>This Loop Header: Depth=1
                                        ;     Child Loop BB214_16 Depth 2
                                        ;       Child Loop BB214_21 Depth 3
                                        ;     Child Loop BB214_84 Depth 2
	s_and_b64 vcc, exec, s[2:3]
	v_mov_b32_e32 v9, v1
	v_mov_b32_e32 v8, v1
	s_waitcnt vmcnt(4)
	v_mov_b32_e32 v7, v1
	v_mov_b32_e32 v6, v1
	;; [unrolled: 1-line block ×9, first 2 shown]
	s_waitcnt vmcnt(0)
	v_mov_b32_e32 v14, v1
	v_mov_b32_e32 v21, v1
	;; [unrolled: 1-line block ×21, first 2 shown]
	s_cbranch_vccnz .LBB214_27
; %bb.13:                               ;   in Loop: Header=BB214_12 Depth=1
	v_min_u32_e32 v0, s47, v62
	v_mul_lo_u32 v64, v0, s25
	v_add_u32_e32 v0, 1, v62
	v_min_u32_e32 v0, s47, v0
	v_mul_lo_u32 v66, v0, s25
	v_add_u32_e32 v0, 2, v62
	;; [unrolled: 3-line block ×3, first 2 shown]
	v_min_u32_e32 v0, s47, v0
	v_mov_b32_e32 v22, 0
	v_cmp_gt_u32_e64 s[6:7], s27, v62
	v_mov_b32_e32 v65, v1
	v_mov_b32_e32 v67, v1
	;; [unrolled: 1-line block ×3, first 2 shown]
	v_mul_lo_u32 v70, v0, s25
	v_mov_b32_e32 v71, v1
	s_mov_b32 s36, 0
	s_mov_b32 s37, 0
	v_mov_b32_e32 v23, v22
	v_mov_b32_e32 v24, v22
	;; [unrolled: 1-line block ×31, first 2 shown]
	s_branch .LBB214_16
.LBB214_14:                             ;   in Loop: Header=BB214_16 Depth=2
	s_or_b64 exec, exec, s[10:11]
	s_waitcnt vmcnt(3) lgkmcnt(1)
	v_mfma_f32_4x4x4_16b_bf16 v[34:37], v[58:59], v[42:43], v[34:37]
	s_waitcnt vmcnt(2)
	v_mfma_f32_4x4x4_16b_bf16 v[30:33], v[58:59], v[38:39], v[30:33]
	s_waitcnt vmcnt(1)
	;; [unrolled: 2-line block ×3, first 2 shown]
	v_mfma_f32_4x4x4_16b_bf16 v[22:25], v[58:59], v[46:47], v[22:25]
	s_waitcnt lgkmcnt(0)
	v_mfma_f32_4x4x4_16b_bf16 v[18:21], v[54:55], v[42:43], v[18:21]
	v_mfma_f32_4x4x4_16b_bf16 v[14:17], v[54:55], v[38:39], v[14:17]
	;; [unrolled: 1-line block ×12, first 2 shown]
.LBB214_15:                             ;   in Loop: Header=BB214_16 Depth=2
	s_or_b64 exec, exec, s[8:9]
	s_addk_i32 s37, 0x200
	s_cmp_ge_u32 s37, s24
	s_cbranch_scc1 .LBB214_27
.LBB214_16:                             ;   Parent Loop BB214_12 Depth=1
                                        ; =>  This Loop Header: Depth=2
                                        ;       Child Loop BB214_21 Depth 3
	s_cmp_eq_u32 s37, 0
	s_cselect_b64 s[8:9], -1, 0
	s_add_i32 s10, s36, s44
	s_cmp_eq_u32 s37, s10
	s_cselect_b64 s[12:13], -1, 0
	s_or_b64 s[12:13], s[8:9], s[12:13]
	s_andn2_b64 vcc, exec, s[12:13]
	s_cbranch_vccz .LBB214_18
; %bb.17:                               ;   in Loop: Header=BB214_16 Depth=2
	s_and_saveexec_b64 s[8:9], s[6:7]
	s_cbranch_execz .LBB214_15
	s_branch .LBB214_25
.LBB214_18:                             ;   in Loop: Header=BB214_16 Depth=2
	s_and_b64 s[8:9], s[8:9], exec
	s_cselect_b32 s36, s36, s10
	s_and_b64 vcc, exec, s[4:5]
	s_barrier
	s_cbranch_vccnz .LBB214_24
; %bb.19:                               ;   in Loop: Header=BB214_16 Depth=2
	v_add_u32_e32 v38, s36, v76
	v_add_u32_e32 v39, s36, v75
	s_mov_b32 s38, 0
	s_mov_b64 s[10:11], 0
	v_mov_b32_e32 v40, v74
                                        ; implicit-def: $sgpr12_sgpr13
	s_branch .LBB214_21
.LBB214_20:                             ;   in Loop: Header=BB214_21 Depth=3
	s_or_b64 exec, exec, s[8:9]
	s_and_b64 s[8:9], exec, s[12:13]
	s_or_b64 s[10:11], s[8:9], s[10:11]
	s_andn2_b64 exec, exec, s[10:11]
	s_cbranch_execz .LBB214_23
.LBB214_21:                             ;   Parent Loop BB214_12 Depth=1
                                        ;     Parent Loop BB214_16 Depth=2
                                        ; =>    This Inner Loop Header: Depth=3
	v_add_u32_e32 v41, s38, v75
	v_add_u32_e32 v0, s38, v39
	v_cmp_gt_u32_e32 vcc, s26, v0
	v_cmp_gt_u32_e64 s[8:9], s44, v41
	s_and_b64 s[40:41], s[8:9], vcc
	s_or_b64 s[12:13], s[12:13], exec
	s_and_saveexec_b64 s[8:9], s[40:41]
	s_cbranch_execz .LBB214_20
; %bb.22:                               ;   in Loop: Header=BB214_21 Depth=3
	v_lshl_add_u64 v[42:43], v[0:1], 1, s[20:21]
	v_add_u32_e32 v0, s38, v38
	global_load_dwordx4 v[42:45], v[42:43], off
	v_lshl_add_u64 v[46:47], v[0:1], 1, s[20:21]
	global_load_dwordx4 v[46:49], v[46:47], off
	s_add_i32 s38, s38, s45
	s_cmp_ge_u32 s38, s44
	s_cselect_b64 s[40:41], -1, 0
	s_andn2_b64 s[12:13], s[12:13], exec
	s_and_b64 s[40:41], s[40:41], exec
	v_add_u32_e32 v0, s50, v40
	s_or_b64 s[12:13], s[12:13], s[40:41]
	s_waitcnt vmcnt(1)
	ds_write_b128 v40, v[42:45]
	v_add_u32_e32 v40, s51, v40
	s_waitcnt vmcnt(0)
	ds_write2_b64 v0, v[46:47], v[48:49] offset1:1
	s_branch .LBB214_20
.LBB214_23:                             ;   in Loop: Header=BB214_16 Depth=2
	s_or_b64 exec, exec, s[10:11]
.LBB214_24:                             ;   in Loop: Header=BB214_16 Depth=2
	s_waitcnt lgkmcnt(0)
	s_barrier
	s_and_saveexec_b64 s[8:9], s[6:7]
	s_cbranch_execz .LBB214_15
.LBB214_25:                             ;   in Loop: Header=BB214_16 Depth=2
	v_add_u32_e32 v63, s37, v72
	v_min_u32_e32 v0, s46, v63
	v_lshl_add_u64 v[46:47], v[0:1], 1, s[18:19]
	v_lshl_add_u64 v[38:39], v[64:65], 1, v[46:47]
	;; [unrolled: 1-line block ×5, first 2 shown]
	global_load_dwordx4 v[42:45], v[38:39], off nt
	s_nop 0
	global_load_dwordx4 v[38:41], v[40:41], off nt
	s_nop 0
	;; [unrolled: 2-line block ×3, first 2 shown]
	global_load_dwordx4 v[46:49], v[46:47], off nt
	v_cmp_gt_u32_e32 vcc, s24, v63
	v_mov_b32_e32 v56, 0
	v_mov_b32_e32 v57, 0
	;; [unrolled: 1-line block ×8, first 2 shown]
	s_and_saveexec_b64 s[10:11], vcc
	s_cbranch_execz .LBB214_14
; %bb.26:                               ;   in Loop: Header=BB214_16 Depth=2
	v_subrev_u32_e32 v0, s36, v63
	v_lshlrev_b32_e32 v0, 1, v0
	v_lshl_add_u32 v54, s44, 1, v0
	ds_read_b128 v[58:61], v0
	ds_read_b128 v[54:57], v54
	s_branch .LBB214_14
.LBB214_27:                             ;   in Loop: Header=BB214_12 Depth=1
	v_cmp_le_u32_e32 vcc, s27, v62
	s_and_saveexec_b64 s[6:7], vcc
	s_xor_b64 s[6:7], exec, s[6:7]
; %bb.28:                               ;   in Loop: Header=BB214_12 Depth=1
	v_add_u32_e32 v62, s48, v62
                                        ; implicit-def: $vgpr9
                                        ; implicit-def: $vgpr13
                                        ; implicit-def: $vgpr17
                                        ; implicit-def: $vgpr21
                                        ; implicit-def: $vgpr37
                                        ; implicit-def: $vgpr33
                                        ; implicit-def: $vgpr29
                                        ; implicit-def: $vgpr25
; %bb.29:                               ;   in Loop: Header=BB214_12 Depth=1
	s_andn2_saveexec_b64 s[36:37], s[6:7]
	s_cbranch_execz .LBB214_11
; %bb.30:                               ;   in Loop: Header=BB214_12 Depth=1
	v_cvt_i32_f32_e32 v0, v35
	v_cvt_i32_f32_e32 v35, v36
	v_cvt_i32_f32_e32 v36, v37
	v_cvt_i32_f32_e32 v31, v31
	v_cvt_f32_i32_dpp v0, v0 row_shl:1 row_mask:0xf bank_mask:0xf bound_ctrl:1
	v_cvt_f32_i32_dpp v35, v35 row_shl:2 row_mask:0xf bank_mask:0xf bound_ctrl:1
	;; [unrolled: 1-line block ×3, first 2 shown]
	v_cvt_i32_f32_e32 v32, v32
	v_add_f32_e32 v0, v34, v0
	v_add_f32_e32 v0, v0, v35
	;; [unrolled: 1-line block ×3, first 2 shown]
	v_cvt_i32_f32_e32 v34, v0
	v_cvt_i32_f32_e32 v33, v33
	v_cvt_f32_i32_dpp v31, v31 row_shl:1 row_mask:0xf bank_mask:0xf bound_ctrl:1
	v_cvt_f32_i32_dpp v32, v32 row_shl:2 row_mask:0xf bank_mask:0xf bound_ctrl:1
	v_cvt_f32_i32_dpp v34, v34 row_shl:4 row_mask:0xf bank_mask:0xf bound_ctrl:1
	v_cvt_f32_i32_dpp v33, v33 row_shl:3 row_mask:0xf bank_mask:0xf bound_ctrl:1
	v_add_f32_e32 v30, v30, v31
	v_add_f32_e32 v30, v30, v32
	;; [unrolled: 1-line block ×3, first 2 shown]
	v_cvt_i32_f32_e32 v34, v0
	v_cvt_i32_f32_e32 v27, v27
	v_add_f32_e32 v30, v30, v33
	v_cvt_i32_f32_e32 v28, v28
	v_cvt_f32_i32_dpp v31, v34 row_shl:8 row_mask:0xf bank_mask:0xf bound_ctrl:1
	v_cvt_i32_f32_e32 v32, v30
	v_cvt_i32_f32_e32 v29, v29
	v_cvt_f32_i32_dpp v27, v27 row_shl:1 row_mask:0xf bank_mask:0xf bound_ctrl:1
	v_add_f32_e32 v0, v0, v31
	v_cvt_i32_f32_e32 v0, v0
	v_cvt_f32_i32_dpp v28, v28 row_shl:2 row_mask:0xf bank_mask:0xf bound_ctrl:1
	v_cvt_f32_i32_dpp v31, v32 row_shl:4 row_mask:0xf bank_mask:0xf bound_ctrl:1
	;; [unrolled: 1-line block ×3, first 2 shown]
	v_cvt_f32_i32_dpp v0, v0 row_shr:15 row_mask:0xf bank_mask:0xf bound_ctrl:1
	v_add_f32_e32 v26, v26, v27
	v_cvt_i32_f32_e32 v23, v23
	v_add_f32_e32 v27, v30, v31
	v_add_f32_e32 v26, v26, v28
	v_cvt_i32_f32_e32 v24, v24
	v_cvt_i32_f32_e32 v30, v27
	v_add_f32_e32 v28, v26, v29
	v_cvt_i32_f32_e32 v25, v25
	v_cvt_i32_f32_e32 v31, v0
	v_cvt_i32_f32_e32 v26, v28
	v_cvt_f32_i32_dpp v23, v23 row_shl:1 row_mask:0xf bank_mask:0xf bound_ctrl:1
	v_cvt_f32_i32_dpp v24, v24 row_shl:2 row_mask:0xf bank_mask:0xf bound_ctrl:1
	;; [unrolled: 1-line block ×4, first 2 shown]
	v_cvt_f32_i32_dpp v30, v31 row_bcast:15 row_mask:0xf bank_mask:0xf bound_ctrl:1
	v_cvt_f32_i32_dpp v31, v26 row_shl:4 row_mask:0xf bank_mask:0xf bound_ctrl:1
	v_add_f32_e32 v22, v22, v23
	v_add_f32_e32 v22, v22, v24
	;; [unrolled: 1-line block ×5, first 2 shown]
	v_cvt_i32_f32_e32 v0, v27
	v_add_f32_e32 v27, v28, v31
	v_cvt_i32_f32_e32 v23, v22
	v_cvt_i32_f32_e32 v28, v27
	v_cvt_f32_i32_dpp v0, v0 row_shr:15 row_mask:0xf bank_mask:0xf bound_ctrl:1
	v_cvt_i32_f32_e32 v19, v19
	v_cvt_f32_i32_dpp v23, v23 row_shl:4 row_mask:0xf bank_mask:0xf bound_ctrl:1
	v_cvt_f32_i32_dpp v28, v28 row_shl:8 row_mask:0xf bank_mask:0xf bound_ctrl:1
	v_cvt_i32_f32_e32 v20, v20
	v_cvt_i32_f32_e32 v21, v21
	v_add_f32_e32 v23, v22, v23
	v_add_f32_e32 v24, v27, v28
	v_cvt_i32_f32_e32 v22, v23
	v_cvt_i32_f32_e32 v24, v24
	;; [unrolled: 1-line block ×3, first 2 shown]
	v_cvt_f32_i32_dpp v19, v19 row_shl:1 row_mask:0xf bank_mask:0xf bound_ctrl:1
	v_cvt_f32_i32_dpp v29, v22 row_shl:8 row_mask:0xf bank_mask:0xf bound_ctrl:1
	v_cvt_f32_i32_dpp v24, v24 row_shr:15 row_mask:0xf bank_mask:0xf bound_ctrl:1
	v_cvt_i32_f32_e32 v15, v15
	v_cvt_f32_i32_dpp v20, v20 row_shl:2 row_mask:0xf bank_mask:0xf bound_ctrl:1
	v_cvt_i32_f32_e32 v16, v16
	v_add_f32_e32 v23, v23, v29
	v_cvt_f32_i32_dpp v21, v21 row_shl:3 row_mask:0xf bank_mask:0xf bound_ctrl:1
	v_cvt_i32_f32_e32 v17, v17
	v_cvt_i32_f32_e32 v11, v11
	v_cvt_f32_i32_dpp v27, v27 row_bcast:15 row_mask:0xf bank_mask:0xf bound_ctrl:1
	v_cvt_i32_f32_e32 v28, v24
	v_cvt_i32_f32_e32 v23, v23
	v_add_f32_e32 v18, v18, v19
	v_cvt_f32_i32_dpp v15, v15 row_shl:1 row_mask:0xf bank_mask:0xf bound_ctrl:1
	v_cvt_i32_f32_e32 v7, v7
	v_add_f32_e32 v18, v18, v20
	v_cvt_f32_i32_dpp v16, v16 row_shl:2 row_mask:0xf bank_mask:0xf bound_ctrl:1
	v_cvt_i32_f32_e32 v12, v12
	v_cvt_i32_f32_e32 v8, v8
	v_add_f32_e32 v20, v18, v21
	v_cvt_f32_i32_dpp v17, v17 row_shl:3 row_mask:0xf bank_mask:0xf bound_ctrl:1
	v_cvt_f32_i32_dpp v11, v11 row_shl:1 row_mask:0xf bank_mask:0xf bound_ctrl:1
	v_cvt_i32_f32_e32 v13, v13
	v_cvt_i32_f32_e32 v9, v9
	v_add_f32_e32 v22, v0, v27
	v_cvt_f32_i32_dpp v27, v28 row_bcast:15 row_mask:0xf bank_mask:0xf bound_ctrl:1
	v_cvt_f32_i32_dpp v28, v23 row_shr:15 row_mask:0xf bank_mask:0xf bound_ctrl:1
	v_cvt_i32_f32_e32 v18, v20
	v_add_f32_e32 v14, v14, v15
	v_cvt_f32_i32_dpp v7, v7 row_shl:1 row_mask:0xf bank_mask:0xf bound_ctrl:1
	v_add_f32_e32 v14, v14, v16
	v_cvt_f32_i32_dpp v12, v12 row_shl:2 row_mask:0xf bank_mask:0xf bound_ctrl:1
	v_cvt_f32_i32_dpp v8, v8 row_shl:2 row_mask:0xf bank_mask:0xf bound_ctrl:1
	v_add_f32_e32 v14, v14, v17
	v_add_f32_e32 v10, v10, v11
	v_cvt_f32_i32_dpp v11, v13 row_shl:3 row_mask:0xf bank_mask:0xf bound_ctrl:1
	v_cvt_f32_i32_dpp v9, v9 row_shl:3 row_mask:0xf bank_mask:0xf bound_ctrl:1
	v_cvt_i32_f32_e32 v0, v22
	v_cvt_i32_f32_e32 v29, v28
	v_cvt_f32_i32_dpp v21, v18 row_shl:4 row_mask:0xf bank_mask:0xf bound_ctrl:1
	v_cvt_i32_f32_e32 v16, v14
	v_add_f32_e32 v6, v6, v7
	v_add_f32_e32 v10, v10, v12
	;; [unrolled: 1-line block ×5, first 2 shown]
	v_mov_b32_dpp v23, v0 row_bcast:31 row_mask:0xf bank_mask:0xf bound_ctrl:1
	v_cvt_f32_i32_dpp v0, v29 row_bcast:15 row_mask:0xf bank_mask:0xf bound_ctrl:1
	v_add_f32_e32 v20, v20, v21
	v_cvt_f32_i32_dpp v16, v16 row_shl:4 row_mask:0xf bank_mask:0xf bound_ctrl:1
	v_cvt_i32_f32_e32 v11, v10
	v_cvt_i32_f32_e32 v7, v6
	;; [unrolled: 1-line block ×3, first 2 shown]
	v_add_f32_e32 v18, v28, v0
	v_add_f32_e32 v14, v14, v16
	v_cvt_f32_i32_dpp v9, v11 row_shl:4 row_mask:0xf bank_mask:0xf bound_ctrl:1
	v_cvt_f32_i32_dpp v7, v7 row_shl:4 row_mask:0xf bank_mask:0xf bound_ctrl:1
	v_add_f32_e32 v19, v24, v27
	v_cvt_i32_f32_e32 v0, v18
	v_cvt_f32_i32_dpp v27, v21 row_shl:8 row_mask:0xf bank_mask:0xf bound_ctrl:1
	v_cvt_i32_f32_e32 v16, v14
	v_add_f32_e32 v9, v10, v9
	v_add_f32_e32 v6, v6, v7
	v_mov_b32_dpp v15, v0 row_bcast:31 row_mask:0xf bank_mask:0xf bound_ctrl:1
	v_add_f32_e32 v0, v20, v27
	v_cvt_f32_i32_dpp v8, v16 row_shl:8 row_mask:0xf bank_mask:0xf bound_ctrl:1
	v_cvt_i32_f32_e32 v10, v9
	v_cvt_i32_f32_e32 v7, v6
	;; [unrolled: 1-line block ×3, first 2 shown]
	v_add_f32_e32 v8, v14, v8
	v_cvt_f32_i32_dpp v10, v10 row_shl:8 row_mask:0xf bank_mask:0xf bound_ctrl:1
	v_cvt_f32_i32_dpp v7, v7 row_shl:8 row_mask:0xf bank_mask:0xf bound_ctrl:1
	v_cvt_f32_i32_dpp v0, v0 row_shr:15 row_mask:0xf bank_mask:0xf bound_ctrl:1
	v_cvt_i32_f32_e32 v8, v8
	v_add_f32_e32 v9, v9, v10
	v_add_f32_e32 v6, v6, v7
	v_cvt_i32_f32_e32 v11, v0
	v_cvt_f32_i32_dpp v8, v8 row_shr:15 row_mask:0xf bank_mask:0xf bound_ctrl:1
	v_cvt_i32_f32_e32 v9, v9
	v_cvt_i32_f32_e32 v6, v6
	v_cvt_f32_i32_dpp v7, v11 row_bcast:15 row_mask:0xf bank_mask:0xf bound_ctrl:1
	v_cvt_i32_f32_e32 v10, v8
	v_cvt_f32_i32_dpp v9, v9 row_shr:15 row_mask:0xf bank_mask:0xf bound_ctrl:1
	v_cvt_f32_i32_dpp v6, v6 row_shr:15 row_mask:0xf bank_mask:0xf bound_ctrl:1
	v_add_f32_e32 v16, v0, v7
	v_cvt_f32_i32_dpp v7, v10 row_bcast:15 row_mask:0xf bank_mask:0xf bound_ctrl:1
	v_cvt_i32_f32_e32 v0, v9
	v_cvt_i32_f32_e32 v10, v6
	;; [unrolled: 1-line block ×3, first 2 shown]
	v_add_f32_e32 v12, v8, v7
	v_cvt_f32_i32_dpp v0, v0 row_bcast:15 row_mask:0xf bank_mask:0xf bound_ctrl:1
	v_cvt_f32_i32_dpp v7, v10 row_bcast:15 row_mask:0xf bank_mask:0xf bound_ctrl:1
	v_cvt_i32_f32_e32 v24, v19
	v_cvt_i32_f32_e32 v11, v16
	v_add_f32_e32 v10, v9, v0
	v_add_f32_e32 v8, v6, v7
	v_cvt_i32_f32_e32 v13, v12
	v_cvt_i32_f32_e32 v0, v10
	;; [unrolled: 1-line block ×3, first 2 shown]
	v_mov_b32_dpp v25, v25 row_bcast:31 row_mask:0xf bank_mask:0xf bound_ctrl:1
	v_mov_b32_dpp v21, v24 row_bcast:31 row_mask:0xf bank_mask:0xf bound_ctrl:1
	;; [unrolled: 1-line block ×6, first 2 shown]
	s_and_saveexec_b64 s[38:39], s[0:1]
	s_cbranch_execz .LBB214_81
; %bb.31:                               ;   in Loop: Header=BB214_12 Depth=1
	s_andn2_b64 vcc, exec, s[30:31]
	v_mov_b32_e32 v30, 0
	v_add_u32_e32 v0, 2, v62
	v_add_u32_e32 v6, 3, v62
	v_mov_b32_e32 v29, 0
	v_mov_b32_e32 v28, 0
	;; [unrolled: 1-line block ×7, first 2 shown]
	s_cbranch_vccnz .LBB214_33
; %bb.32:                               ;   in Loop: Header=BB214_12 Depth=1
	v_mul_hi_u32 v7, v62, v73
	v_mul_lo_u32 v7, v7, s16
	v_sub_u32_e32 v7, v62, v7
	v_subrev_u32_e32 v14, s16, v7
	v_cmp_le_u32_e32 vcc, s16, v7
	v_mov_b32_e32 v29, v1
	v_mov_b32_e32 v37, v1
	v_cndmask_b32_e32 v7, v7, v14, vcc
	v_subrev_u32_e32 v14, s16, v7
	v_cmp_le_u32_e32 vcc, s16, v7
	v_mov_b32_e32 v31, v1
	v_mov_b32_e32 v41, v1
	v_cndmask_b32_e32 v28, v7, v14, vcc
	v_add_u32_e32 v7, 1, v62
	v_mul_hi_u32 v14, v7, v73
	v_mul_lo_u32 v14, v14, s16
	v_sub_u32_e32 v7, v7, v14
	v_subrev_u32_e32 v14, s16, v7
	v_cmp_le_u32_e32 vcc, s16, v7
	v_lshl_add_u64 v[32:33], v[28:29], 1, s[22:23]
	v_add_u32_e32 v28, s17, v28
	v_cndmask_b32_e32 v7, v7, v14, vcc
	v_subrev_u32_e32 v14, s16, v7
	v_cmp_le_u32_e32 vcc, s16, v7
	v_lshl_add_u64 v[44:45], v[28:29], 1, s[22:23]
	s_nop 0
	v_cndmask_b32_e32 v30, v7, v14, vcc
	v_mul_hi_u32 v7, v0, v73
	v_mul_lo_u32 v7, v7, s16
	v_sub_u32_e32 v7, v0, v7
	v_subrev_u32_e32 v14, s16, v7
	v_cmp_le_u32_e32 vcc, s16, v7
	v_add_u32_e32 v28, s17, v30
	v_lshl_add_u64 v[46:47], v[28:29], 1, s[22:23]
	v_cndmask_b32_e32 v7, v7, v14, vcc
	v_subrev_u32_e32 v14, s16, v7
	v_cmp_le_u32_e32 vcc, s16, v7
	v_lshl_add_u64 v[34:35], v[30:31], 1, s[22:23]
	s_nop 0
	v_cndmask_b32_e32 v36, v7, v14, vcc
	v_mul_hi_u32 v7, v6, v73
	v_mul_lo_u32 v7, v7, s16
	v_sub_u32_e32 v7, v6, v7
	v_subrev_u32_e32 v14, s16, v7
	v_cmp_le_u32_e32 vcc, s16, v7
	v_add_u32_e32 v28, s17, v36
	v_lshl_add_u64 v[38:39], v[36:37], 1, s[22:23]
	v_cndmask_b32_e32 v7, v7, v14, vcc
	v_subrev_u32_e32 v14, s16, v7
	v_cmp_le_u32_e32 vcc, s16, v7
	v_lshl_add_u64 v[36:37], v[28:29], 1, s[22:23]
	s_nop 0
	v_cndmask_b32_e32 v40, v7, v14, vcc
	v_add_u32_e32 v28, s17, v40
	v_lshl_add_u64 v[42:43], v[40:41], 1, s[22:23]
	v_lshl_add_u64 v[40:41], v[28:29], 1, s[22:23]
	global_load_ushort v30, v[32:33], off
	global_load_ushort v29, v[34:35], off
	;; [unrolled: 1-line block ×8, first 2 shown]
.LBB214_33:                             ;   in Loop: Header=BB214_12 Depth=1
	v_cmp_ne_u32_e32 vcc, 0, v2
	s_and_saveexec_b64 s[8:9], vcc
	s_cbranch_execnz .LBB214_41
; %bb.34:                               ;   in Loop: Header=BB214_12 Depth=1
	s_or_b64 exec, exec, s[8:9]
	v_cmp_ne_u32_e64 s[6:7], 0, v3
	s_and_saveexec_b64 s[10:11], s[6:7]
	s_cbranch_execnz .LBB214_46
.LBB214_35:                             ;   in Loop: Header=BB214_12 Depth=1
	s_or_b64 exec, exec, s[10:11]
	v_cmp_ne_u32_e64 s[8:9], 0, v4
	s_and_saveexec_b64 s[12:13], s[8:9]
	s_cbranch_execnz .LBB214_51
.LBB214_36:                             ;   in Loop: Header=BB214_12 Depth=1
	s_or_b64 exec, exec, s[12:13]
	v_cmp_ne_u32_e64 s[10:11], 0, v5
	s_and_saveexec_b64 s[40:41], s[10:11]
	s_cbranch_execnz .LBB214_56
.LBB214_37:                             ;   in Loop: Header=BB214_12 Depth=1
	s_or_b64 exec, exec, s[40:41]
	v_add_u32_e32 v0, s27, v62
	s_and_saveexec_b64 s[12:13], vcc
	s_cbranch_execnz .LBB214_61
.LBB214_38:                             ;   in Loop: Header=BB214_12 Depth=1
	s_or_b64 exec, exec, s[12:13]
	s_and_saveexec_b64 s[12:13], s[6:7]
	s_cbranch_execnz .LBB214_66
.LBB214_39:                             ;   in Loop: Header=BB214_12 Depth=1
	s_or_b64 exec, exec, s[12:13]
	s_and_saveexec_b64 s[6:7], s[8:9]
	s_cbranch_execnz .LBB214_71
.LBB214_40:                             ;   in Loop: Header=BB214_12 Depth=1
	s_or_b64 exec, exec, s[6:7]
	s_and_b64 exec, exec, s[10:11]
	s_cbranch_execnz .LBB214_76
	s_branch .LBB214_81
.LBB214_41:                             ;   in Loop: Header=BB214_12 Depth=1
	v_cvt_f32_i32_e32 v25, v25
	v_add_f32_e32 v25, v26, v25
	s_waitcnt vmcnt(7)
	v_lshlrev_b32_e32 v26, 16, v30
	v_add_f32_e32 v26, v25, v26
	v_and_b32_e32 v25, 0x7f800000, v26
	v_cmp_ne_u32_e64 s[6:7], s52, v25
                                        ; implicit-def: $vgpr25
	s_and_saveexec_b64 s[10:11], s[6:7]
	s_xor_b64 s[6:7], exec, s[10:11]
; %bb.42:                               ;   in Loop: Header=BB214_12 Depth=1
	v_bfe_u32 v25, v26, 16, 1
	v_add3_u32 v25, v26, v25, s53
                                        ; implicit-def: $vgpr26
; %bb.43:                               ;   in Loop: Header=BB214_12 Depth=1
	s_andn2_saveexec_b64 s[10:11], s[6:7]
; %bb.44:                               ;   in Loop: Header=BB214_12 Depth=1
	v_or_b32_e32 v25, 0x10000, v26
	v_cmp_eq_u32_sdwa s[6:7], v26, v1 src0_sel:WORD_0 src1_sel:DWORD
	s_nop 1
	v_cndmask_b32_e64 v25, v25, v26, s[6:7]
; %bb.45:                               ;   in Loop: Header=BB214_12 Depth=1
	s_or_b64 exec, exec, s[10:11]
	v_mov_b32_e32 v63, v1
	v_lshl_add_u64 v[30:31], v[62:63], 1, s[14:15]
	global_store_short_d16_hi v[30:31], v25, off
	s_or_b64 exec, exec, s[8:9]
	v_cmp_ne_u32_e64 s[6:7], 0, v3
	s_and_saveexec_b64 s[10:11], s[6:7]
	s_cbranch_execz .LBB214_35
.LBB214_46:                             ;   in Loop: Header=BB214_12 Depth=1
	v_cvt_f32_i32_e32 v23, v23
	v_add_f32_e32 v22, v22, v23
	s_waitcnt vmcnt(6)
	v_lshlrev_b32_e32 v23, 16, v29
	v_add_f32_e32 v23, v22, v23
	v_and_b32_e32 v22, 0x7f800000, v23
	v_cmp_ne_u32_e64 s[8:9], s52, v22
                                        ; implicit-def: $vgpr22
	s_and_saveexec_b64 s[12:13], s[8:9]
	s_xor_b64 s[8:9], exec, s[12:13]
; %bb.47:                               ;   in Loop: Header=BB214_12 Depth=1
	v_bfe_u32 v22, v23, 16, 1
	v_add3_u32 v22, v23, v22, s53
                                        ; implicit-def: $vgpr23
; %bb.48:                               ;   in Loop: Header=BB214_12 Depth=1
	s_andn2_saveexec_b64 s[12:13], s[8:9]
; %bb.49:                               ;   in Loop: Header=BB214_12 Depth=1
	v_or_b32_e32 v22, 0x10000, v23
	v_cmp_eq_u32_sdwa s[8:9], v23, v1 src0_sel:WORD_0 src1_sel:DWORD
	s_nop 1
	v_cndmask_b32_e64 v22, v22, v23, s[8:9]
; %bb.50:                               ;   in Loop: Header=BB214_12 Depth=1
	s_or_b64 exec, exec, s[12:13]
	v_mov_b32_e32 v63, v1
	v_lshl_add_u64 v[30:31], v[62:63], 1, s[34:35]
	global_store_short_d16_hi v[30:31], v22, off
	s_or_b64 exec, exec, s[10:11]
	v_cmp_ne_u32_e64 s[8:9], 0, v4
	s_and_saveexec_b64 s[12:13], s[8:9]
	s_cbranch_execz .LBB214_36
.LBB214_51:                             ;   in Loop: Header=BB214_12 Depth=1
	v_cvt_f32_i32_e32 v21, v21
	v_add_f32_e32 v19, v19, v21
	s_waitcnt vmcnt(5)
	v_lshlrev_b32_e32 v21, 16, v28
	v_add_f32_e32 v21, v19, v21
	v_and_b32_e32 v19, 0x7f800000, v21
	v_cmp_ne_u32_e64 s[10:11], s52, v19
                                        ; implicit-def: $vgpr19
	s_and_saveexec_b64 s[40:41], s[10:11]
	s_xor_b64 s[10:11], exec, s[40:41]
; %bb.52:                               ;   in Loop: Header=BB214_12 Depth=1
	v_bfe_u32 v19, v21, 16, 1
	v_add3_u32 v19, v21, v19, s53
                                        ; implicit-def: $vgpr21
; %bb.53:                               ;   in Loop: Header=BB214_12 Depth=1
	s_andn2_saveexec_b64 s[40:41], s[10:11]
; %bb.54:                               ;   in Loop: Header=BB214_12 Depth=1
	v_or_b32_e32 v19, 0x10000, v21
	v_cmp_eq_u32_sdwa s[10:11], v21, v1 src0_sel:WORD_0 src1_sel:DWORD
	s_nop 1
	v_cndmask_b32_e64 v19, v19, v21, s[10:11]
; %bb.55:                               ;   in Loop: Header=BB214_12 Depth=1
	s_or_b64 exec, exec, s[40:41]
	v_lshl_add_u64 v[22:23], v[0:1], 1, s[14:15]
	global_store_short_d16_hi v[22:23], v19, off
	s_or_b64 exec, exec, s[12:13]
	v_cmp_ne_u32_e64 s[10:11], 0, v5
	s_and_saveexec_b64 s[40:41], s[10:11]
	s_cbranch_execz .LBB214_37
.LBB214_56:                             ;   in Loop: Header=BB214_12 Depth=1
	v_cvt_f32_i32_e32 v0, v15
	s_waitcnt vmcnt(4)
	v_lshlrev_b32_e32 v7, 16, v7
	v_add_f32_e32 v0, v18, v0
	v_add_f32_e32 v7, v0, v7
	v_and_b32_e32 v0, 0x7f800000, v7
	v_cmp_ne_u32_e64 s[12:13], s52, v0
                                        ; implicit-def: $vgpr0
	s_and_saveexec_b64 s[42:43], s[12:13]
	s_xor_b64 s[12:13], exec, s[42:43]
; %bb.57:                               ;   in Loop: Header=BB214_12 Depth=1
	v_bfe_u32 v0, v7, 16, 1
	v_add3_u32 v0, v7, v0, s53
                                        ; implicit-def: $vgpr7
; %bb.58:                               ;   in Loop: Header=BB214_12 Depth=1
	s_andn2_saveexec_b64 s[42:43], s[12:13]
; %bb.59:                               ;   in Loop: Header=BB214_12 Depth=1
	v_or_b32_e32 v0, 0x10000, v7
	v_cmp_eq_u32_sdwa s[12:13], v7, v1 src0_sel:WORD_0 src1_sel:DWORD
	s_nop 1
	v_cndmask_b32_e64 v0, v0, v7, s[12:13]
; %bb.60:                               ;   in Loop: Header=BB214_12 Depth=1
	s_or_b64 exec, exec, s[42:43]
	v_mov_b32_e32 v7, v1
	v_lshl_add_u64 v[6:7], v[6:7], 1, s[14:15]
	global_store_short_d16_hi v[6:7], v0, off
	s_or_b64 exec, exec, s[40:41]
	v_add_u32_e32 v0, s27, v62
	s_and_saveexec_b64 s[12:13], vcc
	s_cbranch_execz .LBB214_38
.LBB214_61:                             ;   in Loop: Header=BB214_12 Depth=1
	v_cvt_f32_i32_e32 v6, v17
	s_waitcnt vmcnt(3)
	v_lshlrev_b32_e32 v7, 16, v27
	v_add_f32_e32 v6, v16, v6
	v_add_f32_e32 v7, v6, v7
	v_and_b32_e32 v6, 0x7f800000, v7
	v_cmp_ne_u32_e32 vcc, s52, v6
                                        ; implicit-def: $vgpr6
	s_and_saveexec_b64 s[40:41], vcc
	s_xor_b64 s[40:41], exec, s[40:41]
; %bb.62:                               ;   in Loop: Header=BB214_12 Depth=1
	v_bfe_u32 v6, v7, 16, 1
	v_add3_u32 v6, v7, v6, s53
                                        ; implicit-def: $vgpr7
; %bb.63:                               ;   in Loop: Header=BB214_12 Depth=1
	s_andn2_saveexec_b64 s[40:41], s[40:41]
; %bb.64:                               ;   in Loop: Header=BB214_12 Depth=1
	v_or_b32_e32 v6, 0x10000, v7
	v_cmp_eq_u32_sdwa vcc, v7, v1 src0_sel:WORD_0 src1_sel:DWORD
	s_nop 1
	v_cndmask_b32_e32 v6, v6, v7, vcc
; %bb.65:                               ;   in Loop: Header=BB214_12 Depth=1
	s_or_b64 exec, exec, s[40:41]
	v_lshl_add_u64 v[16:17], v[0:1], 1, s[14:15]
	global_store_short_d16_hi v[16:17], v6, off
	s_or_b64 exec, exec, s[12:13]
	s_and_saveexec_b64 s[12:13], s[6:7]
	s_cbranch_execz .LBB214_39
.LBB214_66:                             ;   in Loop: Header=BB214_12 Depth=1
	v_cvt_f32_i32_e32 v6, v13
	s_waitcnt vmcnt(2)
	v_lshlrev_b32_e32 v7, 16, v24
	v_add_f32_e32 v6, v12, v6
	v_add_f32_e32 v7, v6, v7
	v_and_b32_e32 v6, 0x7f800000, v7
	v_cmp_ne_u32_e32 vcc, s52, v6
                                        ; implicit-def: $vgpr6
	s_and_saveexec_b64 s[6:7], vcc
	s_xor_b64 s[6:7], exec, s[6:7]
; %bb.67:                               ;   in Loop: Header=BB214_12 Depth=1
	v_bfe_u32 v6, v7, 16, 1
	v_add3_u32 v6, v7, v6, s53
                                        ; implicit-def: $vgpr7
; %bb.68:                               ;   in Loop: Header=BB214_12 Depth=1
	s_andn2_saveexec_b64 s[6:7], s[6:7]
; %bb.69:                               ;   in Loop: Header=BB214_12 Depth=1
	v_or_b32_e32 v6, 0x10000, v7
	v_cmp_eq_u32_sdwa vcc, v7, v1 src0_sel:WORD_0 src1_sel:DWORD
	s_nop 1
	v_cndmask_b32_e32 v6, v6, v7, vcc
; %bb.70:                               ;   in Loop: Header=BB214_12 Depth=1
	s_or_b64 exec, exec, s[6:7]
	v_add_u32_e32 v12, 1, v0
	v_mov_b32_e32 v13, v1
	v_lshl_add_u64 v[12:13], v[12:13], 1, s[14:15]
	global_store_short_d16_hi v[12:13], v6, off
	s_or_b64 exec, exec, s[12:13]
	s_and_saveexec_b64 s[6:7], s[8:9]
	s_cbranch_execz .LBB214_40
.LBB214_71:                             ;   in Loop: Header=BB214_12 Depth=1
	v_cvt_f32_i32_e32 v6, v11
	s_waitcnt vmcnt(1)
	v_lshlrev_b32_e32 v7, 16, v20
	v_add_f32_e32 v6, v10, v6
	v_add_f32_e32 v7, v6, v7
	v_and_b32_e32 v6, 0x7f800000, v7
	v_cmp_ne_u32_e32 vcc, s52, v6
                                        ; implicit-def: $vgpr6
	s_and_saveexec_b64 s[8:9], vcc
	s_xor_b64 s[8:9], exec, s[8:9]
; %bb.72:                               ;   in Loop: Header=BB214_12 Depth=1
	v_bfe_u32 v6, v7, 16, 1
	v_add3_u32 v6, v7, v6, s53
                                        ; implicit-def: $vgpr7
; %bb.73:                               ;   in Loop: Header=BB214_12 Depth=1
	s_andn2_saveexec_b64 s[8:9], s[8:9]
; %bb.74:                               ;   in Loop: Header=BB214_12 Depth=1
	v_or_b32_e32 v6, 0x10000, v7
	v_cmp_eq_u32_sdwa vcc, v7, v1 src0_sel:WORD_0 src1_sel:DWORD
	s_nop 1
	v_cndmask_b32_e32 v6, v6, v7, vcc
; %bb.75:                               ;   in Loop: Header=BB214_12 Depth=1
	s_or_b64 exec, exec, s[8:9]
	v_add_u32_e32 v10, 2, v0
	v_mov_b32_e32 v11, v1
	v_lshl_add_u64 v[10:11], v[10:11], 1, s[14:15]
	global_store_short_d16_hi v[10:11], v6, off
	s_or_b64 exec, exec, s[6:7]
	s_and_b64 exec, exec, s[10:11]
	s_cbranch_execz .LBB214_81
.LBB214_76:                             ;   in Loop: Header=BB214_12 Depth=1
	v_cvt_f32_i32_e32 v6, v9
	s_waitcnt vmcnt(0)
	v_lshlrev_b32_e32 v7, 16, v14
	v_add_f32_e32 v6, v8, v6
	v_add_f32_e32 v7, v6, v7
	v_and_b32_e32 v6, 0x7f800000, v7
	v_cmp_ne_u32_e32 vcc, s52, v6
                                        ; implicit-def: $vgpr6
	s_and_saveexec_b64 s[6:7], vcc
	s_xor_b64 s[6:7], exec, s[6:7]
; %bb.77:                               ;   in Loop: Header=BB214_12 Depth=1
	v_bfe_u32 v6, v7, 16, 1
	v_add3_u32 v6, v7, v6, s53
                                        ; implicit-def: $vgpr7
; %bb.78:                               ;   in Loop: Header=BB214_12 Depth=1
	s_andn2_saveexec_b64 s[6:7], s[6:7]
; %bb.79:                               ;   in Loop: Header=BB214_12 Depth=1
	v_or_b32_e32 v6, 0x10000, v7
	v_cmp_eq_u32_sdwa vcc, v7, v1 src0_sel:WORD_0 src1_sel:DWORD
	s_nop 1
	v_cndmask_b32_e32 v6, v6, v7, vcc
; %bb.80:                               ;   in Loop: Header=BB214_12 Depth=1
	s_or_b64 exec, exec, s[6:7]
	v_add_u32_e32 v0, 3, v0
	v_lshl_add_u64 v[8:9], v[0:1], 1, s[14:15]
	global_store_short_d16_hi v[8:9], v6, off
.LBB214_81:                             ;   in Loop: Header=BB214_12 Depth=1
	s_or_b64 exec, exec, s[38:39]
	v_add_u32_e32 v62, s48, v62
	v_add_u32_e32 v0, 4, v62
	v_cmp_gt_u32_e32 vcc, s27, v62
	v_cmp_le_u32_e64 s[6:7], s27, v0
	s_and_b64 s[6:7], vcc, s[6:7]
	s_and_saveexec_b64 s[8:9], s[6:7]
	s_cbranch_execz .LBB214_10
; %bb.82:                               ;   in Loop: Header=BB214_12 Depth=1
	v_cmp_ne_u32_e32 vcc, s49, v62
	s_and_saveexec_b64 s[10:11], vcc
	s_cbranch_execz .LBB214_9
; %bb.83:                               ;   in Loop: Header=BB214_12 Depth=1
	v_subrev_u32_e32 v0, s49, v62
	v_cmp_lt_u32_e32 vcc, 1, v0
	s_mov_b64 s[12:13], 0
	s_mov_b64 s[38:39], 0
	v_cndmask_b32_e32 v0, 1, v0, vcc
.LBB214_84:                             ;   Parent Loop BB214_12 Depth=1
                                        ; =>  This Inner Loop Header: Depth=2
	s_cmp_lg_u32 s38, 3
	s_cselect_b64 vcc, -1, 0
	s_cmp_lg_u32 s38, 2
	v_cndmask_b32_e32 v5, 0, v5, vcc
	s_cselect_b64 vcc, -1, 0
	s_cmp_lg_u32 s38, 1
	v_cndmask_b32_e32 v4, 0, v4, vcc
	;; [unrolled: 3-line block ×3, first 2 shown]
	s_cselect_b64 vcc, -1, 0
	s_add_u32 s38, s38, 1
	s_addc_u32 s39, s39, 0
	v_cmp_eq_u32_e64 s[6:7], s38, v0
	s_or_b64 s[12:13], s[6:7], s[12:13]
	v_cndmask_b32_e32 v2, 0, v2, vcc
	s_andn2_b64 exec, exec, s[12:13]
	s_cbranch_execnz .LBB214_84
; %bb.85:                               ;   in Loop: Header=BB214_12 Depth=1
	s_or_b64 exec, exec, s[12:13]
	s_branch .LBB214_9
.LBB214_86:
	s_endpgm
	.section	.rodata,"a",@progbits
	.p2align	6, 0x0
	.amdhsa_kernel _Z16wvSplitK_hf_big_I14__hip_bfloat16Li64ELi4ELi16ELi8ELi1ELi2EEviiiiiiPKT_S3_S3_PS1_ii
		.amdhsa_group_segment_fixed_size 65536
		.amdhsa_private_segment_fixed_size 0
		.amdhsa_kernarg_size 64
		.amdhsa_user_sgpr_count 2
		.amdhsa_user_sgpr_dispatch_ptr 0
		.amdhsa_user_sgpr_queue_ptr 0
		.amdhsa_user_sgpr_kernarg_segment_ptr 1
		.amdhsa_user_sgpr_dispatch_id 0
		.amdhsa_user_sgpr_kernarg_preload_length 0
		.amdhsa_user_sgpr_kernarg_preload_offset 0
		.amdhsa_user_sgpr_private_segment_size 0
		.amdhsa_uses_dynamic_stack 0
		.amdhsa_enable_private_segment 0
		.amdhsa_system_sgpr_workgroup_id_x 1
		.amdhsa_system_sgpr_workgroup_id_y 0
		.amdhsa_system_sgpr_workgroup_id_z 0
		.amdhsa_system_sgpr_workgroup_info 0
		.amdhsa_system_vgpr_workitem_id 1
		.amdhsa_next_free_vgpr 77
		.amdhsa_next_free_sgpr 54
		.amdhsa_accum_offset 80
		.amdhsa_reserve_vcc 1
		.amdhsa_float_round_mode_32 0
		.amdhsa_float_round_mode_16_64 0
		.amdhsa_float_denorm_mode_32 3
		.amdhsa_float_denorm_mode_16_64 3
		.amdhsa_dx10_clamp 1
		.amdhsa_ieee_mode 1
		.amdhsa_fp16_overflow 0
		.amdhsa_tg_split 0
		.amdhsa_exception_fp_ieee_invalid_op 0
		.amdhsa_exception_fp_denorm_src 0
		.amdhsa_exception_fp_ieee_div_zero 0
		.amdhsa_exception_fp_ieee_overflow 0
		.amdhsa_exception_fp_ieee_underflow 0
		.amdhsa_exception_fp_ieee_inexact 0
		.amdhsa_exception_int_div_zero 0
	.end_amdhsa_kernel
	.section	.text._Z16wvSplitK_hf_big_I14__hip_bfloat16Li64ELi4ELi16ELi8ELi1ELi2EEviiiiiiPKT_S3_S3_PS1_ii,"axG",@progbits,_Z16wvSplitK_hf_big_I14__hip_bfloat16Li64ELi4ELi16ELi8ELi1ELi2EEviiiiiiPKT_S3_S3_PS1_ii,comdat
.Lfunc_end214:
	.size	_Z16wvSplitK_hf_big_I14__hip_bfloat16Li64ELi4ELi16ELi8ELi1ELi2EEviiiiiiPKT_S3_S3_PS1_ii, .Lfunc_end214-_Z16wvSplitK_hf_big_I14__hip_bfloat16Li64ELi4ELi16ELi8ELi1ELi2EEviiiiiiPKT_S3_S3_PS1_ii
                                        ; -- End function
	.section	.AMDGPU.csdata,"",@progbits
; Kernel info:
; codeLenInByte = 4332
; NumSgprs: 60
; NumVgprs: 77
; NumAgprs: 0
; TotalNumVgprs: 77
; ScratchSize: 0
; MemoryBound: 0
; FloatMode: 240
; IeeeMode: 1
; LDSByteSize: 65536 bytes/workgroup (compile time only)
; SGPRBlocks: 7
; VGPRBlocks: 9
; NumSGPRsForWavesPerEU: 60
; NumVGPRsForWavesPerEU: 77
; AccumOffset: 80
; Occupancy: 4
; WaveLimiterHint : 0
; COMPUTE_PGM_RSRC2:SCRATCH_EN: 0
; COMPUTE_PGM_RSRC2:USER_SGPR: 2
; COMPUTE_PGM_RSRC2:TRAP_HANDLER: 0
; COMPUTE_PGM_RSRC2:TGID_X_EN: 1
; COMPUTE_PGM_RSRC2:TGID_Y_EN: 0
; COMPUTE_PGM_RSRC2:TGID_Z_EN: 0
; COMPUTE_PGM_RSRC2:TIDIG_COMP_CNT: 1
; COMPUTE_PGM_RSRC3_GFX90A:ACCUM_OFFSET: 19
; COMPUTE_PGM_RSRC3_GFX90A:TG_SPLIT: 0
	.section	.text._Z16wvSplitK_hf_sml_I14__hip_bfloat16Li64ELi4ELi16ELi8ELi2ELi2EEviiiiiiPKT_S3_S3_PS1_ii,"axG",@progbits,_Z16wvSplitK_hf_sml_I14__hip_bfloat16Li64ELi4ELi16ELi8ELi2ELi2EEviiiiiiPKT_S3_S3_PS1_ii,comdat
	.protected	_Z16wvSplitK_hf_sml_I14__hip_bfloat16Li64ELi4ELi16ELi8ELi2ELi2EEviiiiiiPKT_S3_S3_PS1_ii ; -- Begin function _Z16wvSplitK_hf_sml_I14__hip_bfloat16Li64ELi4ELi16ELi8ELi2ELi2EEviiiiiiPKT_S3_S3_PS1_ii
	.globl	_Z16wvSplitK_hf_sml_I14__hip_bfloat16Li64ELi4ELi16ELi8ELi2ELi2EEviiiiiiPKT_S3_S3_PS1_ii
	.p2align	8
	.type	_Z16wvSplitK_hf_sml_I14__hip_bfloat16Li64ELi4ELi16ELi8ELi2ELi2EEviiiiiiPKT_S3_S3_PS1_ii,@function
_Z16wvSplitK_hf_sml_I14__hip_bfloat16Li64ELi4ELi16ELi8ELi2ELi2EEviiiiiiPKT_S3_S3_PS1_ii: ; @_Z16wvSplitK_hf_sml_I14__hip_bfloat16Li64ELi4ELi16ELi8ELi2ELi2EEviiiiiiPKT_S3_S3_PS1_ii
; %bb.0:
	s_load_dwordx4 s[4:7], s[0:1], 0x0
	s_load_dwordx2 s[8:9], s[0:1], 0x10
	s_load_dwordx2 s[10:11], s[0:1], 0x28
	v_and_b32_e32 v2, 0x3ff, v0
	v_bfe_u32 v3, v0, 10, 10
	v_lshlrev_b32_e32 v92, 3, v2
	s_waitcnt lgkmcnt(0)
	s_lshl_b32 s6, s6, 1
	v_lshl_add_u32 v4, v3, 9, v92
	s_min_u32 s3, s6, 0x8000
	v_cmp_gt_u32_e32 vcc, s3, v4
	s_and_saveexec_b64 s[12:13], vcc
	s_cbranch_execz .LBB215_3
; %bb.1:
	s_load_dwordx2 s[14:15], s[0:1], 0x20
	v_mov_b32_e32 v7, 0
	v_lshlrev_b32_e32 v6, 10, v3
	v_lshlrev_b32_e32 v8, 4, v2
	v_mov_b32_e32 v9, v7
	v_lshl_add_u64 v[0:1], v[6:7], 0, v[8:9]
	s_waitcnt lgkmcnt(0)
	v_lshl_add_u64 v[0:1], s[14:15], 0, v[0:1]
	v_add_u32_e32 v5, v6, v8
	s_mov_b64 s[14:15], 0
	s_mov_b64 s[16:17], 0x4000
.LBB215_2:                              ; =>This Inner Loop Header: Depth=1
	global_load_dwordx4 v[6:9], v[0:1], off
	v_add_u32_e32 v4, 0x2000, v4
	v_cmp_le_u32_e32 vcc, s3, v4
	v_lshl_add_u64 v[0:1], v[0:1], 0, s[16:17]
	s_or_b64 s[14:15], vcc, s[14:15]
	s_waitcnt vmcnt(0)
	ds_write_b128 v5, v[6:9]
	v_add_u32_e32 v5, 0x4000, v5
	s_andn2_b64 exec, exec, s[14:15]
	s_cbranch_execnz .LBB215_2
.LBB215_3:
	s_or_b64 exec, exec, s[12:13]
	s_load_dwordx2 s[16:17], s[0:1], 0x38
	s_waitcnt lgkmcnt(0)
	s_barrier
	v_cmp_gt_u32_e32 vcc, s16, v3
	s_and_saveexec_b64 s[12:13], vcc
	s_cbranch_execz .LBB215_50
; %bb.4:
	s_mul_i32 s2, s2, s16
	v_add_lshl_u32 v80, s2, v3, 2
	v_cmp_gt_u32_e32 vcc, s7, v80
	s_and_b64 exec, exec, vcc
	s_cbranch_execz .LBB215_50
; %bb.5:
	v_cvt_f32_u32_e32 v0, s8
	s_cmp_lg_u32 s4, 0
	s_cselect_b64 s[2:3], -1, 0
	s_add_i32 s24, s4, -8
	v_rcp_iflag_f32_e32 v0, v0
	s_add_i32 s25, s7, -1
	s_mul_i32 s20, s16, s17
	s_cmp_lg_u64 s[10:11], 0
	v_mul_f32_e32 v0, 0x4f7ffffe, v0
	v_cvt_u32_f32_e32 v0, v0
	s_cselect_b64 s[18:19], -1, 0
	s_lshl_b32 s26, s20, 2
	s_sub_i32 s20, 0, s8
	s_abs_i32 s9, s9
	v_mul_lo_u32 v1, s20, v0
	s_sub_i32 s20, 1, s9
	s_cmp_lt_u32 s9, 2
	s_load_dwordx2 s[12:13], s[0:1], 0x18
	s_load_dwordx2 s[14:15], s[0:1], 0x30
	s_cselect_b32 s20, s20, 1
	s_sub_i32 s21, s20, s9
	v_mul_hi_u32 v1, v0, v1
	s_cmp_ge_u32 s20, s9
	v_add_u32_e32 v93, v0, v1
	s_cselect_b32 s9, s21, s20
	v_cndmask_b32_e64 v0, 0, 1, s[2:3]
	v_cmp_eq_u32_e64 s[0:1], 63, v2
	s_mov_b64 s[16:17], 0
	v_mov_b32_e32 v83, 0
	s_mul_i32 s9, s9, s8
	v_lshlrev_b32_e32 v94, 4, v2
	v_cmp_ne_u32_e64 s[2:3], 1, v0
	s_mov_b32 s27, 0x7f800000
	s_movk_i32 s28, 0x7fff
	s_branch .LBB215_8
.LBB215_6:                              ;   in Loop: Header=BB215_8 Depth=1
	s_or_b64 exec, exec, s[22:23]
	v_add_u32_e32 v82, 3, v82
	v_lshl_add_u64 v[2:3], v[82:83], 1, s[14:15]
	global_store_short_d16_hi v[2:3], v0, off
.LBB215_7:                              ;   in Loop: Header=BB215_8 Depth=1
	s_or_b64 exec, exec, s[20:21]
	v_add_u32_e32 v80, s26, v80
	v_cmp_le_u32_e32 vcc, s7, v80
	s_or_b64 s[16:17], vcc, s[16:17]
	s_andn2_b64 exec, exec, s[16:17]
	s_cbranch_execz .LBB215_50
.LBB215_8:                              ; =>This Loop Header: Depth=1
                                        ;     Child Loop BB215_12 Depth 2
	s_and_b64 vcc, exec, s[2:3]
	v_mov_b32_e32 v7, v83
	v_mov_b32_e32 v6, v83
	;; [unrolled: 1-line block ×32, first 2 shown]
	s_cbranch_vccnz .LBB215_15
; %bb.9:                                ;   in Loop: Header=BB215_8 Depth=1
	v_min_u32_e32 v0, s25, v80
	v_mul_lo_u32 v82, v0, s5
	v_or_b32_e32 v0, 1, v80
	v_or_b32_e32 v2, 2, v80
	;; [unrolled: 1-line block ×3, first 2 shown]
	v_min_u32_e32 v0, s25, v0
	v_min_u32_e32 v2, s25, v2
	;; [unrolled: 1-line block ×3, first 2 shown]
	v_mul_lo_u32 v0, v0, s5
	v_mov_b32_e32 v1, v83
	v_mul_lo_u32 v2, v2, s5
	v_mov_b32_e32 v3, v83
	;; [unrolled: 2-line block ×3, first 2 shown]
	v_mov_b32_e32 v28, 0
	s_mov_b32 s29, 0
	v_lshlrev_b64 v[84:85], 1, v[82:83]
	v_lshlrev_b64 v[86:87], 1, v[0:1]
	;; [unrolled: 1-line block ×4, first 2 shown]
	v_mov_b32_e32 v81, v94
	v_mov_b32_e32 v29, v28
	;; [unrolled: 1-line block ×32, first 2 shown]
	s_branch .LBB215_12
.LBB215_10:                             ;   in Loop: Header=BB215_12 Depth=2
	s_or_b64 exec, exec, s[22:23]
.LBB215_11:                             ;   in Loop: Header=BB215_12 Depth=2
	s_or_b64 exec, exec, s[20:21]
	s_waitcnt vmcnt(7) lgkmcnt(1)
	v_mfma_f32_4x4x4_16b_bf16 v[28:31], v[76:77], v[60:61], v[28:31]
	s_addk_i32 s29, 0x400
	s_waitcnt vmcnt(6)
	v_mfma_f32_4x4x4_16b_bf16 v[24:27], v[76:77], v[56:57], v[24:27]
	v_add_u32_e32 v81, 0x800, v81
	s_waitcnt vmcnt(5)
	v_mfma_f32_4x4x4_16b_bf16 v[20:23], v[76:77], v[68:69], v[20:23]
	s_cmp_ge_u32 s29, s4
	s_waitcnt vmcnt(4)
	v_mfma_f32_4x4x4_16b_bf16 v[16:19], v[76:77], v[64:65], v[16:19]
	s_waitcnt lgkmcnt(0)
	v_mfma_f32_4x4x4_16b_bf16 v[12:15], v[72:73], v[60:61], v[12:15]
	v_mfma_f32_4x4x4_16b_bf16 v[8:11], v[72:73], v[56:57], v[8:11]
	;; [unrolled: 1-line block ×12, first 2 shown]
	s_waitcnt vmcnt(3)
	v_mfma_f32_4x4x4_16b_bf16 v[28:31], v[52:53], v[44:45], v[28:31]
	s_waitcnt vmcnt(2)
	v_mfma_f32_4x4x4_16b_bf16 v[24:27], v[52:53], v[40:41], v[24:27]
	;; [unrolled: 2-line block ×4, first 2 shown]
	v_mfma_f32_4x4x4_16b_bf16 v[12:15], v[36:37], v[44:45], v[12:15]
	v_mfma_f32_4x4x4_16b_bf16 v[8:11], v[36:37], v[40:41], v[8:11]
	;; [unrolled: 1-line block ×12, first 2 shown]
	s_cbranch_scc1 .LBB215_15
.LBB215_12:                             ;   Parent Loop BB215_8 Depth=1
                                        ; =>  This Inner Loop Header: Depth=2
	v_add_u32_e32 v38, s29, v92
	v_min_u32_e32 v82, s24, v38
	s_waitcnt lgkmcnt(0)
	v_lshl_add_u64 v[32:33], v[82:83], 1, s[12:13]
	v_lshl_add_u64 v[34:35], v[32:33], 0, v[84:85]
	v_add_u32_e32 v95, 0x200, v38
	v_lshl_add_u64 v[36:37], v[32:33], 0, v[86:87]
	global_load_dwordx4 v[60:63], v[34:35], off nt
	global_load_dwordx4 v[56:59], v[36:37], off nt
	v_lshl_add_u64 v[34:35], v[32:33], 0, v[88:89]
	v_lshl_add_u64 v[32:33], v[32:33], 0, v[90:91]
	v_min_u32_e32 v82, s24, v95
	global_load_dwordx4 v[68:71], v[34:35], off nt
	global_load_dwordx4 v[64:67], v[32:33], off nt
	v_lshl_add_u64 v[32:33], v[82:83], 1, s[12:13]
	v_lshl_add_u64 v[34:35], v[32:33], 0, v[84:85]
	;; [unrolled: 1-line block ×3, first 2 shown]
	global_load_dwordx4 v[44:47], v[34:35], off nt
	global_load_dwordx4 v[40:43], v[36:37], off nt
	v_lshl_add_u64 v[34:35], v[32:33], 0, v[88:89]
	v_lshl_add_u64 v[32:33], v[32:33], 0, v[90:91]
	global_load_dwordx4 v[48:51], v[34:35], off nt
	s_nop 0
	global_load_dwordx4 v[32:35], v[32:33], off nt
	v_cmp_gt_u32_e32 vcc, s4, v38
	v_mov_b32_e32 v38, 0
	v_mov_b32_e32 v39, 0
	;; [unrolled: 1-line block ×16, first 2 shown]
	s_and_saveexec_b64 s[20:21], vcc
	s_cbranch_execz .LBB215_11
; %bb.13:                               ;   in Loop: Header=BB215_12 Depth=2
	v_add_u32_e32 v82, s6, v81
	ds_read_b128 v[76:79], v81
	ds_read_b128 v[72:75], v82
	v_cmp_gt_u32_e32 vcc, s4, v95
	v_mov_b32_e32 v53, 0
	v_mov_b32_e32 v52, 0
	;; [unrolled: 1-line block ×8, first 2 shown]
	s_and_saveexec_b64 s[22:23], vcc
	s_cbranch_execz .LBB215_10
; %bb.14:                               ;   in Loop: Header=BB215_12 Depth=2
	ds_read_b128 v[52:55], v81 offset:1024
	ds_read_b128 v[36:39], v82 offset:1024
	s_branch .LBB215_10
.LBB215_15:                             ;   in Loop: Header=BB215_8 Depth=1
	; sched_barrier mask(0x00000000)
	v_cvt_i32_f32_e32 v29, v29
	v_cvt_i32_f32_e32 v30, v30
	;; [unrolled: 1-line block ×4, first 2 shown]
	v_cvt_f32_i32_dpp v29, v29 row_shl:1 row_mask:0xf bank_mask:0xf bound_ctrl:1
	v_cvt_f32_i32_dpp v30, v30 row_shl:2 row_mask:0xf bank_mask:0xf bound_ctrl:1
	;; [unrolled: 1-line block ×3, first 2 shown]
	v_cvt_i32_f32_e32 v26, v26
	v_add_f32_e32 v28, v28, v29
	v_add_f32_e32 v28, v28, v30
	v_add_f32_e32 v28, v28, v31
	v_cvt_i32_f32_e32 v29, v28
	v_cvt_i32_f32_e32 v27, v27
	v_cvt_f32_i32_dpp v25, v25 row_shl:1 row_mask:0xf bank_mask:0xf bound_ctrl:1
	v_cvt_f32_i32_dpp v26, v26 row_shl:2 row_mask:0xf bank_mask:0xf bound_ctrl:1
	;; [unrolled: 1-line block ×4, first 2 shown]
	v_add_f32_e32 v24, v24, v25
	v_cvt_i32_f32_e32 v21, v21
	v_add_f32_e32 v28, v28, v29
	v_cvt_i32_f32_e32 v29, v28
	v_add_f32_e32 v24, v24, v26
	v_cvt_i32_f32_e32 v22, v22
	v_add_f32_e32 v24, v24, v27
	v_cvt_f32_i32_dpp v25, v29 row_shl:8 row_mask:0xf bank_mask:0xf bound_ctrl:1
	v_cvt_i32_f32_e32 v23, v23
	v_cvt_i32_f32_e32 v26, v24
	v_cvt_f32_i32_dpp v21, v21 row_shl:1 row_mask:0xf bank_mask:0xf bound_ctrl:1
	v_add_f32_e32 v25, v28, v25
	v_cvt_i32_f32_e32 v25, v25
	v_cvt_f32_i32_dpp v22, v22 row_shl:2 row_mask:0xf bank_mask:0xf bound_ctrl:1
	v_cvt_f32_i32_dpp v26, v26 row_shl:4 row_mask:0xf bank_mask:0xf bound_ctrl:1
	;; [unrolled: 1-line block ×3, first 2 shown]
	v_cvt_f32_i32_dpp v25, v25 row_shr:15 row_mask:0xf bank_mask:0xf bound_ctrl:1
	v_add_f32_e32 v20, v20, v21
	v_add_f32_e32 v20, v20, v22
	;; [unrolled: 1-line block ×4, first 2 shown]
	v_cvt_i32_f32_e32 v24, v21
	v_cvt_i32_f32_e32 v26, v25
	;; [unrolled: 1-line block ×4, first 2 shown]
	v_cvt_f32_i32_dpp v23, v24 row_shl:8 row_mask:0xf bank_mask:0xf bound_ctrl:1
	v_cvt_f32_i32_dpp v24, v26 row_bcast:15 row_mask:0xf bank_mask:0xf bound_ctrl:1
	v_cvt_f32_i32_dpp v26, v20 row_shl:4 row_mask:0xf bank_mask:0xf bound_ctrl:1
	v_cvt_i32_f32_e32 v18, v18
	v_add_f32_e32 v21, v21, v23
	v_cvt_i32_f32_e32 v19, v19
	v_add_f32_e32 v22, v22, v26
	v_cvt_i32_f32_e32 v23, v22
	v_cvt_f32_i32_dpp v17, v17 row_shl:1 row_mask:0xf bank_mask:0xf bound_ctrl:1
	v_cvt_f32_i32_dpp v18, v18 row_shl:2 row_mask:0xf bank_mask:0xf bound_ctrl:1
	;; [unrolled: 1-line block ×4, first 2 shown]
	v_add_f32_e32 v16, v16, v17
	v_add_f32_e32 v16, v16, v18
	;; [unrolled: 1-line block ×4, first 2 shown]
	v_cvt_i32_f32_e32 v21, v21
	v_cvt_i32_f32_e32 v17, v16
	;; [unrolled: 1-line block ×7, first 2 shown]
	v_add_f32_e32 v20, v25, v24
	v_cvt_i32_f32_e32 v15, v15
	v_cvt_f32_i32_dpp v18, v21 row_shr:15 row_mask:0xf bank_mask:0xf bound_ctrl:1
	v_cvt_f32_i32_dpp v17, v17 row_shl:4 row_mask:0xf bank_mask:0xf bound_ctrl:1
	v_cvt_i32_f32_e32 v21, v20
	v_cvt_f32_i32_dpp v19, v19 row_shr:15 row_mask:0xf bank_mask:0xf bound_ctrl:1
	v_cvt_f32_i32_dpp v1, v1 row_shl:1 row_mask:0xf bank_mask:0xf bound_ctrl:1
	v_cvt_f32_i32_dpp v13, v13 row_shl:1 row_mask:0xf bank_mask:0xf bound_ctrl:1
	v_cvt_i32_f32_e32 v9, v9
	v_cvt_f32_i32_dpp v2, v2 row_shl:2 row_mask:0xf bank_mask:0xf bound_ctrl:1
	v_cvt_i32_f32_e32 v3, v3
	;; [unrolled: 2-line block ×4, first 2 shown]
	v_add_f32_e32 v23, v16, v17
	v_mov_b32_dpp v17, v21 row_bcast:31 row_mask:0xf bank_mask:0xf bound_ctrl:1
	v_cvt_i32_f32_e32 v21, v19
	v_add_f32_e32 v0, v0, v1
	v_add_f32_e32 v12, v12, v13
	v_cvt_f32_i32_dpp v9, v9 row_shl:1 row_mask:0xf bank_mask:0xf bound_ctrl:1
	v_add_f32_e32 v0, v0, v2
	v_cvt_f32_i32_dpp v1, v3 row_shl:3 row_mask:0xf bank_mask:0xf bound_ctrl:1
	v_cvt_i32_f32_e32 v2, v5
	v_add_f32_e32 v12, v12, v14
	v_cvt_f32_i32_dpp v10, v10 row_shl:2 row_mask:0xf bank_mask:0xf bound_ctrl:1
	v_cvt_i32_f32_e32 v3, v6
	;; [unrolled: 3-line block ×3, first 2 shown]
	v_cvt_f32_i32_dpp v21, v21 row_bcast:15 row_mask:0xf bank_mask:0xf bound_ctrl:1
	v_cvt_i32_f32_e32 v12, v15
	v_add_f32_e32 v8, v8, v9
	v_add_f32_e32 v0, v0, v1
	v_cvt_f32_i32_dpp v1, v2 row_shl:1 row_mask:0xf bank_mask:0xf bound_ctrl:1
	v_add_f32_e32 v8, v8, v10
	v_cvt_f32_i32_dpp v2, v3 row_shl:2 row_mask:0xf bank_mask:0xf bound_ctrl:1
	;; [unrolled: 2-line block ×4, first 2 shown]
	v_cvt_i32_f32_e32 v11, v9
	v_add_f32_e32 v1, v4, v1
	v_add_f32_e32 v1, v1, v2
	;; [unrolled: 1-line block ×4, first 2 shown]
	v_cvt_f32_i32_dpp v11, v11 row_shl:4 row_mask:0xf bank_mask:0xf bound_ctrl:1
	v_cvt_i32_f32_e32 v5, v0
	v_cvt_i32_f32_e32 v2, v1
	v_cvt_i32_f32_e32 v19, v15
	v_add_f32_e32 v9, v9, v11
	v_cvt_f32_i32_dpp v4, v5 row_shl:4 row_mask:0xf bank_mask:0xf bound_ctrl:1
	v_cvt_f32_i32_dpp v2, v2 row_shl:4 row_mask:0xf bank_mask:0xf bound_ctrl:1
	;; [unrolled: 1-line block ×3, first 2 shown]
	v_cvt_i32_f32_e32 v11, v9
	v_add_f32_e32 v0, v0, v4
	v_add_f32_e32 v1, v1, v2
	v_cvt_i32_f32_e32 v22, v18
	v_cvt_i32_f32_e32 v16, v23
	v_add_f32_e32 v15, v15, v19
	v_cvt_f32_i32_dpp v3, v11 row_shl:8 row_mask:0xf bank_mask:0xf bound_ctrl:1
	v_cvt_i32_f32_e32 v4, v0
	v_cvt_i32_f32_e32 v2, v1
	;; [unrolled: 1-line block ×3, first 2 shown]
	v_cvt_f32_i32_dpp v22, v22 row_bcast:15 row_mask:0xf bank_mask:0xf bound_ctrl:1
	v_cvt_f32_i32_dpp v24, v16 row_shl:8 row_mask:0xf bank_mask:0xf bound_ctrl:1
	v_add_f32_e32 v3, v9, v3
	v_cvt_f32_i32_dpp v4, v4 row_shl:8 row_mask:0xf bank_mask:0xf bound_ctrl:1
	v_cvt_f32_i32_dpp v2, v2 row_shl:8 row_mask:0xf bank_mask:0xf bound_ctrl:1
	v_cvt_f32_i32_dpp v5, v15 row_shr:15 row_mask:0xf bank_mask:0xf bound_ctrl:1
	v_cvt_i32_f32_e32 v3, v3
	v_add_f32_e32 v16, v18, v22
	v_add_f32_e32 v22, v23, v24
	;; [unrolled: 1-line block ×4, first 2 shown]
	v_cvt_i32_f32_e32 v22, v22
	v_cvt_i32_f32_e32 v6, v5
	v_cvt_f32_i32_dpp v3, v3 row_shr:15 row_mask:0xf bank_mask:0xf bound_ctrl:1
	v_cvt_i32_f32_e32 v0, v0
	v_cvt_i32_f32_e32 v1, v1
	v_cvt_f32_i32_dpp v22, v22 row_shr:15 row_mask:0xf bank_mask:0xf bound_ctrl:1
	v_cvt_f32_i32_dpp v2, v6 row_bcast:15 row_mask:0xf bank_mask:0xf bound_ctrl:1
	v_cvt_f32_i32_dpp v0, v0 row_shr:15 row_mask:0xf bank_mask:0xf bound_ctrl:1
	v_cvt_i32_f32_e32 v4, v3
	v_cvt_f32_i32_dpp v1, v1 row_shr:15 row_mask:0xf bank_mask:0xf bound_ctrl:1
	v_cvt_i32_f32_e32 v18, v16
	v_cvt_i32_f32_e32 v23, v22
	v_add_f32_e32 v11, v5, v2
	v_cvt_i32_f32_e32 v2, v0
	v_cvt_f32_i32_dpp v4, v4 row_bcast:15 row_mask:0xf bank_mask:0xf bound_ctrl:1
	v_cvt_i32_f32_e32 v5, v1
	v_mov_b32_dpp v14, v18 row_bcast:31 row_mask:0xf bank_mask:0xf bound_ctrl:1
	v_cvt_f32_i32_dpp v18, v23 row_bcast:15 row_mask:0xf bank_mask:0xf bound_ctrl:1
	v_cvt_f32_i32_dpp v2, v2 row_bcast:15 row_mask:0xf bank_mask:0xf bound_ctrl:1
	v_add_f32_e32 v6, v3, v4
	v_cvt_f32_i32_dpp v3, v5 row_bcast:15 row_mask:0xf bank_mask:0xf bound_ctrl:1
	v_add_f32_e32 v12, v22, v18
	v_add_f32_e32 v4, v0, v2
	v_cvt_i32_f32_e32 v21, v13
	v_add_f32_e32 v2, v1, v3
	v_cvt_i32_f32_e32 v18, v12
	v_cvt_i32_f32_e32 v7, v11
	;; [unrolled: 1-line block ×5, first 2 shown]
	v_mov_b32_dpp v10, v21 row_bcast:31 row_mask:0xf bank_mask:0xf bound_ctrl:1
	v_mov_b32_dpp v8, v18 row_bcast:31 row_mask:0xf bank_mask:0xf bound_ctrl:1
	v_mov_b32_dpp v15, v7 row_bcast:31 row_mask:0xf bank_mask:0xf bound_ctrl:1
	v_mov_b32_dpp v7, v5 row_bcast:31 row_mask:0xf bank_mask:0xf bound_ctrl:1
	v_mov_b32_dpp v5, v0 row_bcast:31 row_mask:0xf bank_mask:0xf bound_ctrl:1
	v_mov_b32_dpp v3, v1 row_bcast:31 row_mask:0xf bank_mask:0xf bound_ctrl:1
	s_and_saveexec_b64 s[20:21], s[0:1]
	s_cbranch_execz .LBB215_7
; %bb.16:                               ;   in Loop: Header=BB215_8 Depth=1
	s_andn2_b64 vcc, exec, s[18:19]
	v_mov_b32_e32 v0, 0
	v_mov_b32_e32 v24, 0
	;; [unrolled: 1-line block ×8, first 2 shown]
	s_cbranch_vccnz .LBB215_18
; %bb.17:                               ;   in Loop: Header=BB215_8 Depth=1
	v_mul_hi_u32 v0, v80, v93
	v_mul_lo_u32 v0, v0, s8
	v_sub_u32_e32 v0, v80, v0
	v_subrev_u32_e32 v1, s8, v0
	v_cmp_le_u32_e32 vcc, s8, v0
	v_mov_b32_e32 v19, v83
	v_mov_b32_e32 v23, v83
	v_cndmask_b32_e32 v0, v0, v1, vcc
	v_subrev_u32_e32 v1, s8, v0
	v_cmp_le_u32_e32 vcc, s8, v0
	s_nop 1
	v_cndmask_b32_e32 v82, v0, v1, vcc
	v_or_b32_e32 v0, 1, v80
	v_mul_hi_u32 v1, v0, v93
	v_mul_lo_u32 v1, v1, s8
	v_sub_u32_e32 v0, v0, v1
	v_subrev_u32_e32 v1, s8, v0
	v_cmp_le_u32_e32 vcc, s8, v0
	v_lshl_add_u64 v[26:27], v[82:83], 1, s[10:11]
	v_add_u32_e32 v82, s9, v82
	v_cndmask_b32_e32 v0, v0, v1, vcc
	v_subrev_u32_e32 v1, s8, v0
	v_cmp_le_u32_e32 vcc, s8, v0
	v_lshl_add_u64 v[34:35], v[82:83], 1, s[10:11]
	s_nop 0
	v_cndmask_b32_e32 v0, v0, v1, vcc
	v_mov_b32_e32 v1, v83
	v_lshl_add_u64 v[28:29], v[0:1], 1, s[10:11]
	v_or_b32_e32 v1, 2, v80
	v_mul_hi_u32 v9, v1, v93
	v_mul_lo_u32 v9, v9, s8
	v_sub_u32_e32 v1, v1, v9
	v_subrev_u32_e32 v9, s8, v1
	v_cmp_le_u32_e32 vcc, s8, v1
	v_add_u32_e32 v82, s9, v0
	v_lshl_add_u64 v[36:37], v[82:83], 1, s[10:11]
	v_cndmask_b32_e32 v1, v1, v9, vcc
	v_subrev_u32_e32 v9, s8, v1
	v_cmp_le_u32_e32 vcc, s8, v1
	s_nop 1
	v_cndmask_b32_e32 v18, v1, v9, vcc
	v_or_b32_e32 v1, 3, v80
	v_mul_hi_u32 v9, v1, v93
	v_mul_lo_u32 v9, v9, s8
	v_sub_u32_e32 v1, v1, v9
	v_subrev_u32_e32 v9, s8, v1
	v_cmp_le_u32_e32 vcc, s8, v1
	v_add_u32_e32 v82, s9, v18
	v_lshl_add_u64 v[38:39], v[82:83], 1, s[10:11]
	v_cndmask_b32_e32 v1, v1, v9, vcc
	v_subrev_u32_e32 v9, s8, v1
	v_cmp_le_u32_e32 vcc, s8, v1
	v_lshl_add_u64 v[30:31], v[18:19], 1, s[10:11]
	s_nop 0
	v_cndmask_b32_e32 v22, v1, v9, vcc
	v_add_u32_e32 v82, s9, v22
	v_lshl_add_u64 v[32:33], v[22:23], 1, s[10:11]
	v_lshl_add_u64 v[40:41], v[82:83], 1, s[10:11]
	global_load_ushort v0, v[26:27], off
	global_load_ushort v24, v[28:29], off
	;; [unrolled: 1-line block ×8, first 2 shown]
.LBB215_18:                             ;   in Loop: Header=BB215_8 Depth=1
	v_cvt_f32_i32_e32 v1, v17
	s_waitcnt vmcnt(7)
	v_lshlrev_b32_e32 v0, 16, v0
                                        ; implicit-def: $vgpr17
	v_add_f32_e32 v1, v20, v1
	v_add_f32_e32 v0, v1, v0
	v_and_b32_e32 v1, 0x7f800000, v0
	v_cmp_ne_u32_e32 vcc, s27, v1
	s_and_saveexec_b64 s[22:23], vcc
	s_xor_b64 s[22:23], exec, s[22:23]
; %bb.19:                               ;   in Loop: Header=BB215_8 Depth=1
	v_bfe_u32 v1, v0, 16, 1
	v_add3_u32 v17, v0, v1, s28
                                        ; implicit-def: $vgpr0
; %bb.20:                               ;   in Loop: Header=BB215_8 Depth=1
	s_andn2_saveexec_b64 s[22:23], s[22:23]
; %bb.21:                               ;   in Loop: Header=BB215_8 Depth=1
	v_or_b32_e32 v1, 0x10000, v0
	v_cmp_eq_u32_sdwa vcc, v0, v83 src0_sel:WORD_0 src1_sel:DWORD
	s_nop 1
	v_cndmask_b32_e32 v17, v1, v0, vcc
; %bb.22:                               ;   in Loop: Header=BB215_8 Depth=1
	s_or_b64 exec, exec, s[22:23]
	v_cvt_f32_i32_e32 v14, v14
	v_mov_b32_e32 v81, v83
	s_waitcnt lgkmcnt(0)
	v_lshl_add_u64 v[0:1], v[80:81], 1, s[14:15]
	global_store_short_d16_hi v[0:1], v17, off
	v_add_f32_e32 v14, v16, v14
	s_waitcnt vmcnt(7)
	v_lshlrev_b32_e32 v16, 16, v24
	v_add_f32_e32 v14, v14, v16
	v_and_b32_e32 v16, 0x7f800000, v14
	v_cmp_ne_u32_e32 vcc, s27, v16
                                        ; implicit-def: $vgpr16
	s_and_saveexec_b64 s[22:23], vcc
	s_xor_b64 s[22:23], exec, s[22:23]
; %bb.23:                               ;   in Loop: Header=BB215_8 Depth=1
	v_bfe_u32 v16, v14, 16, 1
	v_add3_u32 v16, v14, v16, s28
                                        ; implicit-def: $vgpr14
; %bb.24:                               ;   in Loop: Header=BB215_8 Depth=1
	s_andn2_saveexec_b64 s[22:23], s[22:23]
; %bb.25:                               ;   in Loop: Header=BB215_8 Depth=1
	v_or_b32_e32 v16, 0x10000, v14
	v_cmp_eq_u32_sdwa vcc, v14, v83 src0_sel:WORD_0 src1_sel:DWORD
	s_nop 1
	v_cndmask_b32_e32 v16, v16, v14, vcc
; %bb.26:                               ;   in Loop: Header=BB215_8 Depth=1
	s_or_b64 exec, exec, s[22:23]
	v_cvt_f32_i32_e32 v10, v10
	global_store_short_d16_hi v[0:1], v16, off offset:2
	v_add_f32_e32 v10, v13, v10
	s_waitcnt vmcnt(7)
	v_lshlrev_b32_e32 v13, 16, v23
	v_add_f32_e32 v10, v10, v13
	v_and_b32_e32 v13, 0x7f800000, v10
	v_cmp_ne_u32_e32 vcc, s27, v13
                                        ; implicit-def: $vgpr13
	s_and_saveexec_b64 s[22:23], vcc
	s_xor_b64 s[22:23], exec, s[22:23]
; %bb.27:                               ;   in Loop: Header=BB215_8 Depth=1
	v_bfe_u32 v13, v10, 16, 1
	v_add3_u32 v13, v10, v13, s28
                                        ; implicit-def: $vgpr10
; %bb.28:                               ;   in Loop: Header=BB215_8 Depth=1
	s_andn2_saveexec_b64 s[22:23], s[22:23]
; %bb.29:                               ;   in Loop: Header=BB215_8 Depth=1
	v_or_b32_e32 v13, 0x10000, v10
	v_cmp_eq_u32_sdwa vcc, v10, v83 src0_sel:WORD_0 src1_sel:DWORD
	s_nop 1
	v_cndmask_b32_e32 v13, v13, v10, vcc
; %bb.30:                               ;   in Loop: Header=BB215_8 Depth=1
	s_or_b64 exec, exec, s[22:23]
	v_cvt_f32_i32_e32 v8, v8
	s_waitcnt vmcnt(6)
	v_lshlrev_b32_e32 v10, 16, v22
	global_store_short_d16_hi v[0:1], v13, off offset:4
	v_add_f32_e32 v8, v12, v8
	v_add_f32_e32 v8, v8, v10
	v_and_b32_e32 v10, 0x7f800000, v8
	v_cmp_ne_u32_e32 vcc, s27, v10
                                        ; implicit-def: $vgpr10
	s_and_saveexec_b64 s[22:23], vcc
	s_xor_b64 s[22:23], exec, s[22:23]
; %bb.31:                               ;   in Loop: Header=BB215_8 Depth=1
	v_bfe_u32 v10, v8, 16, 1
	v_add3_u32 v10, v8, v10, s28
                                        ; implicit-def: $vgpr8
; %bb.32:                               ;   in Loop: Header=BB215_8 Depth=1
	s_andn2_saveexec_b64 s[22:23], s[22:23]
; %bb.33:                               ;   in Loop: Header=BB215_8 Depth=1
	v_or_b32_e32 v10, 0x10000, v8
	v_cmp_eq_u32_sdwa vcc, v8, v83 src0_sel:WORD_0 src1_sel:DWORD
	s_nop 1
	v_cndmask_b32_e32 v10, v10, v8, vcc
; %bb.34:                               ;   in Loop: Header=BB215_8 Depth=1
	s_or_b64 exec, exec, s[22:23]
	v_cvt_f32_i32_e32 v8, v15
	global_store_short_d16_hi v[0:1], v10, off offset:6
	s_waitcnt vmcnt(7)
	v_lshlrev_b32_e32 v1, 16, v21
	v_add_f32_e32 v0, v11, v8
	v_add_f32_e32 v1, v0, v1
	v_and_b32_e32 v0, 0x7f800000, v1
	v_cmp_ne_u32_e32 vcc, s27, v0
                                        ; implicit-def: $vgpr0
	s_and_saveexec_b64 s[22:23], vcc
	s_xor_b64 s[22:23], exec, s[22:23]
; %bb.35:                               ;   in Loop: Header=BB215_8 Depth=1
	v_bfe_u32 v0, v1, 16, 1
	v_add3_u32 v0, v1, v0, s28
                                        ; implicit-def: $vgpr1
; %bb.36:                               ;   in Loop: Header=BB215_8 Depth=1
	s_andn2_saveexec_b64 s[22:23], s[22:23]
; %bb.37:                               ;   in Loop: Header=BB215_8 Depth=1
	v_or_b32_e32 v0, 0x10000, v1
	v_cmp_eq_u32_sdwa vcc, v1, v83 src0_sel:WORD_0 src1_sel:DWORD
	s_nop 1
	v_cndmask_b32_e32 v0, v0, v1, vcc
; %bb.38:                               ;   in Loop: Header=BB215_8 Depth=1
	s_or_b64 exec, exec, s[22:23]
	v_cvt_f32_i32_e32 v1, v7
	v_add_u32_e32 v82, s7, v80
	v_lshl_add_u64 v[10:11], v[82:83], 1, s[14:15]
	global_store_short_d16_hi v[10:11], v0, off
	v_add_f32_e32 v0, v6, v1
	s_waitcnt vmcnt(7)
	v_lshlrev_b32_e32 v1, 16, v19
	v_add_f32_e32 v1, v0, v1
	v_and_b32_e32 v0, 0x7f800000, v1
	v_cmp_ne_u32_e32 vcc, s27, v0
                                        ; implicit-def: $vgpr0
	s_and_saveexec_b64 s[22:23], vcc
	s_xor_b64 s[22:23], exec, s[22:23]
; %bb.39:                               ;   in Loop: Header=BB215_8 Depth=1
	v_bfe_u32 v0, v1, 16, 1
	v_add3_u32 v0, v1, v0, s28
                                        ; implicit-def: $vgpr1
; %bb.40:                               ;   in Loop: Header=BB215_8 Depth=1
	s_andn2_saveexec_b64 s[22:23], s[22:23]
; %bb.41:                               ;   in Loop: Header=BB215_8 Depth=1
	v_or_b32_e32 v0, 0x10000, v1
	v_cmp_eq_u32_sdwa vcc, v1, v83 src0_sel:WORD_0 src1_sel:DWORD
	s_nop 1
	v_cndmask_b32_e32 v0, v0, v1, vcc
; %bb.42:                               ;   in Loop: Header=BB215_8 Depth=1
	s_or_b64 exec, exec, s[22:23]
	v_cvt_f32_i32_e32 v1, v5
	v_add_u32_e32 v6, 1, v82
	v_mov_b32_e32 v7, v83
	v_lshl_add_u64 v[6:7], v[6:7], 1, s[14:15]
	v_add_f32_e32 v1, v4, v1
	global_store_short_d16_hi v[6:7], v0, off
	s_waitcnt vmcnt(7)
	v_lshlrev_b32_e32 v0, 16, v18
	v_add_f32_e32 v1, v1, v0
	v_and_b32_e32 v0, 0x7f800000, v1
	v_cmp_ne_u32_e32 vcc, s27, v0
                                        ; implicit-def: $vgpr0
	s_and_saveexec_b64 s[22:23], vcc
	s_xor_b64 s[22:23], exec, s[22:23]
; %bb.43:                               ;   in Loop: Header=BB215_8 Depth=1
	v_bfe_u32 v0, v1, 16, 1
	v_add3_u32 v0, v1, v0, s28
                                        ; implicit-def: $vgpr1
; %bb.44:                               ;   in Loop: Header=BB215_8 Depth=1
	s_andn2_saveexec_b64 s[22:23], s[22:23]
; %bb.45:                               ;   in Loop: Header=BB215_8 Depth=1
	v_or_b32_e32 v0, 0x10000, v1
	v_cmp_eq_u32_sdwa vcc, v1, v83 src0_sel:WORD_0 src1_sel:DWORD
	s_nop 1
	v_cndmask_b32_e32 v0, v0, v1, vcc
; %bb.46:                               ;   in Loop: Header=BB215_8 Depth=1
	s_or_b64 exec, exec, s[22:23]
	v_cvt_f32_i32_e32 v1, v3
	v_add_u32_e32 v4, 2, v82
	v_mov_b32_e32 v5, v83
	v_lshl_add_u64 v[4:5], v[4:5], 1, s[14:15]
	v_add_f32_e32 v1, v2, v1
	global_store_short_d16_hi v[4:5], v0, off
	s_waitcnt vmcnt(7)
	v_lshlrev_b32_e32 v0, 16, v9
	v_add_f32_e32 v1, v1, v0
	v_and_b32_e32 v0, 0x7f800000, v1
	v_cmp_ne_u32_e32 vcc, s27, v0
                                        ; implicit-def: $vgpr0
	s_and_saveexec_b64 s[22:23], vcc
	s_xor_b64 s[22:23], exec, s[22:23]
; %bb.47:                               ;   in Loop: Header=BB215_8 Depth=1
	v_bfe_u32 v0, v1, 16, 1
	v_add3_u32 v0, v1, v0, s28
                                        ; implicit-def: $vgpr1
; %bb.48:                               ;   in Loop: Header=BB215_8 Depth=1
	s_andn2_saveexec_b64 s[22:23], s[22:23]
	s_cbranch_execz .LBB215_6
; %bb.49:                               ;   in Loop: Header=BB215_8 Depth=1
	v_or_b32_e32 v0, 0x10000, v1
	v_cmp_eq_u32_sdwa vcc, v1, v83 src0_sel:WORD_0 src1_sel:DWORD
	s_nop 1
	v_cndmask_b32_e32 v0, v0, v1, vcc
	s_branch .LBB215_6
.LBB215_50:
	s_endpgm
	.section	.rodata,"a",@progbits
	.p2align	6, 0x0
	.amdhsa_kernel _Z16wvSplitK_hf_sml_I14__hip_bfloat16Li64ELi4ELi16ELi8ELi2ELi2EEviiiiiiPKT_S3_S3_PS1_ii
		.amdhsa_group_segment_fixed_size 65536
		.amdhsa_private_segment_fixed_size 0
		.amdhsa_kernarg_size 64
		.amdhsa_user_sgpr_count 2
		.amdhsa_user_sgpr_dispatch_ptr 0
		.amdhsa_user_sgpr_queue_ptr 0
		.amdhsa_user_sgpr_kernarg_segment_ptr 1
		.amdhsa_user_sgpr_dispatch_id 0
		.amdhsa_user_sgpr_kernarg_preload_length 0
		.amdhsa_user_sgpr_kernarg_preload_offset 0
		.amdhsa_user_sgpr_private_segment_size 0
		.amdhsa_uses_dynamic_stack 0
		.amdhsa_enable_private_segment 0
		.amdhsa_system_sgpr_workgroup_id_x 1
		.amdhsa_system_sgpr_workgroup_id_y 0
		.amdhsa_system_sgpr_workgroup_id_z 0
		.amdhsa_system_sgpr_workgroup_info 0
		.amdhsa_system_vgpr_workitem_id 1
		.amdhsa_next_free_vgpr 96
		.amdhsa_next_free_sgpr 30
		.amdhsa_accum_offset 96
		.amdhsa_reserve_vcc 1
		.amdhsa_float_round_mode_32 0
		.amdhsa_float_round_mode_16_64 0
		.amdhsa_float_denorm_mode_32 3
		.amdhsa_float_denorm_mode_16_64 3
		.amdhsa_dx10_clamp 1
		.amdhsa_ieee_mode 1
		.amdhsa_fp16_overflow 0
		.amdhsa_tg_split 0
		.amdhsa_exception_fp_ieee_invalid_op 0
		.amdhsa_exception_fp_denorm_src 0
		.amdhsa_exception_fp_ieee_div_zero 0
		.amdhsa_exception_fp_ieee_overflow 0
		.amdhsa_exception_fp_ieee_underflow 0
		.amdhsa_exception_fp_ieee_inexact 0
		.amdhsa_exception_int_div_zero 0
	.end_amdhsa_kernel
	.section	.text._Z16wvSplitK_hf_sml_I14__hip_bfloat16Li64ELi4ELi16ELi8ELi2ELi2EEviiiiiiPKT_S3_S3_PS1_ii,"axG",@progbits,_Z16wvSplitK_hf_sml_I14__hip_bfloat16Li64ELi4ELi16ELi8ELi2ELi2EEviiiiiiPKT_S3_S3_PS1_ii,comdat
.Lfunc_end215:
	.size	_Z16wvSplitK_hf_sml_I14__hip_bfloat16Li64ELi4ELi16ELi8ELi2ELi2EEviiiiiiPKT_S3_S3_PS1_ii, .Lfunc_end215-_Z16wvSplitK_hf_sml_I14__hip_bfloat16Li64ELi4ELi16ELi8ELi2ELi2EEviiiiiiPKT_S3_S3_PS1_ii
                                        ; -- End function
	.section	.AMDGPU.csdata,"",@progbits
; Kernel info:
; codeLenInByte = 3708
; NumSgprs: 36
; NumVgprs: 96
; NumAgprs: 0
; TotalNumVgprs: 96
; ScratchSize: 0
; MemoryBound: 0
; FloatMode: 240
; IeeeMode: 1
; LDSByteSize: 65536 bytes/workgroup (compile time only)
; SGPRBlocks: 4
; VGPRBlocks: 11
; NumSGPRsForWavesPerEU: 36
; NumVGPRsForWavesPerEU: 96
; AccumOffset: 96
; Occupancy: 4
; WaveLimiterHint : 0
; COMPUTE_PGM_RSRC2:SCRATCH_EN: 0
; COMPUTE_PGM_RSRC2:USER_SGPR: 2
; COMPUTE_PGM_RSRC2:TRAP_HANDLER: 0
; COMPUTE_PGM_RSRC2:TGID_X_EN: 1
; COMPUTE_PGM_RSRC2:TGID_Y_EN: 0
; COMPUTE_PGM_RSRC2:TGID_Z_EN: 0
; COMPUTE_PGM_RSRC2:TIDIG_COMP_CNT: 1
; COMPUTE_PGM_RSRC3_GFX90A:ACCUM_OFFSET: 23
; COMPUTE_PGM_RSRC3_GFX90A:TG_SPLIT: 0
	.section	.text._Z12wvSplitK_hf_I14__hip_bfloat16Li64ELi4ELi16ELi8ELi2ELi2EEviiiiiiPKT_S3_S3_PS1_ii,"axG",@progbits,_Z12wvSplitK_hf_I14__hip_bfloat16Li64ELi4ELi16ELi8ELi2ELi2EEviiiiiiPKT_S3_S3_PS1_ii,comdat
	.protected	_Z12wvSplitK_hf_I14__hip_bfloat16Li64ELi4ELi16ELi8ELi2ELi2EEviiiiiiPKT_S3_S3_PS1_ii ; -- Begin function _Z12wvSplitK_hf_I14__hip_bfloat16Li64ELi4ELi16ELi8ELi2ELi2EEviiiiiiPKT_S3_S3_PS1_ii
	.globl	_Z12wvSplitK_hf_I14__hip_bfloat16Li64ELi4ELi16ELi8ELi2ELi2EEviiiiiiPKT_S3_S3_PS1_ii
	.p2align	8
	.type	_Z12wvSplitK_hf_I14__hip_bfloat16Li64ELi4ELi16ELi8ELi2ELi2EEviiiiiiPKT_S3_S3_PS1_ii,@function
_Z12wvSplitK_hf_I14__hip_bfloat16Li64ELi4ELi16ELi8ELi2ELi2EEviiiiiiPKT_S3_S3_PS1_ii: ; @_Z12wvSplitK_hf_I14__hip_bfloat16Li64ELi4ELi16ELi8ELi2ELi2EEviiiiiiPKT_S3_S3_PS1_ii
; %bb.0:
	s_load_dwordx2 s[8:9], s[0:1], 0x38
	s_load_dwordx4 s[12:15], s[0:1], 0x0
	s_load_dwordx2 s[20:21], s[0:1], 0x10
	v_bfe_u32 v7, v0, 10, 10
	s_mov_b32 s4, 1
	s_waitcnt lgkmcnt(0)
	s_mul_i32 s2, s2, s8
	v_add_lshl_u32 v86, s2, v7, 2
	v_add_u32_e32 v1, 4, v86
	s_mov_b32 s5, s4
	v_cmp_gt_u32_e32 vcc, s15, v86
	v_cmp_le_u32_e64 s[2:3], s15, v1
	s_mov_b32 s6, s4
	s_mov_b32 s7, s4
	v_mov_b64_e32 v[2:3], s[4:5]
	s_and_b64 s[10:11], vcc, s[2:3]
	v_mov_b64_e32 v[4:5], s[6:7]
	s_and_saveexec_b64 s[2:3], s[10:11]
	s_cbranch_execz .LBB216_6
; %bb.1:
	s_add_i32 s22, s15, -4
	v_mov_b64_e32 v[2:3], s[4:5]
	v_cmp_ne_u32_e32 vcc, s22, v86
	v_mov_b64_e32 v[4:5], s[6:7]
	s_and_saveexec_b64 s[10:11], vcc
	s_cbranch_execz .LBB216_5
; %bb.2:
	v_subrev_u32_e32 v1, s22, v86
	v_cmp_lt_u32_e32 vcc, 1, v1
	s_mov_b64 s[16:17], 0
	s_mov_b64 s[18:19], 0
	v_cndmask_b32_e32 v6, 1, v1, vcc
	s_mov_b32 s5, s4
	s_mov_b32 s6, s4
	;; [unrolled: 1-line block ×3, first 2 shown]
.LBB216_3:                              ; =>This Inner Loop Header: Depth=1
	s_cmp_lg_u32 s18, 3
	s_cselect_b32 s7, s7, 0
	s_cmp_lg_u32 s18, 2
	s_cselect_b32 s6, s6, 0
	;; [unrolled: 2-line block ×4, first 2 shown]
	s_add_u32 s18, s18, 1
	s_addc_u32 s19, s19, 0
	v_cmp_eq_u32_e32 vcc, s18, v6
	v_mov_b64_e32 v[2:3], s[4:5]
	s_or_b64 s[16:17], vcc, s[16:17]
	v_mov_b64_e32 v[4:5], s[6:7]
	s_andn2_b64 exec, exec, s[16:17]
	s_cbranch_execnz .LBB216_3
; %bb.4:
	s_or_b64 exec, exec, s[16:17]
	v_mov_b32_e32 v86, s22
.LBB216_5:
	s_or_b64 exec, exec, s[10:11]
.LBB216_6:
	s_or_b64 exec, exec, s[2:3]
	s_load_dwordx4 s[16:19], s[0:1], 0x20
	v_and_b32_e32 v6, 0x3ff, v0
	v_lshlrev_b32_e32 v106, 3, v6
	s_lshl_b32 s2, s14, 1
	v_lshl_add_u32 v8, v7, 9, v106
	s_min_u32 s10, s2, 0x8000
	v_cmp_gt_u32_e32 vcc, s10, v8
	s_and_saveexec_b64 s[2:3], vcc
	s_cbranch_execz .LBB216_9
; %bb.7:
	v_mov_b32_e32 v11, 0
	v_lshlrev_b32_e32 v10, 10, v7
	v_lshlrev_b32_e32 v12, 4, v6
	v_mov_b32_e32 v13, v11
	v_lshl_add_u64 v[0:1], v[10:11], 0, v[12:13]
	s_waitcnt lgkmcnt(0)
	v_lshl_add_u64 v[0:1], s[16:17], 0, v[0:1]
	v_add_u32_e32 v9, v10, v12
	s_mov_b64 s[4:5], 0
	s_mov_b64 s[6:7], 0x4000
.LBB216_8:                              ; =>This Inner Loop Header: Depth=1
	global_load_dwordx4 v[10:13], v[0:1], off
	v_add_u32_e32 v8, 0x2000, v8
	v_cmp_le_u32_e32 vcc, s10, v8
	v_lshl_add_u64 v[0:1], v[0:1], 0, s[6:7]
	s_or_b64 s[4:5], vcc, s[4:5]
	s_waitcnt vmcnt(0)
	ds_write_b128 v9, v[10:13]
	v_add_u32_e32 v9, 0x4000, v9
	s_andn2_b64 exec, exec, s[4:5]
	s_cbranch_execnz .LBB216_8
.LBB216_9:
	s_or_b64 exec, exec, s[2:3]
	v_cmp_gt_u32_e32 vcc, s8, v7
	v_cmp_gt_u32_e64 s[2:3], s15, v86
	s_and_b64 s[2:3], vcc, s[2:3]
	s_waitcnt lgkmcnt(0)
	s_barrier
	s_and_saveexec_b64 s[4:5], s[2:3]
	s_cbranch_execz .LBB216_92
; %bb.10:
	v_cvt_f32_u32_e32 v0, s20
	s_cmp_lg_u32 s12, 0
	s_cselect_b64 s[2:3], -1, 0
	s_add_i32 s33, s12, -8
	v_rcp_iflag_f32_e32 v0, v0
	s_add_i32 s40, s15, -1
	s_mul_i32 s4, s8, s9
	s_cmp_lg_u64 s[18:19], 0
	v_mul_f32_e32 v0, 0x4f7ffffe, v0
	v_cvt_u32_f32_e32 v0, v0
	s_cselect_b64 s[28:29], -1, 0
	s_lshl_b32 s41, s4, 2
	s_sub_i32 s4, 0, s20
	v_mul_lo_u32 v1, s4, v0
	s_abs_i32 s4, s21
	s_add_i32 s42, s15, -4
	s_sub_i32 s5, 1, s4
	s_cmp_lt_u32 s4, 2
	s_load_dwordx2 s[22:23], s[0:1], 0x18
	s_load_dwordx2 s[24:25], s[0:1], 0x30
	s_cselect_b32 s5, s5, 1
	s_sub_i32 s6, s5, s4
	v_mul_hi_u32 v1, v0, v1
	s_cmp_ge_u32 s5, s4
	v_add_u32_e32 v107, v0, v1
	s_cselect_b32 s21, s6, s5
	v_cndmask_b32_e64 v0, 0, 1, s[2:3]
	v_cmp_eq_u32_e64 s[0:1], 63, v6
	s_mov_b64 s[26:27], 0
	v_mov_b32_e32 v1, 0
	s_mul_i32 s21, s21, s20
	v_cmp_ne_u32_e64 s[2:3], 1, v0
	s_movk_i32 s43, 0x7fff
	s_mov_b32 s44, 0x7f800000
	s_mov_b32 s30, 0
	s_branch .LBB216_13
.LBB216_11:                             ;   in Loop: Header=BB216_13 Depth=1
	s_or_b64 exec, exec, s[8:9]
	v_mov_b32_e32 v86, s42
.LBB216_12:                             ;   in Loop: Header=BB216_13 Depth=1
	s_or_b64 exec, exec, s[6:7]
	v_cmp_le_u32_e32 vcc, s15, v86
	s_or_b64 s[26:27], vcc, s[26:27]
	s_andn2_b64 exec, exec, s[26:27]
	s_cbranch_execz .LBB216_92
.LBB216_13:                             ; =>This Loop Header: Depth=1
                                        ;     Child Loop BB216_18 Depth 2
                                        ;     Child Loop BB216_90 Depth 2
	s_and_b64 vcc, exec, s[2:3]
	v_add_u32_e32 v92, 1, v86
	v_add_u32_e32 v90, 2, v86
	;; [unrolled: 1-line block ×3, first 2 shown]
	v_mov_b32_e32 v13, v1
	v_mov_b32_e32 v12, v1
	s_waitcnt vmcnt(0)
	v_mov_b32_e32 v11, v1
	v_mov_b32_e32 v10, v1
	;; [unrolled: 1-line block ×30, first 2 shown]
	s_cbranch_vccnz .LBB216_36
; %bb.14:                               ;   in Loop: Header=BB216_13 Depth=1
	v_min_u32_e32 v0, s40, v86
	v_min_u32_e32 v6, s40, v92
	;; [unrolled: 1-line block ×4, first 2 shown]
	v_mul_lo_u32 v0, v0, s13
	v_mul_lo_u32 v6, v6, s13
	v_mov_b32_e32 v7, v1
	v_mul_lo_u32 v8, v8, s13
	v_mov_b32_e32 v9, v1
	;; [unrolled: 2-line block ×3, first 2 shown]
	v_mov_b32_e32 v34, 0
	s_mov_b32 s4, 0
	v_lshlrev_b64 v[94:95], 1, v[0:1]
	v_lshlrev_b64 v[96:97], 1, v[6:7]
	v_lshlrev_b64 v[98:99], 1, v[8:9]
	v_lshlrev_b64 v[100:101], 1, v[10:11]
	s_mov_b32 s34, 0
	v_mov_b32_e32 v35, v34
	v_mov_b32_e32 v36, v34
	;; [unrolled: 1-line block ×31, first 2 shown]
	s_branch .LBB216_18
.LBB216_15:                             ;   in Loop: Header=BB216_18 Depth=2
	s_or_b64 exec, exec, s[10:11]
.LBB216_16:                             ;   in Loop: Header=BB216_18 Depth=2
	s_or_b64 exec, exec, s[8:9]
.LBB216_17:                             ;   in Loop: Header=BB216_18 Depth=2
	s_or_b64 exec, exec, s[6:7]
	s_waitcnt vmcnt(0) lgkmcnt(0)
	v_mfma_f32_4x4x4_16b_bf16 v[34:37], v[70:71], v[46:47], v[34:37]
	s_addk_i32 s34, 0x400
	v_mfma_f32_4x4x4_16b_bf16 v[30:33], v[70:71], v[42:43], v[30:33]
	s_cmp_ge_u32 s34, s12
	v_mfma_f32_4x4x4_16b_bf16 v[26:29], v[70:71], v[54:55], v[26:29]
	v_mfma_f32_4x4x4_16b_bf16 v[22:25], v[70:71], v[50:51], v[22:25]
	;; [unrolled: 1-line block ×30, first 2 shown]
	s_cbranch_scc1 .LBB216_36
.LBB216_18:                             ;   Parent Loop BB216_13 Depth=1
                                        ; =>  This Inner Loop Header: Depth=2
	v_add_u32_e32 v104, s34, v106
	v_min_u32_e32 v0, s33, v104
	s_waitcnt lgkmcnt(0)
	v_lshl_add_u64 v[38:39], v[0:1], 1, s[22:23]
	v_lshl_add_u64 v[40:41], v[38:39], 0, v[94:95]
	;; [unrolled: 1-line block ×3, first 2 shown]
	v_add_u32_e32 v102, 0x200, v104
	global_load_dwordx4 v[46:49], v[40:41], off nt
	s_nop 0
	global_load_dwordx4 v[42:45], v[42:43], off nt
	v_lshl_add_u64 v[40:41], v[38:39], 0, v[98:99]
	v_lshl_add_u64 v[38:39], v[38:39], 0, v[100:101]
	v_min_u32_e32 v0, s33, v102
	global_load_dwordx4 v[54:57], v[40:41], off nt
	global_load_dwordx4 v[50:53], v[38:39], off nt
	v_lshl_add_u64 v[38:39], v[0:1], 1, s[22:23]
	v_lshl_add_u64 v[40:41], v[38:39], 0, v[94:95]
	;; [unrolled: 1-line block ×3, first 2 shown]
	global_load_dwordx4 v[62:65], v[40:41], off nt
	s_nop 0
	global_load_dwordx4 v[58:61], v[58:59], off nt
	v_lshl_add_u64 v[40:41], v[38:39], 0, v[98:99]
	v_lshl_add_u64 v[38:39], v[38:39], 0, v[100:101]
	global_load_dwordx4 v[66:69], v[40:41], off nt
	s_nop 0
	global_load_dwordx4 v[38:41], v[38:39], off nt
	s_mov_b32 s5, s4
	v_cmp_gt_u32_e32 vcc, s12, v104
	v_mov_b64_e32 v[70:71], s[4:5]
	v_mov_b32_e32 v83, 0
	v_mov_b32_e32 v82, 0
	;; [unrolled: 1-line block ×4, first 2 shown]
	v_mov_b64_e32 v[72:73], s[4:5]
	v_mov_b64_e32 v[78:79], s[4:5]
	;; [unrolled: 1-line block ×5, first 2 shown]
	s_and_saveexec_b64 s[6:7], vcc
	s_cbranch_execz .LBB216_17
; %bb.19:                               ;   in Loop: Header=BB216_18 Depth=2
	v_cmp_lt_u32_e32 vcc, s43, v104
                                        ; implicit-def: $vgpr70_vgpr71
	s_and_saveexec_b64 s[8:9], vcc
	s_xor_b64 s[8:9], exec, s[8:9]
	s_cbranch_execz .LBB216_21
; %bb.20:                               ;   in Loop: Header=BB216_18 Depth=2
	v_mov_b32_e32 v105, v1
	v_lshl_add_u64 v[70:71], v[104:105], 1, s[16:17]
	global_load_dwordx4 v[70:73], v[70:71], off
.LBB216_21:                             ;   in Loop: Header=BB216_18 Depth=2
	s_andn2_saveexec_b64 s[8:9], s[8:9]
	s_cbranch_execz .LBB216_23
; %bb.22:                               ;   in Loop: Header=BB216_18 Depth=2
	v_lshlrev_b32_e32 v0, 1, v104
	s_waitcnt vmcnt(0)
	ds_read_b128 v[70:73], v0
.LBB216_23:                             ;   in Loop: Header=BB216_18 Depth=2
	s_or_b64 exec, exec, s[8:9]
	v_add_u32_e32 v0, s14, v104
	v_cmp_lt_u32_e32 vcc, s43, v0
                                        ; implicit-def: $vgpr74_vgpr75
	s_and_saveexec_b64 s[8:9], vcc
	s_xor_b64 s[8:9], exec, s[8:9]
	s_cbranch_execz .LBB216_25
; %bb.24:                               ;   in Loop: Header=BB216_18 Depth=2
	v_lshl_add_u64 v[74:75], v[0:1], 1, s[16:17]
	global_load_dwordx4 v[74:77], v[74:75], off
.LBB216_25:                             ;   in Loop: Header=BB216_18 Depth=2
	s_andn2_saveexec_b64 s[8:9], s[8:9]
	s_cbranch_execz .LBB216_27
; %bb.26:                               ;   in Loop: Header=BB216_18 Depth=2
	s_waitcnt vmcnt(0)
	v_lshlrev_b32_e32 v74, 1, v0
	ds_read_b128 v[74:77], v74
.LBB216_27:                             ;   in Loop: Header=BB216_18 Depth=2
	s_or_b64 exec, exec, s[8:9]
	s_mov_b32 s31, s30
	v_cmp_gt_u32_e32 vcc, s12, v102
	v_mov_b32_e32 v83, 0
	v_mov_b64_e32 v[78:79], s[30:31]
	v_mov_b32_e32 v82, 0
	v_mov_b32_e32 v85, 0
	;; [unrolled: 1-line block ×3, first 2 shown]
	v_mov_b64_e32 v[80:81], s[30:31]
	s_and_saveexec_b64 s[8:9], vcc
	s_cbranch_execz .LBB216_16
; %bb.28:                               ;   in Loop: Header=BB216_18 Depth=2
	v_cmp_lt_u32_e32 vcc, s43, v102
                                        ; implicit-def: $vgpr78_vgpr79
	s_and_saveexec_b64 s[10:11], vcc
	s_xor_b64 s[10:11], exec, s[10:11]
	s_cbranch_execz .LBB216_30
; %bb.29:                               ;   in Loop: Header=BB216_18 Depth=2
	v_mov_b32_e32 v103, v1
	v_lshl_add_u64 v[78:79], v[102:103], 1, s[16:17]
	global_load_dwordx4 v[78:81], v[78:79], off
                                        ; implicit-def: $vgpr104
.LBB216_30:                             ;   in Loop: Header=BB216_18 Depth=2
	s_andn2_saveexec_b64 s[10:11], s[10:11]
	s_cbranch_execz .LBB216_32
; %bb.31:                               ;   in Loop: Header=BB216_18 Depth=2
	s_waitcnt vmcnt(0)
	v_lshlrev_b32_e32 v78, 1, v104
	ds_read_b128 v[78:81], v78 offset:1024
.LBB216_32:                             ;   in Loop: Header=BB216_18 Depth=2
	s_or_b64 exec, exec, s[10:11]
	v_add_u32_e32 v82, s14, v102
	v_cmp_lt_u32_e32 vcc, s43, v82
                                        ; implicit-def: $vgpr83
	s_and_saveexec_b64 s[10:11], vcc
	s_xor_b64 s[10:11], exec, s[10:11]
	s_cbranch_execz .LBB216_34
; %bb.33:                               ;   in Loop: Header=BB216_18 Depth=2
	v_mov_b32_e32 v83, v1
	v_lshl_add_u64 v[82:83], v[82:83], 1, s[16:17]
	global_load_dwordx4 v[82:85], v[82:83], off
.LBB216_34:                             ;   in Loop: Header=BB216_18 Depth=2
	s_andn2_saveexec_b64 s[10:11], s[10:11]
	s_cbranch_execz .LBB216_15
; %bb.35:                               ;   in Loop: Header=BB216_18 Depth=2
	v_lshlrev_b32_e32 v0, 1, v0
	s_waitcnt vmcnt(0)
	ds_read_b128 v[82:85], v0 offset:1024
	s_branch .LBB216_15
.LBB216_36:                             ;   in Loop: Header=BB216_13 Depth=1
	v_cvt_i32_f32_e32 v0, v35
	v_cvt_i32_f32_e32 v35, v36
	;; [unrolled: 1-line block ×4, first 2 shown]
	v_cvt_f32_i32_dpp v0, v0 row_shl:1 row_mask:0xf bank_mask:0xf bound_ctrl:1
	v_cvt_f32_i32_dpp v35, v35 row_shl:2 row_mask:0xf bank_mask:0xf bound_ctrl:1
	;; [unrolled: 1-line block ×3, first 2 shown]
	v_cvt_i32_f32_e32 v32, v32
	v_add_f32_e32 v0, v34, v0
	v_add_f32_e32 v0, v0, v35
	;; [unrolled: 1-line block ×3, first 2 shown]
	v_cvt_i32_f32_e32 v34, v0
	v_cvt_i32_f32_e32 v33, v33
	v_cvt_f32_i32_dpp v31, v31 row_shl:1 row_mask:0xf bank_mask:0xf bound_ctrl:1
	v_cvt_f32_i32_dpp v32, v32 row_shl:2 row_mask:0xf bank_mask:0xf bound_ctrl:1
	;; [unrolled: 1-line block ×4, first 2 shown]
	v_add_f32_e32 v30, v30, v31
	v_add_f32_e32 v30, v30, v32
	;; [unrolled: 1-line block ×3, first 2 shown]
	v_cvt_i32_f32_e32 v34, v0
	v_cvt_i32_f32_e32 v27, v27
	v_add_f32_e32 v30, v30, v33
	v_cvt_i32_f32_e32 v28, v28
	v_cvt_f32_i32_dpp v31, v34 row_shl:8 row_mask:0xf bank_mask:0xf bound_ctrl:1
	v_cvt_i32_f32_e32 v32, v30
	v_cvt_i32_f32_e32 v29, v29
	v_cvt_f32_i32_dpp v27, v27 row_shl:1 row_mask:0xf bank_mask:0xf bound_ctrl:1
	v_add_f32_e32 v0, v0, v31
	v_cvt_i32_f32_e32 v0, v0
	v_cvt_f32_i32_dpp v28, v28 row_shl:2 row_mask:0xf bank_mask:0xf bound_ctrl:1
	v_cvt_f32_i32_dpp v31, v32 row_shl:4 row_mask:0xf bank_mask:0xf bound_ctrl:1
	;; [unrolled: 1-line block ×3, first 2 shown]
	v_cvt_f32_i32_dpp v0, v0 row_shr:15 row_mask:0xf bank_mask:0xf bound_ctrl:1
	v_add_f32_e32 v26, v26, v27
	v_add_f32_e32 v27, v30, v31
	;; [unrolled: 1-line block ×3, first 2 shown]
	v_cvt_i32_f32_e32 v23, v23
	v_cvt_i32_f32_e32 v30, v27
	v_add_f32_e32 v28, v26, v29
	v_cvt_i32_f32_e32 v24, v24
	v_cvt_i32_f32_e32 v31, v0
	;; [unrolled: 1-line block ×4, first 2 shown]
	v_cvt_f32_i32_dpp v23, v23 row_shl:1 row_mask:0xf bank_mask:0xf bound_ctrl:1
	v_cvt_f32_i32_dpp v29, v30 row_shl:8 row_mask:0xf bank_mask:0xf bound_ctrl:1
	;; [unrolled: 1-line block ×3, first 2 shown]
	v_cvt_f32_i32_dpp v30, v31 row_bcast:15 row_mask:0xf bank_mask:0xf bound_ctrl:1
	v_cvt_f32_i32_dpp v31, v26 row_shl:4 row_mask:0xf bank_mask:0xf bound_ctrl:1
	v_cvt_f32_i32_dpp v25, v25 row_shl:3 row_mask:0xf bank_mask:0xf bound_ctrl:1
	v_add_f32_e32 v22, v22, v23
	v_add_f32_e32 v27, v27, v29
	;; [unrolled: 1-line block ×4, first 2 shown]
	v_cvt_i32_f32_e32 v0, v27
	v_add_f32_e32 v27, v28, v31
	v_add_f32_e32 v22, v22, v25
	v_cvt_i32_f32_e32 v28, v27
	v_cvt_i32_f32_e32 v23, v22
	v_cvt_f32_i32_dpp v0, v0 row_shr:15 row_mask:0xf bank_mask:0xf bound_ctrl:1
	v_cvt_i32_f32_e32 v7, v7
	v_cvt_f32_i32_dpp v28, v28 row_shl:8 row_mask:0xf bank_mask:0xf bound_ctrl:1
	v_cvt_f32_i32_dpp v23, v23 row_shl:4 row_mask:0xf bank_mask:0xf bound_ctrl:1
	v_cvt_i32_f32_e32 v19, v19
	v_cvt_i32_f32_e32 v8, v8
	v_add_f32_e32 v24, v27, v28
	v_add_f32_e32 v28, v22, v23
	v_cvt_i32_f32_e32 v27, v0
	v_cvt_i32_f32_e32 v22, v28
	;; [unrolled: 1-line block ×4, first 2 shown]
	v_cvt_f32_i32_dpp v27, v27 row_bcast:15 row_mask:0xf bank_mask:0xf bound_ctrl:1
	v_cvt_f32_i32_dpp v29, v22 row_shl:8 row_mask:0xf bank_mask:0xf bound_ctrl:1
	v_cvt_i32_f32_e32 v21, v21
	v_cvt_i32_f32_e32 v25, v26
	v_cvt_f32_i32_dpp v24, v24 row_shr:15 row_mask:0xf bank_mask:0xf bound_ctrl:1
	v_cvt_f32_i32_dpp v7, v7 row_shl:1 row_mask:0xf bank_mask:0xf bound_ctrl:1
	v_cvt_f32_i32_dpp v19, v19 row_shl:1 row_mask:0xf bank_mask:0xf bound_ctrl:1
	v_cvt_i32_f32_e32 v15, v15
	v_cvt_f32_i32_dpp v8, v8 row_shl:2 row_mask:0xf bank_mask:0xf bound_ctrl:1
	v_cvt_i32_f32_e32 v9, v9
	;; [unrolled: 2-line block ×3, first 2 shown]
	v_add_f32_e32 v22, v0, v27
	v_add_f32_e32 v27, v28, v29
	v_cvt_f32_i32_dpp v21, v21 row_shl:3 row_mask:0xf bank_mask:0xf bound_ctrl:1
	v_cvt_i32_f32_e32 v17, v17
	v_mov_b32_dpp v23, v25 row_bcast:31 row_mask:0xf bank_mask:0xf bound_ctrl:1
	v_cvt_i32_f32_e32 v25, v24
	v_cvt_i32_f32_e32 v27, v27
	v_add_f32_e32 v6, v6, v7
	v_add_f32_e32 v18, v18, v19
	v_cvt_f32_i32_dpp v15, v15 row_shl:1 row_mask:0xf bank_mask:0xf bound_ctrl:1
	v_add_f32_e32 v6, v6, v8
	v_cvt_f32_i32_dpp v7, v9 row_shl:3 row_mask:0xf bank_mask:0xf bound_ctrl:1
	v_cvt_i32_f32_e32 v8, v11
	v_add_f32_e32 v18, v18, v20
	v_cvt_f32_i32_dpp v16, v16 row_shl:2 row_mask:0xf bank_mask:0xf bound_ctrl:1
	v_cvt_i32_f32_e32 v9, v12
	;; [unrolled: 3-line block ×3, first 2 shown]
	v_cvt_f32_i32_dpp v25, v25 row_bcast:15 row_mask:0xf bank_mask:0xf bound_ctrl:1
	v_cvt_f32_i32_dpp v27, v27 row_shr:15 row_mask:0xf bank_mask:0xf bound_ctrl:1
	v_cvt_i32_f32_e32 v18, v21
	v_add_f32_e32 v14, v14, v15
	v_add_f32_e32 v6, v6, v7
	v_cvt_f32_i32_dpp v7, v8 row_shl:1 row_mask:0xf bank_mask:0xf bound_ctrl:1
	v_add_f32_e32 v14, v14, v16
	v_cvt_f32_i32_dpp v8, v9 row_shl:2 row_mask:0xf bank_mask:0xf bound_ctrl:1
	v_add_f32_e32 v15, v14, v17
	v_cvt_f32_i32_dpp v9, v11 row_shl:3 row_mask:0xf bank_mask:0xf bound_ctrl:1
	v_cvt_i32_f32_e32 v0, v22
	v_cvt_i32_f32_e32 v28, v27
	v_add_f32_e32 v19, v24, v25
	v_cvt_f32_i32_dpp v24, v18 row_shl:4 row_mask:0xf bank_mask:0xf bound_ctrl:1
	v_cvt_i32_f32_e32 v16, v15
	v_add_f32_e32 v7, v10, v7
	v_add_f32_e32 v7, v7, v8
	;; [unrolled: 1-line block ×3, first 2 shown]
	v_mov_b32_dpp v20, v0 row_bcast:31 row_mask:0xf bank_mask:0xf bound_ctrl:1
	v_cvt_f32_i32_dpp v0, v28 row_bcast:15 row_mask:0xf bank_mask:0xf bound_ctrl:1
	v_add_f32_e32 v21, v21, v24
	v_cvt_f32_i32_dpp v16, v16 row_shl:4 row_mask:0xf bank_mask:0xf bound_ctrl:1
	v_cvt_i32_f32_e32 v11, v6
	v_cvt_i32_f32_e32 v8, v7
	;; [unrolled: 1-line block ×3, first 2 shown]
	v_add_f32_e32 v18, v27, v0
	v_add_f32_e32 v15, v15, v16
	v_cvt_f32_i32_dpp v10, v11 row_shl:4 row_mask:0xf bank_mask:0xf bound_ctrl:1
	v_cvt_f32_i32_dpp v8, v8 row_shl:4 row_mask:0xf bank_mask:0xf bound_ctrl:1
	v_cvt_i32_f32_e32 v0, v18
	v_cvt_f32_i32_dpp v24, v24 row_shl:8 row_mask:0xf bank_mask:0xf bound_ctrl:1
	v_cvt_i32_f32_e32 v16, v15
	v_add_f32_e32 v6, v6, v10
	v_add_f32_e32 v7, v7, v8
	v_mov_b32_dpp v14, v0 row_bcast:31 row_mask:0xf bank_mask:0xf bound_ctrl:1
	v_add_f32_e32 v0, v21, v24
	v_cvt_f32_i32_dpp v9, v16 row_shl:8 row_mask:0xf bank_mask:0xf bound_ctrl:1
	v_cvt_i32_f32_e32 v10, v6
	v_cvt_i32_f32_e32 v8, v7
	;; [unrolled: 1-line block ×3, first 2 shown]
	v_add_f32_e32 v9, v15, v9
	v_cvt_f32_i32_dpp v10, v10 row_shl:8 row_mask:0xf bank_mask:0xf bound_ctrl:1
	v_cvt_f32_i32_dpp v8, v8 row_shl:8 row_mask:0xf bank_mask:0xf bound_ctrl:1
	v_cvt_f32_i32_dpp v0, v0 row_shr:15 row_mask:0xf bank_mask:0xf bound_ctrl:1
	v_cvt_i32_f32_e32 v9, v9
	v_add_f32_e32 v6, v6, v10
	v_add_f32_e32 v7, v7, v8
	v_cvt_i32_f32_e32 v11, v0
	v_cvt_f32_i32_dpp v9, v9 row_shr:15 row_mask:0xf bank_mask:0xf bound_ctrl:1
	v_cvt_i32_f32_e32 v6, v6
	v_cvt_i32_f32_e32 v7, v7
	v_cvt_f32_i32_dpp v8, v11 row_bcast:15 row_mask:0xf bank_mask:0xf bound_ctrl:1
	v_cvt_i32_f32_e32 v10, v9
	v_cvt_f32_i32_dpp v6, v6 row_shr:15 row_mask:0xf bank_mask:0xf bound_ctrl:1
	v_cvt_f32_i32_dpp v7, v7 row_shr:15 row_mask:0xf bank_mask:0xf bound_ctrl:1
	v_add_f32_e32 v13, v0, v8
	v_cvt_f32_i32_dpp v8, v10 row_bcast:15 row_mask:0xf bank_mask:0xf bound_ctrl:1
	v_cvt_i32_f32_e32 v0, v6
	v_cvt_i32_f32_e32 v11, v7
	;; [unrolled: 1-line block ×3, first 2 shown]
	v_add_f32_e32 v10, v9, v8
	v_cvt_f32_i32_dpp v0, v0 row_bcast:15 row_mask:0xf bank_mask:0xf bound_ctrl:1
	v_cvt_f32_i32_dpp v9, v11 row_bcast:15 row_mask:0xf bank_mask:0xf bound_ctrl:1
	v_cvt_i32_f32_e32 v12, v13
	v_cvt_i32_f32_e32 v11, v10
	v_add_f32_e32 v8, v6, v0
	v_add_f32_e32 v6, v7, v9
	v_cvt_i32_f32_e32 v0, v8
	v_cvt_i32_f32_e32 v7, v6
	v_mov_b32_dpp v17, v25 row_bcast:31 row_mask:0xf bank_mask:0xf bound_ctrl:1
	v_mov_b32_dpp v16, v12 row_bcast:31 row_mask:0xf bank_mask:0xf bound_ctrl:1
	;; [unrolled: 1-line block ×5, first 2 shown]
	s_and_saveexec_b64 s[34:35], s[0:1]
	s_cbranch_execz .LBB216_87
; %bb.37:                               ;   in Loop: Header=BB216_13 Depth=1
	s_andn2_b64 vcc, exec, s[28:29]
	v_mov_b32_e32 v28, 0
	v_mov_b32_e32 v27, 0
	;; [unrolled: 1-line block ×8, first 2 shown]
	s_cbranch_vccnz .LBB216_39
; %bb.38:                               ;   in Loop: Header=BB216_13 Depth=1
	v_mul_hi_u32 v0, v86, v107
	v_mul_lo_u32 v0, v0, s20
	v_sub_u32_e32 v0, v86, v0
	v_subrev_u32_e32 v11, s20, v0
	v_cmp_le_u32_e32 vcc, s20, v0
	v_mov_b32_e32 v25, v1
	v_mov_b32_e32 v29, v1
	v_cndmask_b32_e32 v0, v0, v11, vcc
	v_subrev_u32_e32 v11, s20, v0
	v_cmp_le_u32_e32 vcc, s20, v0
	v_mov_b32_e32 v37, v1
	s_nop 0
	v_cndmask_b32_e32 v0, v0, v11, vcc
	v_mul_hi_u32 v11, v92, v107
	v_mul_lo_u32 v11, v11, s20
	v_sub_u32_e32 v11, v92, v11
	v_subrev_u32_e32 v15, s20, v11
	v_cmp_le_u32_e32 vcc, s20, v11
	v_lshl_add_u64 v[30:31], v[0:1], 1, s[18:19]
	v_add_u32_e32 v0, s21, v0
	v_cndmask_b32_e32 v11, v11, v15, vcc
	v_subrev_u32_e32 v15, s20, v11
	v_cmp_le_u32_e32 vcc, s20, v11
	v_lshl_add_u64 v[40:41], v[0:1], 1, s[18:19]
	s_nop 0
	v_cndmask_b32_e32 v24, v11, v15, vcc
	v_mul_hi_u32 v11, v90, v107
	v_mul_lo_u32 v11, v11, s20
	v_sub_u32_e32 v11, v90, v11
	v_subrev_u32_e32 v15, s20, v11
	v_cmp_le_u32_e32 vcc, s20, v11
	v_add_u32_e32 v0, s21, v24
	v_lshl_add_u64 v[42:43], v[0:1], 1, s[18:19]
	v_cndmask_b32_e32 v11, v11, v15, vcc
	v_subrev_u32_e32 v15, s20, v11
	v_cmp_le_u32_e32 vcc, s20, v11
	v_lshl_add_u64 v[32:33], v[24:25], 1, s[18:19]
	s_nop 0
	v_cndmask_b32_e32 v28, v11, v15, vcc
	v_mul_hi_u32 v11, v88, v107
	v_mul_lo_u32 v11, v11, s20
	v_sub_u32_e32 v11, v88, v11
	v_subrev_u32_e32 v15, s20, v11
	v_cmp_le_u32_e32 vcc, s20, v11
	v_add_u32_e32 v0, s21, v28
	v_lshl_add_u64 v[44:45], v[0:1], 1, s[18:19]
	v_cndmask_b32_e32 v11, v11, v15, vcc
	v_subrev_u32_e32 v15, s20, v11
	v_cmp_le_u32_e32 vcc, s20, v11
	v_lshl_add_u64 v[34:35], v[28:29], 1, s[18:19]
	s_nop 0
	v_cndmask_b32_e32 v36, v11, v15, vcc
	v_add_u32_e32 v0, s21, v36
	v_lshl_add_u64 v[38:39], v[36:37], 1, s[18:19]
	v_lshl_add_u64 v[36:37], v[0:1], 1, s[18:19]
	global_load_ushort v28, v[30:31], off
	global_load_ushort v27, v[32:33], off
	;; [unrolled: 1-line block ×8, first 2 shown]
.LBB216_39:                             ;   in Loop: Header=BB216_13 Depth=1
	v_cmp_ne_u32_e32 vcc, 0, v2
	s_and_saveexec_b64 s[6:7], vcc
	s_cbranch_execnz .LBB216_47
; %bb.40:                               ;   in Loop: Header=BB216_13 Depth=1
	s_or_b64 exec, exec, s[6:7]
	v_cmp_ne_u32_e64 s[4:5], 0, v3
	s_and_saveexec_b64 s[8:9], s[4:5]
	s_cbranch_execnz .LBB216_52
.LBB216_41:                             ;   in Loop: Header=BB216_13 Depth=1
	s_or_b64 exec, exec, s[8:9]
	v_cmp_ne_u32_e64 s[6:7], 0, v4
	s_and_saveexec_b64 s[10:11], s[6:7]
	s_cbranch_execnz .LBB216_57
.LBB216_42:                             ;   in Loop: Header=BB216_13 Depth=1
	s_or_b64 exec, exec, s[10:11]
	v_cmp_ne_u32_e64 s[8:9], 0, v5
	s_and_saveexec_b64 s[36:37], s[8:9]
	s_cbranch_execnz .LBB216_62
.LBB216_43:                             ;   in Loop: Header=BB216_13 Depth=1
	s_or_b64 exec, exec, s[36:37]
	s_waitcnt vmcnt(4)
	v_add_u32_e32 v0, s15, v86
	s_and_saveexec_b64 s[10:11], vcc
	s_cbranch_execnz .LBB216_67
.LBB216_44:                             ;   in Loop: Header=BB216_13 Depth=1
	s_or_b64 exec, exec, s[10:11]
	s_and_saveexec_b64 s[10:11], s[4:5]
	s_cbranch_execnz .LBB216_72
.LBB216_45:                             ;   in Loop: Header=BB216_13 Depth=1
	s_or_b64 exec, exec, s[10:11]
	s_and_saveexec_b64 s[4:5], s[6:7]
	s_cbranch_execnz .LBB216_77
.LBB216_46:                             ;   in Loop: Header=BB216_13 Depth=1
	s_or_b64 exec, exec, s[4:5]
	s_and_b64 exec, exec, s[8:9]
	s_cbranch_execnz .LBB216_82
	s_branch .LBB216_87
.LBB216_47:                             ;   in Loop: Header=BB216_13 Depth=1
	v_cvt_f32_i32_e32 v23, v23
	v_add_f32_e32 v23, v26, v23
	s_waitcnt vmcnt(7)
	v_lshlrev_b32_e32 v26, 16, v28
	v_add_f32_e32 v26, v23, v26
	v_and_b32_e32 v23, 0x7f800000, v26
	v_cmp_ne_u32_e64 s[4:5], s44, v23
                                        ; implicit-def: $vgpr23
	s_and_saveexec_b64 s[8:9], s[4:5]
	s_xor_b64 s[4:5], exec, s[8:9]
; %bb.48:                               ;   in Loop: Header=BB216_13 Depth=1
	v_bfe_u32 v23, v26, 16, 1
	v_add3_u32 v23, v26, v23, s43
                                        ; implicit-def: $vgpr26
; %bb.49:                               ;   in Loop: Header=BB216_13 Depth=1
	s_andn2_saveexec_b64 s[8:9], s[4:5]
; %bb.50:                               ;   in Loop: Header=BB216_13 Depth=1
	v_or_b32_e32 v23, 0x10000, v26
	v_cmp_eq_u32_sdwa s[4:5], v26, v1 src0_sel:WORD_0 src1_sel:DWORD
	s_nop 1
	v_cndmask_b32_e64 v23, v23, v26, s[4:5]
; %bb.51:                               ;   in Loop: Header=BB216_13 Depth=1
	s_or_b64 exec, exec, s[8:9]
	v_mov_b32_e32 v87, v1
	s_waitcnt lgkmcnt(0)
	v_lshl_add_u64 v[28:29], v[86:87], 1, s[24:25]
	global_store_short_d16_hi v[28:29], v23, off
	s_or_b64 exec, exec, s[6:7]
	v_cmp_ne_u32_e64 s[4:5], 0, v3
	s_and_saveexec_b64 s[8:9], s[4:5]
	s_cbranch_execz .LBB216_41
.LBB216_52:                             ;   in Loop: Header=BB216_13 Depth=1
	v_cvt_f32_i32_e32 v20, v20
	v_add_f32_e32 v20, v22, v20
	s_waitcnt vmcnt(6)
	v_lshlrev_b32_e32 v22, 16, v27
	v_add_f32_e32 v22, v20, v22
	v_and_b32_e32 v20, 0x7f800000, v22
	v_cmp_ne_u32_e64 s[6:7], s44, v20
                                        ; implicit-def: $vgpr20
	s_and_saveexec_b64 s[10:11], s[6:7]
	s_xor_b64 s[6:7], exec, s[10:11]
; %bb.53:                               ;   in Loop: Header=BB216_13 Depth=1
	v_bfe_u32 v20, v22, 16, 1
	v_add3_u32 v20, v22, v20, s43
                                        ; implicit-def: $vgpr22
; %bb.54:                               ;   in Loop: Header=BB216_13 Depth=1
	s_andn2_saveexec_b64 s[10:11], s[6:7]
; %bb.55:                               ;   in Loop: Header=BB216_13 Depth=1
	v_or_b32_e32 v20, 0x10000, v22
	v_cmp_eq_u32_sdwa s[6:7], v22, v1 src0_sel:WORD_0 src1_sel:DWORD
	s_nop 1
	v_cndmask_b32_e64 v20, v20, v22, s[6:7]
; %bb.56:                               ;   in Loop: Header=BB216_13 Depth=1
	s_or_b64 exec, exec, s[10:11]
	v_mov_b32_e32 v93, v1
	s_waitcnt lgkmcnt(0)
	v_lshl_add_u64 v[22:23], v[92:93], 1, s[24:25]
	global_store_short_d16_hi v[22:23], v20, off
	s_or_b64 exec, exec, s[8:9]
	v_cmp_ne_u32_e64 s[6:7], 0, v4
	s_and_saveexec_b64 s[10:11], s[6:7]
	s_cbranch_execz .LBB216_42
.LBB216_57:                             ;   in Loop: Header=BB216_13 Depth=1
	v_cvt_f32_i32_e32 v17, v17
	v_add_f32_e32 v17, v19, v17
	s_waitcnt vmcnt(5)
	v_lshlrev_b32_e32 v19, 16, v25
	v_add_f32_e32 v19, v17, v19
	v_and_b32_e32 v17, 0x7f800000, v19
	v_cmp_ne_u32_e64 s[8:9], s44, v17
                                        ; implicit-def: $vgpr17
	s_and_saveexec_b64 s[36:37], s[8:9]
	s_xor_b64 s[8:9], exec, s[36:37]
; %bb.58:                               ;   in Loop: Header=BB216_13 Depth=1
	v_bfe_u32 v17, v19, 16, 1
	v_add3_u32 v17, v19, v17, s43
                                        ; implicit-def: $vgpr19
; %bb.59:                               ;   in Loop: Header=BB216_13 Depth=1
	s_andn2_saveexec_b64 s[36:37], s[8:9]
; %bb.60:                               ;   in Loop: Header=BB216_13 Depth=1
	v_or_b32_e32 v17, 0x10000, v19
	v_cmp_eq_u32_sdwa s[8:9], v19, v1 src0_sel:WORD_0 src1_sel:DWORD
	s_nop 1
	v_cndmask_b32_e64 v17, v17, v19, s[8:9]
; %bb.61:                               ;   in Loop: Header=BB216_13 Depth=1
	s_or_b64 exec, exec, s[36:37]
	v_mov_b32_e32 v91, v1
	s_waitcnt lgkmcnt(0)
	v_lshl_add_u64 v[22:23], v[90:91], 1, s[24:25]
	global_store_short_d16_hi v[22:23], v17, off
	s_or_b64 exec, exec, s[10:11]
	v_cmp_ne_u32_e64 s[8:9], 0, v5
	s_and_saveexec_b64 s[36:37], s[8:9]
	s_cbranch_execz .LBB216_43
.LBB216_62:                             ;   in Loop: Header=BB216_13 Depth=1
	v_cvt_f32_i32_e32 v14, v14
	s_waitcnt vmcnt(4)
	v_lshlrev_b32_e32 v0, 16, v0
	v_add_f32_e32 v14, v18, v14
	v_add_f32_e32 v14, v14, v0
	v_and_b32_e32 v0, 0x7f800000, v14
	v_cmp_ne_u32_e64 s[10:11], s44, v0
                                        ; implicit-def: $vgpr0
	s_and_saveexec_b64 s[38:39], s[10:11]
	s_xor_b64 s[10:11], exec, s[38:39]
; %bb.63:                               ;   in Loop: Header=BB216_13 Depth=1
	v_bfe_u32 v0, v14, 16, 1
	v_add3_u32 v0, v14, v0, s43
                                        ; implicit-def: $vgpr14
; %bb.64:                               ;   in Loop: Header=BB216_13 Depth=1
	s_andn2_saveexec_b64 s[38:39], s[10:11]
; %bb.65:                               ;   in Loop: Header=BB216_13 Depth=1
	v_or_b32_e32 v0, 0x10000, v14
	v_cmp_eq_u32_sdwa s[10:11], v14, v1 src0_sel:WORD_0 src1_sel:DWORD
	s_nop 1
	v_cndmask_b32_e64 v0, v0, v14, s[10:11]
; %bb.66:                               ;   in Loop: Header=BB216_13 Depth=1
	s_or_b64 exec, exec, s[38:39]
	v_mov_b32_e32 v89, v1
	s_waitcnt lgkmcnt(0)
	v_lshl_add_u64 v[18:19], v[88:89], 1, s[24:25]
	global_store_short_d16_hi v[18:19], v0, off
	s_or_b64 exec, exec, s[36:37]
	v_add_u32_e32 v0, s15, v86
	s_and_saveexec_b64 s[10:11], vcc
	s_cbranch_execz .LBB216_44
.LBB216_67:                             ;   in Loop: Header=BB216_13 Depth=1
	v_cvt_f32_i32_e32 v14, v16
	v_add_f32_e32 v13, v13, v14
	s_waitcnt vmcnt(3)
	v_lshlrev_b32_e32 v14, 16, v24
	v_add_f32_e32 v14, v13, v14
	v_and_b32_e32 v13, 0x7f800000, v14
	v_cmp_ne_u32_e32 vcc, s44, v13
                                        ; implicit-def: $vgpr13
	s_and_saveexec_b64 s[36:37], vcc
	s_xor_b64 s[36:37], exec, s[36:37]
; %bb.68:                               ;   in Loop: Header=BB216_13 Depth=1
	v_bfe_u32 v13, v14, 16, 1
	v_add3_u32 v13, v14, v13, s43
                                        ; implicit-def: $vgpr14
; %bb.69:                               ;   in Loop: Header=BB216_13 Depth=1
	s_andn2_saveexec_b64 s[36:37], s[36:37]
; %bb.70:                               ;   in Loop: Header=BB216_13 Depth=1
	v_or_b32_e32 v13, 0x10000, v14
	v_cmp_eq_u32_sdwa vcc, v14, v1 src0_sel:WORD_0 src1_sel:DWORD
	s_nop 1
	v_cndmask_b32_e32 v13, v13, v14, vcc
; %bb.71:                               ;   in Loop: Header=BB216_13 Depth=1
	s_or_b64 exec, exec, s[36:37]
	s_waitcnt lgkmcnt(0)
	v_lshl_add_u64 v[16:17], v[0:1], 1, s[24:25]
	global_store_short_d16_hi v[16:17], v13, off
	s_or_b64 exec, exec, s[10:11]
	s_and_saveexec_b64 s[10:11], s[4:5]
	s_cbranch_execz .LBB216_45
.LBB216_72:                             ;   in Loop: Header=BB216_13 Depth=1
	v_cvt_f32_i32_e32 v12, v12
	v_add_f32_e32 v10, v10, v12
	s_waitcnt vmcnt(2)
	v_lshlrev_b32_e32 v12, 16, v21
	v_add_f32_e32 v12, v10, v12
	v_and_b32_e32 v10, 0x7f800000, v12
	v_cmp_ne_u32_e32 vcc, s44, v10
                                        ; implicit-def: $vgpr10
	s_and_saveexec_b64 s[4:5], vcc
	s_xor_b64 s[4:5], exec, s[4:5]
; %bb.73:                               ;   in Loop: Header=BB216_13 Depth=1
	v_bfe_u32 v10, v12, 16, 1
	v_add3_u32 v10, v12, v10, s43
                                        ; implicit-def: $vgpr12
; %bb.74:                               ;   in Loop: Header=BB216_13 Depth=1
	s_andn2_saveexec_b64 s[4:5], s[4:5]
; %bb.75:                               ;   in Loop: Header=BB216_13 Depth=1
	v_or_b32_e32 v10, 0x10000, v12
	v_cmp_eq_u32_sdwa vcc, v12, v1 src0_sel:WORD_0 src1_sel:DWORD
	s_nop 1
	v_cndmask_b32_e32 v10, v10, v12, vcc
; %bb.76:                               ;   in Loop: Header=BB216_13 Depth=1
	s_or_b64 exec, exec, s[4:5]
	v_add_u32_e32 v12, 1, v0
	v_mov_b32_e32 v13, v1
	s_waitcnt lgkmcnt(0)
	v_lshl_add_u64 v[12:13], v[12:13], 1, s[24:25]
	global_store_short_d16_hi v[12:13], v10, off
	s_or_b64 exec, exec, s[10:11]
	s_and_saveexec_b64 s[4:5], s[6:7]
	s_cbranch_execz .LBB216_46
.LBB216_77:                             ;   in Loop: Header=BB216_13 Depth=1
	v_cvt_f32_i32_e32 v9, v9
	v_add_f32_e32 v8, v8, v9
	s_waitcnt vmcnt(1)
	v_lshlrev_b32_e32 v9, 16, v15
	v_add_f32_e32 v9, v8, v9
	v_and_b32_e32 v8, 0x7f800000, v9
	v_cmp_ne_u32_e32 vcc, s44, v8
                                        ; implicit-def: $vgpr8
	s_and_saveexec_b64 s[6:7], vcc
	s_xor_b64 s[6:7], exec, s[6:7]
; %bb.78:                               ;   in Loop: Header=BB216_13 Depth=1
	v_bfe_u32 v8, v9, 16, 1
	v_add3_u32 v8, v9, v8, s43
                                        ; implicit-def: $vgpr9
; %bb.79:                               ;   in Loop: Header=BB216_13 Depth=1
	s_andn2_saveexec_b64 s[6:7], s[6:7]
; %bb.80:                               ;   in Loop: Header=BB216_13 Depth=1
	v_or_b32_e32 v8, 0x10000, v9
	v_cmp_eq_u32_sdwa vcc, v9, v1 src0_sel:WORD_0 src1_sel:DWORD
	s_nop 1
	v_cndmask_b32_e32 v8, v8, v9, vcc
; %bb.81:                               ;   in Loop: Header=BB216_13 Depth=1
	s_or_b64 exec, exec, s[6:7]
	v_add_u32_e32 v12, 2, v0
	v_mov_b32_e32 v13, v1
	s_waitcnt lgkmcnt(0)
	v_lshl_add_u64 v[12:13], v[12:13], 1, s[24:25]
	global_store_short_d16_hi v[12:13], v8, off
	s_or_b64 exec, exec, s[4:5]
	s_and_b64 exec, exec, s[8:9]
	s_cbranch_execz .LBB216_87
.LBB216_82:                             ;   in Loop: Header=BB216_13 Depth=1
	v_cvt_f32_i32_e32 v7, v7
	v_add_f32_e32 v6, v6, v7
	s_waitcnt vmcnt(0)
	v_lshlrev_b32_e32 v7, 16, v11
	v_add_f32_e32 v7, v6, v7
	v_and_b32_e32 v6, 0x7f800000, v7
	v_cmp_ne_u32_e32 vcc, s44, v6
                                        ; implicit-def: $vgpr6
	s_and_saveexec_b64 s[4:5], vcc
	s_xor_b64 s[4:5], exec, s[4:5]
; %bb.83:                               ;   in Loop: Header=BB216_13 Depth=1
	v_bfe_u32 v6, v7, 16, 1
	v_add3_u32 v6, v7, v6, s43
                                        ; implicit-def: $vgpr7
; %bb.84:                               ;   in Loop: Header=BB216_13 Depth=1
	s_andn2_saveexec_b64 s[4:5], s[4:5]
; %bb.85:                               ;   in Loop: Header=BB216_13 Depth=1
	v_or_b32_e32 v6, 0x10000, v7
	v_cmp_eq_u32_sdwa vcc, v7, v1 src0_sel:WORD_0 src1_sel:DWORD
	s_nop 1
	v_cndmask_b32_e32 v6, v6, v7, vcc
; %bb.86:                               ;   in Loop: Header=BB216_13 Depth=1
	s_or_b64 exec, exec, s[4:5]
	v_add_u32_e32 v0, 3, v0
	s_waitcnt lgkmcnt(0)
	v_lshl_add_u64 v[8:9], v[0:1], 1, s[24:25]
	global_store_short_d16_hi v[8:9], v6, off
.LBB216_87:                             ;   in Loop: Header=BB216_13 Depth=1
	s_or_b64 exec, exec, s[34:35]
	v_add_u32_e32 v86, s41, v86
	v_add_u32_e32 v0, 4, v86
	v_cmp_gt_u32_e32 vcc, s15, v86
	v_cmp_le_u32_e64 s[4:5], s15, v0
	s_and_b64 s[4:5], vcc, s[4:5]
	s_and_saveexec_b64 s[6:7], s[4:5]
	s_cbranch_execz .LBB216_12
; %bb.88:                               ;   in Loop: Header=BB216_13 Depth=1
	v_cmp_ne_u32_e32 vcc, s42, v86
	s_and_saveexec_b64 s[8:9], vcc
	s_cbranch_execz .LBB216_11
; %bb.89:                               ;   in Loop: Header=BB216_13 Depth=1
	v_subrev_u32_e32 v0, s42, v86
	v_cmp_lt_u32_e32 vcc, 1, v0
	s_mov_b64 s[10:11], 0
	s_mov_b64 s[34:35], 0
	v_cndmask_b32_e32 v0, 1, v0, vcc
.LBB216_90:                             ;   Parent Loop BB216_13 Depth=1
                                        ; =>  This Inner Loop Header: Depth=2
	s_cmp_lg_u32 s34, 3
	s_cselect_b64 vcc, -1, 0
	s_cmp_lg_u32 s34, 2
	v_cndmask_b32_e32 v5, 0, v5, vcc
	s_cselect_b64 vcc, -1, 0
	s_cmp_lg_u32 s34, 1
	v_cndmask_b32_e32 v4, 0, v4, vcc
	;; [unrolled: 3-line block ×3, first 2 shown]
	s_cselect_b64 vcc, -1, 0
	s_add_u32 s34, s34, 1
	s_addc_u32 s35, s35, 0
	v_cmp_eq_u32_e64 s[4:5], s34, v0
	s_or_b64 s[10:11], s[4:5], s[10:11]
	v_cndmask_b32_e32 v2, 0, v2, vcc
	s_andn2_b64 exec, exec, s[10:11]
	s_cbranch_execnz .LBB216_90
; %bb.91:                               ;   in Loop: Header=BB216_13 Depth=1
	s_or_b64 exec, exec, s[10:11]
	s_branch .LBB216_11
.LBB216_92:
	s_endpgm
	.section	.rodata,"a",@progbits
	.p2align	6, 0x0
	.amdhsa_kernel _Z12wvSplitK_hf_I14__hip_bfloat16Li64ELi4ELi16ELi8ELi2ELi2EEviiiiiiPKT_S3_S3_PS1_ii
		.amdhsa_group_segment_fixed_size 65536
		.amdhsa_private_segment_fixed_size 0
		.amdhsa_kernarg_size 64
		.amdhsa_user_sgpr_count 2
		.amdhsa_user_sgpr_dispatch_ptr 0
		.amdhsa_user_sgpr_queue_ptr 0
		.amdhsa_user_sgpr_kernarg_segment_ptr 1
		.amdhsa_user_sgpr_dispatch_id 0
		.amdhsa_user_sgpr_kernarg_preload_length 0
		.amdhsa_user_sgpr_kernarg_preload_offset 0
		.amdhsa_user_sgpr_private_segment_size 0
		.amdhsa_uses_dynamic_stack 0
		.amdhsa_enable_private_segment 0
		.amdhsa_system_sgpr_workgroup_id_x 1
		.amdhsa_system_sgpr_workgroup_id_y 0
		.amdhsa_system_sgpr_workgroup_id_z 0
		.amdhsa_system_sgpr_workgroup_info 0
		.amdhsa_system_vgpr_workitem_id 1
		.amdhsa_next_free_vgpr 108
		.amdhsa_next_free_sgpr 45
		.amdhsa_accum_offset 108
		.amdhsa_reserve_vcc 1
		.amdhsa_float_round_mode_32 0
		.amdhsa_float_round_mode_16_64 0
		.amdhsa_float_denorm_mode_32 3
		.amdhsa_float_denorm_mode_16_64 3
		.amdhsa_dx10_clamp 1
		.amdhsa_ieee_mode 1
		.amdhsa_fp16_overflow 0
		.amdhsa_tg_split 0
		.amdhsa_exception_fp_ieee_invalid_op 0
		.amdhsa_exception_fp_denorm_src 0
		.amdhsa_exception_fp_ieee_div_zero 0
		.amdhsa_exception_fp_ieee_overflow 0
		.amdhsa_exception_fp_ieee_underflow 0
		.amdhsa_exception_fp_ieee_inexact 0
		.amdhsa_exception_int_div_zero 0
	.end_amdhsa_kernel
	.section	.text._Z12wvSplitK_hf_I14__hip_bfloat16Li64ELi4ELi16ELi8ELi2ELi2EEviiiiiiPKT_S3_S3_PS1_ii,"axG",@progbits,_Z12wvSplitK_hf_I14__hip_bfloat16Li64ELi4ELi16ELi8ELi2ELi2EEviiiiiiPKT_S3_S3_PS1_ii,comdat
.Lfunc_end216:
	.size	_Z12wvSplitK_hf_I14__hip_bfloat16Li64ELi4ELi16ELi8ELi2ELi2EEviiiiiiPKT_S3_S3_PS1_ii, .Lfunc_end216-_Z12wvSplitK_hf_I14__hip_bfloat16Li64ELi4ELi16ELi8ELi2ELi2EEviiiiiiPKT_S3_S3_PS1_ii
                                        ; -- End function
	.section	.AMDGPU.csdata,"",@progbits
; Kernel info:
; codeLenInByte = 4536
; NumSgprs: 51
; NumVgprs: 108
; NumAgprs: 0
; TotalNumVgprs: 108
; ScratchSize: 0
; MemoryBound: 1
; FloatMode: 240
; IeeeMode: 1
; LDSByteSize: 65536 bytes/workgroup (compile time only)
; SGPRBlocks: 6
; VGPRBlocks: 13
; NumSGPRsForWavesPerEU: 51
; NumVGPRsForWavesPerEU: 108
; AccumOffset: 108
; Occupancy: 4
; WaveLimiterHint : 0
; COMPUTE_PGM_RSRC2:SCRATCH_EN: 0
; COMPUTE_PGM_RSRC2:USER_SGPR: 2
; COMPUTE_PGM_RSRC2:TRAP_HANDLER: 0
; COMPUTE_PGM_RSRC2:TGID_X_EN: 1
; COMPUTE_PGM_RSRC2:TGID_Y_EN: 0
; COMPUTE_PGM_RSRC2:TGID_Z_EN: 0
; COMPUTE_PGM_RSRC2:TIDIG_COMP_CNT: 1
; COMPUTE_PGM_RSRC3_GFX90A:ACCUM_OFFSET: 26
; COMPUTE_PGM_RSRC3_GFX90A:TG_SPLIT: 0
	.section	.text._Z16wvSplitK_hf_big_I14__hip_bfloat16Li64ELi4ELi16ELi8ELi2ELi2EEviiiiiiPKT_S3_S3_PS1_ii,"axG",@progbits,_Z16wvSplitK_hf_big_I14__hip_bfloat16Li64ELi4ELi16ELi8ELi2ELi2EEviiiiiiPKT_S3_S3_PS1_ii,comdat
	.protected	_Z16wvSplitK_hf_big_I14__hip_bfloat16Li64ELi4ELi16ELi8ELi2ELi2EEviiiiiiPKT_S3_S3_PS1_ii ; -- Begin function _Z16wvSplitK_hf_big_I14__hip_bfloat16Li64ELi4ELi16ELi8ELi2ELi2EEviiiiiiPKT_S3_S3_PS1_ii
	.globl	_Z16wvSplitK_hf_big_I14__hip_bfloat16Li64ELi4ELi16ELi8ELi2ELi2EEviiiiiiPKT_S3_S3_PS1_ii
	.p2align	8
	.type	_Z16wvSplitK_hf_big_I14__hip_bfloat16Li64ELi4ELi16ELi8ELi2ELi2EEviiiiiiPKT_S3_S3_PS1_ii,@function
_Z16wvSplitK_hf_big_I14__hip_bfloat16Li64ELi4ELi16ELi8ELi2ELi2EEviiiiiiPKT_S3_S3_PS1_ii: ; @_Z16wvSplitK_hf_big_I14__hip_bfloat16Li64ELi4ELi16ELi8ELi2ELi2EEviiiiiiPKT_S3_S3_PS1_ii
; %bb.0:
	s_load_dwordx2 s[8:9], s[0:1], 0x38
	v_bfe_u32 v7, v0, 10, 10
	s_waitcnt lgkmcnt(0)
	v_cmp_gt_u32_e32 vcc, s8, v7
	s_and_saveexec_b64 s[4:5], vcc
	s_cbranch_execz .LBB217_88
; %bb.1:
	s_load_dwordx4 s[24:27], s[0:1], 0x0
	s_mul_i32 s2, s2, s8
	v_add_lshl_u32 v86, s2, v7, 2
	s_mov_b32 s4, 1
	v_add_u32_e32 v1, 4, v86
	s_mov_b32 s5, s4
	s_waitcnt lgkmcnt(0)
	v_cmp_gt_u32_e32 vcc, s27, v86
	v_cmp_le_u32_e64 s[2:3], s27, v1
	s_mov_b32 s6, s4
	s_mov_b32 s7, s4
	v_mov_b64_e32 v[2:3], s[4:5]
	s_and_b64 s[10:11], vcc, s[2:3]
	v_mov_b64_e32 v[4:5], s[6:7]
	s_and_saveexec_b64 s[2:3], s[10:11]
	s_cbranch_execz .LBB217_7
; %bb.2:
	s_add_i32 s16, s27, -4
	v_mov_b64_e32 v[2:3], s[4:5]
	v_cmp_ne_u32_e32 vcc, s16, v86
	v_mov_b64_e32 v[4:5], s[6:7]
	s_and_saveexec_b64 s[10:11], vcc
	s_cbranch_execz .LBB217_6
; %bb.3:
	v_subrev_u32_e32 v1, s16, v86
	v_cmp_lt_u32_e32 vcc, 1, v1
	s_mov_b64 s[12:13], 0
	s_mov_b64 s[14:15], 0
	v_cndmask_b32_e32 v6, 1, v1, vcc
	s_mov_b32 s5, s4
	s_mov_b32 s6, s4
	;; [unrolled: 1-line block ×3, first 2 shown]
.LBB217_4:                              ; =>This Inner Loop Header: Depth=1
	s_cmp_lg_u32 s14, 3
	s_cselect_b32 s7, s7, 0
	s_cmp_lg_u32 s14, 2
	s_cselect_b32 s6, s6, 0
	;; [unrolled: 2-line block ×4, first 2 shown]
	s_add_u32 s14, s14, 1
	s_addc_u32 s15, s15, 0
	v_cmp_eq_u32_e32 vcc, s14, v6
	v_mov_b64_e32 v[2:3], s[4:5]
	s_or_b64 s[12:13], vcc, s[12:13]
	v_mov_b64_e32 v[4:5], s[6:7]
	s_andn2_b64 exec, exec, s[12:13]
	s_cbranch_execnz .LBB217_4
; %bb.5:
	s_or_b64 exec, exec, s[12:13]
	v_mov_b32_e32 v86, s16
.LBB217_6:
	s_or_b64 exec, exec, s[10:11]
.LBB217_7:
	s_or_b64 exec, exec, s[2:3]
	s_lshl_b32 s2, s8, 2
	s_abs_i32 s3, s2
	v_cvt_f32_u32_e32 v1, s3
	s_sub_i32 s6, 0, s3
	s_abs_i32 s5, s27
	s_ashr_i32 s4, s27, 31
	v_rcp_iflag_f32_e32 v1, v1
	s_nop 0
	v_mul_f32_e32 v1, 0x4f7ffffe, v1
	v_cvt_u32_f32_e32 v1, v1
	s_nop 0
	v_readfirstlane_b32 s7, v1
	s_mul_i32 s6, s6, s7
	s_mul_hi_u32 s6, s7, s6
	s_add_i32 s7, s7, s6
	s_mul_hi_u32 s6, s5, s7
	s_mul_i32 s6, s6, s3
	s_sub_i32 s5, s5, s6
	s_sub_i32 s6, s5, s3
	s_cmp_ge_u32 s5, s3
	s_cselect_b32 s5, s6, s5
	s_sub_i32 s6, s5, s3
	s_cmp_ge_u32 s5, s3
	s_cselect_b32 s3, s6, s5
	s_xor_b32 s3, s3, s4
	s_sub_i32 s3, s3, s4
	s_add_i32 s2, s2, s27
	s_sub_i32 s2, s2, s3
	s_cmp_eq_u32 s3, 0
	s_cselect_b32 s33, s27, s2
	v_cmp_gt_u32_e32 vcc, s33, v86
	s_and_b64 exec, exec, vcc
	s_cbranch_execz .LBB217_88
; %bb.8:
	s_load_dwordx8 s[16:23], s[0:1], 0x10
	s_min_u32 s44, s26, 0x4000
	s_cmp_lg_u32 s24, 0
	s_load_dwordx2 s[14:15], s[0:1], 0x30
	s_cselect_b64 s[2:3], -1, 0
	s_waitcnt lgkmcnt(0)
	v_cvt_f32_u32_e32 v1, s16
	s_cmp_lg_u32 s26, 0
	s_mul_i32 s0, s9, s8
	s_cselect_b64 s[4:5], -1, 0
	v_rcp_iflag_f32_e32 v1, v1
	s_lshl_b32 s45, s8, 9
	s_add_i32 s46, s24, -8
	s_add_i32 s47, s27, -1
	v_mul_f32_e32 v1, 0x4f7ffffe, v1
	v_cvt_u32_f32_e32 v1, v1
	s_lshl_b32 s48, s0, 2
	s_cmp_lg_u64 s[22:23], 0
	s_cselect_b64 s[30:31], -1, 0
	s_sub_i32 s6, 0, s16
	v_mul_lo_u32 v6, s6, v1
	s_abs_i32 s6, s17
	s_add_i32 s49, s27, -4
	s_sub_i32 s7, 1, s6
	s_cmp_lt_u32 s6, 2
	v_and_b32_e32 v0, 0x3ff, v0
	s_cselect_b32 s7, s7, 1
	v_lshlrev_b32_e32 v96, 3, v0
	v_cmp_eq_u32_e64 s[0:1], 63, v0
	s_sub_i32 s9, s7, s6
	v_lshlrev_b32_e32 v0, 4, v0
	s_cmp_ge_u32 s7, s6
	v_lshl_add_u32 v98, v7, 10, v0
	v_cndmask_b32_e64 v0, 0, 1, s[2:3]
	v_mul_hi_u32 v6, v1, v6
	s_cselect_b32 s17, s9, s7
	s_add_u32 s34, s14, 2
	v_lshl_add_u32 v99, v7, 9, v96
	v_cmp_ne_u32_e64 s[2:3], 1, v0
	v_cndmask_b32_e64 v0, 0, 1, s[4:5]
	s_mov_b64 s[28:29], 0
	v_add_u32_e32 v97, v1, v6
	v_mov_b32_e32 v1, 0
	s_mul_i32 s17, s17, s16
	s_addc_u32 s35, s15, 0
	s_lshl_b32 s50, s44, 1
	s_lshl_b32 s51, s8, 10
	v_add_u32_e32 v100, s26, v99
	s_mov_b32 s52, 0x7f800000
	s_movk_i32 s53, 0x7fff
	v_cmp_ne_u32_e64 s[4:5], 1, v0
	s_branch .LBB217_12
.LBB217_9:                              ;   in Loop: Header=BB217_12 Depth=1
	s_or_b64 exec, exec, s[10:11]
	v_mov_b32_e32 v86, s49
.LBB217_10:                             ;   in Loop: Header=BB217_12 Depth=1
	s_or_b64 exec, exec, s[8:9]
.LBB217_11:                             ;   in Loop: Header=BB217_12 Depth=1
	s_or_b64 exec, exec, s[36:37]
	v_cmp_le_u32_e32 vcc, s33, v86
	s_or_b64 s[28:29], vcc, s[28:29]
	s_andn2_b64 exec, exec, s[28:29]
	s_cbranch_execz .LBB217_88
.LBB217_12:                             ; =>This Loop Header: Depth=1
                                        ;     Child Loop BB217_17 Depth 2
                                        ;       Child Loop BB217_22 Depth 3
                                        ;     Child Loop BB217_86 Depth 2
	s_and_b64 vcc, exec, s[2:3]
	v_mov_b32_e32 v9, v1
	v_mov_b32_e32 v8, v1
	s_waitcnt vmcnt(4)
	v_mov_b32_e32 v7, v1
	v_mov_b32_e32 v6, v1
	;; [unrolled: 1-line block ×9, first 2 shown]
	s_waitcnt vmcnt(0)
	v_mov_b32_e32 v14, v1
	v_mov_b32_e32 v21, v1
	;; [unrolled: 1-line block ×21, first 2 shown]
	s_cbranch_vccnz .LBB217_29
; %bb.13:                               ;   in Loop: Header=BB217_12 Depth=1
	v_add_u32_e32 v6, 1, v86
	v_add_u32_e32 v8, 2, v86
	;; [unrolled: 1-line block ×3, first 2 shown]
	v_min_u32_e32 v0, s47, v86
	v_min_u32_e32 v6, s47, v6
	v_min_u32_e32 v8, s47, v8
	v_min_u32_e32 v10, s47, v10
	v_mul_lo_u32 v0, v0, s25
	v_mul_lo_u32 v6, v6, s25
	v_mov_b32_e32 v7, v1
	v_mul_lo_u32 v8, v8, s25
	v_mov_b32_e32 v9, v1
	;; [unrolled: 2-line block ×3, first 2 shown]
	v_mov_b32_e32 v34, 0
	v_cmp_gt_u32_e64 s[6:7], s27, v86
	s_mov_b32 s36, 0
	v_lshlrev_b64 v[88:89], 1, v[0:1]
	v_lshlrev_b64 v[90:91], 1, v[6:7]
	v_lshlrev_b64 v[92:93], 1, v[8:9]
	v_lshlrev_b64 v[94:95], 1, v[10:11]
	s_mov_b32 s37, 0
	v_mov_b32_e32 v35, v34
	v_mov_b32_e32 v36, v34
	;; [unrolled: 1-line block ×31, first 2 shown]
	s_branch .LBB217_17
.LBB217_14:                             ;   in Loop: Header=BB217_17 Depth=2
	s_or_b64 exec, exec, s[12:13]
.LBB217_15:                             ;   in Loop: Header=BB217_17 Depth=2
	s_or_b64 exec, exec, s[10:11]
	s_waitcnt vmcnt(7) lgkmcnt(1)
	v_mfma_f32_4x4x4_16b_bf16 v[34:37], v[82:83], v[66:67], v[34:37]
	s_waitcnt vmcnt(6)
	v_mfma_f32_4x4x4_16b_bf16 v[30:33], v[82:83], v[62:63], v[30:33]
	s_waitcnt vmcnt(5)
	v_mfma_f32_4x4x4_16b_bf16 v[26:29], v[82:83], v[74:75], v[26:29]
	s_waitcnt vmcnt(4)
	v_mfma_f32_4x4x4_16b_bf16 v[22:25], v[82:83], v[70:71], v[22:25]
	s_waitcnt lgkmcnt(0)
	v_mfma_f32_4x4x4_16b_bf16 v[18:21], v[78:79], v[66:67], v[18:21]
	v_mfma_f32_4x4x4_16b_bf16 v[14:17], v[78:79], v[62:63], v[14:17]
	;; [unrolled: 1-line block ×12, first 2 shown]
	s_waitcnt vmcnt(3)
	v_mfma_f32_4x4x4_16b_bf16 v[34:37], v[58:59], v[42:43], v[34:37]
	s_waitcnt vmcnt(2)
	v_mfma_f32_4x4x4_16b_bf16 v[30:33], v[58:59], v[38:39], v[30:33]
	;; [unrolled: 2-line block ×4, first 2 shown]
	v_mfma_f32_4x4x4_16b_bf16 v[18:21], v[54:55], v[42:43], v[18:21]
	v_mfma_f32_4x4x4_16b_bf16 v[14:17], v[54:55], v[38:39], v[14:17]
	v_mfma_f32_4x4x4_16b_bf16 v[10:13], v[54:55], v[50:51], v[10:13]
	v_mfma_f32_4x4x4_16b_bf16 v[6:9], v[54:55], v[46:47], v[6:9]
	v_mfma_f32_4x4x4_16b_bf16 v[34:37], v[60:61], v[44:45], v[34:37]
	v_mfma_f32_4x4x4_16b_bf16 v[30:33], v[60:61], v[40:41], v[30:33]
	v_mfma_f32_4x4x4_16b_bf16 v[26:29], v[60:61], v[52:53], v[26:29]
	v_mfma_f32_4x4x4_16b_bf16 v[22:25], v[60:61], v[48:49], v[22:25]
	v_mfma_f32_4x4x4_16b_bf16 v[18:21], v[56:57], v[44:45], v[18:21]
	v_mfma_f32_4x4x4_16b_bf16 v[14:17], v[56:57], v[40:41], v[14:17]
	v_mfma_f32_4x4x4_16b_bf16 v[10:13], v[56:57], v[52:53], v[10:13]
	v_mfma_f32_4x4x4_16b_bf16 v[6:9], v[56:57], v[48:49], v[6:9]
.LBB217_16:                             ;   in Loop: Header=BB217_17 Depth=2
	s_or_b64 exec, exec, s[8:9]
	s_addk_i32 s37, 0x400
	s_cmp_ge_u32 s37, s24
	s_cbranch_scc1 .LBB217_29
.LBB217_17:                             ;   Parent Loop BB217_12 Depth=1
                                        ; =>  This Loop Header: Depth=2
                                        ;       Child Loop BB217_22 Depth 3
	s_cmp_eq_u32 s37, 0
	s_cselect_b64 s[8:9], -1, 0
	s_add_i32 s10, s36, s44
	s_cmp_eq_u32 s37, s10
	s_cselect_b64 s[12:13], -1, 0
	s_or_b64 s[12:13], s[8:9], s[12:13]
	s_andn2_b64 vcc, exec, s[12:13]
	s_cbranch_vccz .LBB217_19
; %bb.18:                               ;   in Loop: Header=BB217_17 Depth=2
	s_and_saveexec_b64 s[8:9], s[6:7]
	s_cbranch_execz .LBB217_16
	s_branch .LBB217_26
.LBB217_19:                             ;   in Loop: Header=BB217_17 Depth=2
	s_and_b64 s[8:9], s[8:9], exec
	s_cselect_b32 s36, s36, s10
	s_and_b64 vcc, exec, s[4:5]
	s_barrier
	s_cbranch_vccnz .LBB217_25
; %bb.20:                               ;   in Loop: Header=BB217_17 Depth=2
	v_add_u32_e32 v38, s36, v100
	v_add_u32_e32 v39, s36, v99
	s_mov_b32 s38, 0
	s_mov_b64 s[10:11], 0
	v_mov_b32_e32 v40, v98
                                        ; implicit-def: $sgpr12_sgpr13
	s_branch .LBB217_22
.LBB217_21:                             ;   in Loop: Header=BB217_22 Depth=3
	s_or_b64 exec, exec, s[8:9]
	s_and_b64 s[8:9], exec, s[12:13]
	s_or_b64 s[10:11], s[8:9], s[10:11]
	s_andn2_b64 exec, exec, s[10:11]
	s_cbranch_execz .LBB217_24
.LBB217_22:                             ;   Parent Loop BB217_12 Depth=1
                                        ;     Parent Loop BB217_17 Depth=2
                                        ; =>    This Inner Loop Header: Depth=3
	v_add_u32_e32 v41, s38, v99
	v_add_u32_e32 v0, s38, v39
	v_cmp_gt_u32_e32 vcc, s26, v0
	v_cmp_gt_u32_e64 s[8:9], s44, v41
	s_and_b64 s[40:41], s[8:9], vcc
	s_or_b64 s[12:13], s[12:13], exec
	s_and_saveexec_b64 s[8:9], s[40:41]
	s_cbranch_execz .LBB217_21
; %bb.23:                               ;   in Loop: Header=BB217_22 Depth=3
	v_lshl_add_u64 v[42:43], v[0:1], 1, s[20:21]
	v_add_u32_e32 v0, s38, v38
	global_load_dwordx4 v[42:45], v[42:43], off
	v_lshl_add_u64 v[46:47], v[0:1], 1, s[20:21]
	global_load_dwordx4 v[46:49], v[46:47], off
	s_add_i32 s38, s38, s45
	s_cmp_ge_u32 s38, s44
	s_cselect_b64 s[40:41], -1, 0
	s_andn2_b64 s[12:13], s[12:13], exec
	s_and_b64 s[40:41], s[40:41], exec
	v_add_u32_e32 v0, s50, v40
	s_or_b64 s[12:13], s[12:13], s[40:41]
	s_waitcnt vmcnt(1)
	ds_write_b128 v40, v[42:45]
	v_add_u32_e32 v40, s51, v40
	s_waitcnt vmcnt(0)
	ds_write2_b64 v0, v[46:47], v[48:49] offset1:1
	s_branch .LBB217_21
.LBB217_24:                             ;   in Loop: Header=BB217_17 Depth=2
	s_or_b64 exec, exec, s[10:11]
.LBB217_25:                             ;   in Loop: Header=BB217_17 Depth=2
	s_waitcnt lgkmcnt(0)
	s_barrier
	s_and_saveexec_b64 s[8:9], s[6:7]
	s_cbranch_execz .LBB217_16
.LBB217_26:                             ;   in Loop: Header=BB217_17 Depth=2
	v_add_u32_e32 v87, s37, v96
	v_min_u32_e32 v0, s46, v87
	v_lshl_add_u64 v[38:39], v[0:1], 1, s[18:19]
	v_add_u32_e32 v101, 0x200, v87
	v_lshl_add_u64 v[40:41], v[38:39], 0, v[88:89]
	v_min_u32_e32 v0, s46, v101
	v_lshl_add_u64 v[42:43], v[38:39], 0, v[90:91]
	global_load_dwordx4 v[66:69], v[40:41], off nt
	global_load_dwordx4 v[62:65], v[42:43], off nt
	v_lshl_add_u64 v[40:41], v[38:39], 0, v[92:93]
	v_lshl_add_u64 v[38:39], v[38:39], 0, v[94:95]
	;; [unrolled: 1-line block ×3, first 2 shown]
	global_load_dwordx4 v[74:77], v[40:41], off nt
	global_load_dwordx4 v[70:73], v[38:39], off nt
	v_lshl_add_u64 v[38:39], v[46:47], 0, v[88:89]
	v_lshl_add_u64 v[40:41], v[46:47], 0, v[90:91]
	;; [unrolled: 1-line block ×4, first 2 shown]
	global_load_dwordx4 v[42:45], v[38:39], off nt
	s_nop 0
	global_load_dwordx4 v[38:41], v[40:41], off nt
	s_nop 0
	;; [unrolled: 2-line block ×3, first 2 shown]
	global_load_dwordx4 v[46:49], v[46:47], off nt
	v_cmp_gt_u32_e32 vcc, s24, v87
	v_mov_b32_e32 v56, 0
	v_mov_b32_e32 v57, 0
	;; [unrolled: 1-line block ×16, first 2 shown]
	s_and_saveexec_b64 s[10:11], vcc
	s_cbranch_execz .LBB217_15
; %bb.27:                               ;   in Loop: Header=BB217_17 Depth=2
	v_subrev_u32_e32 v0, s36, v87
	v_lshlrev_b32_e32 v87, 1, v0
	v_lshl_add_u32 v0, s44, 1, v87
	ds_read_b128 v[82:85], v87
	ds_read_b128 v[78:81], v0
	v_cmp_gt_u32_e32 vcc, s24, v101
	v_mov_b32_e32 v59, 0
	v_mov_b32_e32 v58, 0
	;; [unrolled: 1-line block ×8, first 2 shown]
	s_and_saveexec_b64 s[12:13], vcc
	s_cbranch_execz .LBB217_14
; %bb.28:                               ;   in Loop: Header=BB217_17 Depth=2
	ds_read_b128 v[58:61], v87 offset:1024
	ds_read_b128 v[54:57], v0 offset:1024
	s_branch .LBB217_14
.LBB217_29:                             ;   in Loop: Header=BB217_12 Depth=1
	v_cmp_le_u32_e32 vcc, s27, v86
	s_and_saveexec_b64 s[6:7], vcc
	s_xor_b64 s[6:7], exec, s[6:7]
; %bb.30:                               ;   in Loop: Header=BB217_12 Depth=1
	v_add_u32_e32 v86, s48, v86
                                        ; implicit-def: $vgpr9
                                        ; implicit-def: $vgpr13
                                        ; implicit-def: $vgpr17
                                        ; implicit-def: $vgpr21
                                        ; implicit-def: $vgpr25
                                        ; implicit-def: $vgpr29
                                        ; implicit-def: $vgpr33
                                        ; implicit-def: $vgpr37
; %bb.31:                               ;   in Loop: Header=BB217_12 Depth=1
	s_andn2_saveexec_b64 s[36:37], s[6:7]
	s_cbranch_execz .LBB217_11
; %bb.32:                               ;   in Loop: Header=BB217_12 Depth=1
	v_cvt_i32_f32_e32 v0, v35
	v_cvt_i32_f32_e32 v35, v36
	;; [unrolled: 1-line block ×4, first 2 shown]
	v_cvt_f32_i32_dpp v0, v0 row_shl:1 row_mask:0xf bank_mask:0xf bound_ctrl:1
	v_cvt_f32_i32_dpp v35, v35 row_shl:2 row_mask:0xf bank_mask:0xf bound_ctrl:1
	v_cvt_f32_i32_dpp v36, v36 row_shl:3 row_mask:0xf bank_mask:0xf bound_ctrl:1
	v_cvt_i32_f32_e32 v32, v32
	v_add_f32_e32 v0, v34, v0
	v_add_f32_e32 v0, v0, v35
	;; [unrolled: 1-line block ×3, first 2 shown]
	v_cvt_i32_f32_e32 v34, v0
	v_cvt_i32_f32_e32 v33, v33
	v_cvt_f32_i32_dpp v31, v31 row_shl:1 row_mask:0xf bank_mask:0xf bound_ctrl:1
	v_cvt_f32_i32_dpp v32, v32 row_shl:2 row_mask:0xf bank_mask:0xf bound_ctrl:1
	;; [unrolled: 1-line block ×4, first 2 shown]
	v_add_f32_e32 v30, v30, v31
	v_add_f32_e32 v30, v30, v32
	;; [unrolled: 1-line block ×3, first 2 shown]
	v_cvt_i32_f32_e32 v34, v0
	v_cvt_i32_f32_e32 v27, v27
	v_add_f32_e32 v30, v30, v33
	v_cvt_i32_f32_e32 v28, v28
	v_cvt_f32_i32_dpp v31, v34 row_shl:8 row_mask:0xf bank_mask:0xf bound_ctrl:1
	v_cvt_i32_f32_e32 v32, v30
	v_cvt_i32_f32_e32 v29, v29
	v_cvt_f32_i32_dpp v27, v27 row_shl:1 row_mask:0xf bank_mask:0xf bound_ctrl:1
	v_add_f32_e32 v0, v0, v31
	v_cvt_i32_f32_e32 v0, v0
	v_cvt_f32_i32_dpp v28, v28 row_shl:2 row_mask:0xf bank_mask:0xf bound_ctrl:1
	v_cvt_f32_i32_dpp v31, v32 row_shl:4 row_mask:0xf bank_mask:0xf bound_ctrl:1
	;; [unrolled: 1-line block ×3, first 2 shown]
	v_cvt_f32_i32_dpp v0, v0 row_shr:15 row_mask:0xf bank_mask:0xf bound_ctrl:1
	v_add_f32_e32 v26, v26, v27
	v_cvt_i32_f32_e32 v23, v23
	v_add_f32_e32 v27, v30, v31
	v_add_f32_e32 v26, v26, v28
	v_cvt_i32_f32_e32 v24, v24
	v_cvt_i32_f32_e32 v30, v27
	v_add_f32_e32 v28, v26, v29
	v_cvt_i32_f32_e32 v25, v25
	v_cvt_i32_f32_e32 v31, v0
	;; [unrolled: 1-line block ×3, first 2 shown]
	v_cvt_f32_i32_dpp v23, v23 row_shl:1 row_mask:0xf bank_mask:0xf bound_ctrl:1
	v_cvt_f32_i32_dpp v24, v24 row_shl:2 row_mask:0xf bank_mask:0xf bound_ctrl:1
	;; [unrolled: 1-line block ×4, first 2 shown]
	v_cvt_f32_i32_dpp v30, v31 row_bcast:15 row_mask:0xf bank_mask:0xf bound_ctrl:1
	v_cvt_f32_i32_dpp v31, v26 row_shl:4 row_mask:0xf bank_mask:0xf bound_ctrl:1
	v_add_f32_e32 v22, v22, v23
	v_add_f32_e32 v22, v22, v24
	;; [unrolled: 1-line block ×5, first 2 shown]
	v_cvt_i32_f32_e32 v0, v27
	v_add_f32_e32 v27, v28, v31
	v_cvt_i32_f32_e32 v23, v22
	v_cvt_i32_f32_e32 v28, v27
	v_cvt_f32_i32_dpp v0, v0 row_shr:15 row_mask:0xf bank_mask:0xf bound_ctrl:1
	v_cvt_i32_f32_e32 v19, v19
	v_cvt_f32_i32_dpp v23, v23 row_shl:4 row_mask:0xf bank_mask:0xf bound_ctrl:1
	v_cvt_f32_i32_dpp v28, v28 row_shl:8 row_mask:0xf bank_mask:0xf bound_ctrl:1
	v_cvt_i32_f32_e32 v20, v20
	v_cvt_i32_f32_e32 v21, v21
	v_add_f32_e32 v23, v22, v23
	v_add_f32_e32 v24, v27, v28
	v_cvt_i32_f32_e32 v22, v23
	v_cvt_i32_f32_e32 v24, v24
	;; [unrolled: 1-line block ×3, first 2 shown]
	v_cvt_f32_i32_dpp v19, v19 row_shl:1 row_mask:0xf bank_mask:0xf bound_ctrl:1
	v_cvt_f32_i32_dpp v29, v22 row_shl:8 row_mask:0xf bank_mask:0xf bound_ctrl:1
	v_cvt_f32_i32_dpp v24, v24 row_shr:15 row_mask:0xf bank_mask:0xf bound_ctrl:1
	v_cvt_i32_f32_e32 v15, v15
	v_cvt_f32_i32_dpp v20, v20 row_shl:2 row_mask:0xf bank_mask:0xf bound_ctrl:1
	v_cvt_i32_f32_e32 v16, v16
	v_add_f32_e32 v23, v23, v29
	v_cvt_f32_i32_dpp v21, v21 row_shl:3 row_mask:0xf bank_mask:0xf bound_ctrl:1
	v_cvt_i32_f32_e32 v17, v17
	v_cvt_i32_f32_e32 v11, v11
	v_cvt_f32_i32_dpp v27, v27 row_bcast:15 row_mask:0xf bank_mask:0xf bound_ctrl:1
	v_cvt_i32_f32_e32 v28, v24
	v_cvt_i32_f32_e32 v23, v23
	v_add_f32_e32 v18, v18, v19
	v_cvt_f32_i32_dpp v15, v15 row_shl:1 row_mask:0xf bank_mask:0xf bound_ctrl:1
	v_cvt_i32_f32_e32 v7, v7
	v_add_f32_e32 v18, v18, v20
	v_cvt_f32_i32_dpp v16, v16 row_shl:2 row_mask:0xf bank_mask:0xf bound_ctrl:1
	v_cvt_i32_f32_e32 v12, v12
	v_cvt_i32_f32_e32 v8, v8
	v_add_f32_e32 v20, v18, v21
	v_cvt_f32_i32_dpp v17, v17 row_shl:3 row_mask:0xf bank_mask:0xf bound_ctrl:1
	v_cvt_f32_i32_dpp v11, v11 row_shl:1 row_mask:0xf bank_mask:0xf bound_ctrl:1
	v_cvt_i32_f32_e32 v13, v13
	v_cvt_i32_f32_e32 v9, v9
	v_add_f32_e32 v22, v0, v27
	v_cvt_f32_i32_dpp v27, v28 row_bcast:15 row_mask:0xf bank_mask:0xf bound_ctrl:1
	v_cvt_f32_i32_dpp v28, v23 row_shr:15 row_mask:0xf bank_mask:0xf bound_ctrl:1
	v_cvt_i32_f32_e32 v18, v20
	v_add_f32_e32 v14, v14, v15
	v_cvt_f32_i32_dpp v7, v7 row_shl:1 row_mask:0xf bank_mask:0xf bound_ctrl:1
	v_add_f32_e32 v14, v14, v16
	v_cvt_f32_i32_dpp v12, v12 row_shl:2 row_mask:0xf bank_mask:0xf bound_ctrl:1
	v_cvt_f32_i32_dpp v8, v8 row_shl:2 row_mask:0xf bank_mask:0xf bound_ctrl:1
	v_add_f32_e32 v14, v14, v17
	v_add_f32_e32 v10, v10, v11
	v_cvt_f32_i32_dpp v11, v13 row_shl:3 row_mask:0xf bank_mask:0xf bound_ctrl:1
	v_cvt_f32_i32_dpp v9, v9 row_shl:3 row_mask:0xf bank_mask:0xf bound_ctrl:1
	v_cvt_i32_f32_e32 v0, v22
	v_cvt_i32_f32_e32 v29, v28
	v_cvt_f32_i32_dpp v21, v18 row_shl:4 row_mask:0xf bank_mask:0xf bound_ctrl:1
	v_cvt_i32_f32_e32 v16, v14
	v_add_f32_e32 v6, v6, v7
	v_add_f32_e32 v10, v10, v12
	;; [unrolled: 1-line block ×5, first 2 shown]
	v_mov_b32_dpp v23, v0 row_bcast:31 row_mask:0xf bank_mask:0xf bound_ctrl:1
	v_cvt_f32_i32_dpp v0, v29 row_bcast:15 row_mask:0xf bank_mask:0xf bound_ctrl:1
	v_add_f32_e32 v20, v20, v21
	v_cvt_f32_i32_dpp v16, v16 row_shl:4 row_mask:0xf bank_mask:0xf bound_ctrl:1
	v_cvt_i32_f32_e32 v11, v10
	v_cvt_i32_f32_e32 v7, v6
	;; [unrolled: 1-line block ×3, first 2 shown]
	v_add_f32_e32 v18, v28, v0
	v_add_f32_e32 v14, v14, v16
	v_cvt_f32_i32_dpp v9, v11 row_shl:4 row_mask:0xf bank_mask:0xf bound_ctrl:1
	v_cvt_f32_i32_dpp v7, v7 row_shl:4 row_mask:0xf bank_mask:0xf bound_ctrl:1
	v_add_f32_e32 v19, v24, v27
	v_cvt_i32_f32_e32 v0, v18
	v_cvt_f32_i32_dpp v27, v21 row_shl:8 row_mask:0xf bank_mask:0xf bound_ctrl:1
	v_cvt_i32_f32_e32 v16, v14
	v_add_f32_e32 v9, v10, v9
	v_add_f32_e32 v6, v6, v7
	v_mov_b32_dpp v15, v0 row_bcast:31 row_mask:0xf bank_mask:0xf bound_ctrl:1
	v_add_f32_e32 v0, v20, v27
	v_cvt_f32_i32_dpp v8, v16 row_shl:8 row_mask:0xf bank_mask:0xf bound_ctrl:1
	v_cvt_i32_f32_e32 v10, v9
	v_cvt_i32_f32_e32 v7, v6
	;; [unrolled: 1-line block ×3, first 2 shown]
	v_add_f32_e32 v8, v14, v8
	v_cvt_f32_i32_dpp v10, v10 row_shl:8 row_mask:0xf bank_mask:0xf bound_ctrl:1
	v_cvt_f32_i32_dpp v7, v7 row_shl:8 row_mask:0xf bank_mask:0xf bound_ctrl:1
	v_cvt_f32_i32_dpp v0, v0 row_shr:15 row_mask:0xf bank_mask:0xf bound_ctrl:1
	v_cvt_i32_f32_e32 v8, v8
	v_add_f32_e32 v9, v9, v10
	v_add_f32_e32 v6, v6, v7
	v_cvt_i32_f32_e32 v11, v0
	v_cvt_f32_i32_dpp v8, v8 row_shr:15 row_mask:0xf bank_mask:0xf bound_ctrl:1
	v_cvt_i32_f32_e32 v9, v9
	v_cvt_i32_f32_e32 v6, v6
	v_cvt_f32_i32_dpp v7, v11 row_bcast:15 row_mask:0xf bank_mask:0xf bound_ctrl:1
	v_cvt_i32_f32_e32 v10, v8
	v_cvt_f32_i32_dpp v9, v9 row_shr:15 row_mask:0xf bank_mask:0xf bound_ctrl:1
	v_cvt_f32_i32_dpp v6, v6 row_shr:15 row_mask:0xf bank_mask:0xf bound_ctrl:1
	v_add_f32_e32 v16, v0, v7
	v_cvt_f32_i32_dpp v7, v10 row_bcast:15 row_mask:0xf bank_mask:0xf bound_ctrl:1
	v_cvt_i32_f32_e32 v0, v9
	v_cvt_i32_f32_e32 v10, v6
	;; [unrolled: 1-line block ×3, first 2 shown]
	v_add_f32_e32 v12, v8, v7
	v_cvt_f32_i32_dpp v0, v0 row_bcast:15 row_mask:0xf bank_mask:0xf bound_ctrl:1
	v_cvt_f32_i32_dpp v7, v10 row_bcast:15 row_mask:0xf bank_mask:0xf bound_ctrl:1
	v_cvt_i32_f32_e32 v24, v19
	v_cvt_i32_f32_e32 v11, v16
	v_add_f32_e32 v10, v9, v0
	v_add_f32_e32 v8, v6, v7
	v_cvt_i32_f32_e32 v13, v12
	v_cvt_i32_f32_e32 v0, v10
	;; [unrolled: 1-line block ×3, first 2 shown]
	v_mov_b32_dpp v25, v25 row_bcast:31 row_mask:0xf bank_mask:0xf bound_ctrl:1
	v_mov_b32_dpp v21, v24 row_bcast:31 row_mask:0xf bank_mask:0xf bound_ctrl:1
	;; [unrolled: 1-line block ×6, first 2 shown]
	s_and_saveexec_b64 s[38:39], s[0:1]
	s_cbranch_execz .LBB217_83
; %bb.33:                               ;   in Loop: Header=BB217_12 Depth=1
	s_andn2_b64 vcc, exec, s[30:31]
	v_mov_b32_e32 v30, 0
	v_add_u32_e32 v0, 2, v86
	v_add_u32_e32 v6, 3, v86
	v_mov_b32_e32 v29, 0
	v_mov_b32_e32 v28, 0
	;; [unrolled: 1-line block ×7, first 2 shown]
	s_cbranch_vccnz .LBB217_35
; %bb.34:                               ;   in Loop: Header=BB217_12 Depth=1
	v_mul_hi_u32 v7, v86, v97
	v_mul_lo_u32 v7, v7, s16
	v_sub_u32_e32 v7, v86, v7
	v_subrev_u32_e32 v14, s16, v7
	v_cmp_le_u32_e32 vcc, s16, v7
	v_mov_b32_e32 v29, v1
	v_mov_b32_e32 v37, v1
	v_cndmask_b32_e32 v7, v7, v14, vcc
	v_subrev_u32_e32 v14, s16, v7
	v_cmp_le_u32_e32 vcc, s16, v7
	v_mov_b32_e32 v31, v1
	v_mov_b32_e32 v41, v1
	v_cndmask_b32_e32 v28, v7, v14, vcc
	v_add_u32_e32 v7, 1, v86
	v_mul_hi_u32 v14, v7, v97
	v_mul_lo_u32 v14, v14, s16
	v_sub_u32_e32 v7, v7, v14
	v_subrev_u32_e32 v14, s16, v7
	v_cmp_le_u32_e32 vcc, s16, v7
	v_lshl_add_u64 v[32:33], v[28:29], 1, s[22:23]
	v_add_u32_e32 v28, s17, v28
	v_cndmask_b32_e32 v7, v7, v14, vcc
	v_subrev_u32_e32 v14, s16, v7
	v_cmp_le_u32_e32 vcc, s16, v7
	v_lshl_add_u64 v[44:45], v[28:29], 1, s[22:23]
	s_nop 0
	v_cndmask_b32_e32 v30, v7, v14, vcc
	v_mul_hi_u32 v7, v0, v97
	v_mul_lo_u32 v7, v7, s16
	v_sub_u32_e32 v7, v0, v7
	v_subrev_u32_e32 v14, s16, v7
	v_cmp_le_u32_e32 vcc, s16, v7
	v_add_u32_e32 v28, s17, v30
	v_lshl_add_u64 v[46:47], v[28:29], 1, s[22:23]
	v_cndmask_b32_e32 v7, v7, v14, vcc
	v_subrev_u32_e32 v14, s16, v7
	v_cmp_le_u32_e32 vcc, s16, v7
	v_lshl_add_u64 v[34:35], v[30:31], 1, s[22:23]
	s_nop 0
	v_cndmask_b32_e32 v36, v7, v14, vcc
	v_mul_hi_u32 v7, v6, v97
	v_mul_lo_u32 v7, v7, s16
	v_sub_u32_e32 v7, v6, v7
	v_subrev_u32_e32 v14, s16, v7
	v_cmp_le_u32_e32 vcc, s16, v7
	v_add_u32_e32 v28, s17, v36
	v_lshl_add_u64 v[38:39], v[36:37], 1, s[22:23]
	v_cndmask_b32_e32 v7, v7, v14, vcc
	v_subrev_u32_e32 v14, s16, v7
	v_cmp_le_u32_e32 vcc, s16, v7
	v_lshl_add_u64 v[36:37], v[28:29], 1, s[22:23]
	s_nop 0
	v_cndmask_b32_e32 v40, v7, v14, vcc
	v_add_u32_e32 v28, s17, v40
	v_lshl_add_u64 v[42:43], v[40:41], 1, s[22:23]
	v_lshl_add_u64 v[40:41], v[28:29], 1, s[22:23]
	global_load_ushort v30, v[32:33], off
	global_load_ushort v29, v[34:35], off
	;; [unrolled: 1-line block ×8, first 2 shown]
.LBB217_35:                             ;   in Loop: Header=BB217_12 Depth=1
	v_cmp_ne_u32_e32 vcc, 0, v2
	s_and_saveexec_b64 s[8:9], vcc
	s_cbranch_execnz .LBB217_43
; %bb.36:                               ;   in Loop: Header=BB217_12 Depth=1
	s_or_b64 exec, exec, s[8:9]
	v_cmp_ne_u32_e64 s[6:7], 0, v3
	s_and_saveexec_b64 s[10:11], s[6:7]
	s_cbranch_execnz .LBB217_48
.LBB217_37:                             ;   in Loop: Header=BB217_12 Depth=1
	s_or_b64 exec, exec, s[10:11]
	v_cmp_ne_u32_e64 s[8:9], 0, v4
	s_and_saveexec_b64 s[12:13], s[8:9]
	s_cbranch_execnz .LBB217_53
.LBB217_38:                             ;   in Loop: Header=BB217_12 Depth=1
	s_or_b64 exec, exec, s[12:13]
	v_cmp_ne_u32_e64 s[10:11], 0, v5
	s_and_saveexec_b64 s[40:41], s[10:11]
	s_cbranch_execnz .LBB217_58
.LBB217_39:                             ;   in Loop: Header=BB217_12 Depth=1
	s_or_b64 exec, exec, s[40:41]
	v_add_u32_e32 v0, s27, v86
	s_and_saveexec_b64 s[12:13], vcc
	s_cbranch_execnz .LBB217_63
.LBB217_40:                             ;   in Loop: Header=BB217_12 Depth=1
	s_or_b64 exec, exec, s[12:13]
	s_and_saveexec_b64 s[12:13], s[6:7]
	s_cbranch_execnz .LBB217_68
.LBB217_41:                             ;   in Loop: Header=BB217_12 Depth=1
	s_or_b64 exec, exec, s[12:13]
	s_and_saveexec_b64 s[6:7], s[8:9]
	s_cbranch_execnz .LBB217_73
.LBB217_42:                             ;   in Loop: Header=BB217_12 Depth=1
	s_or_b64 exec, exec, s[6:7]
	s_and_b64 exec, exec, s[10:11]
	s_cbranch_execnz .LBB217_78
	s_branch .LBB217_83
.LBB217_43:                             ;   in Loop: Header=BB217_12 Depth=1
	v_cvt_f32_i32_e32 v25, v25
	v_add_f32_e32 v25, v26, v25
	s_waitcnt vmcnt(7)
	v_lshlrev_b32_e32 v26, 16, v30
	v_add_f32_e32 v26, v25, v26
	v_and_b32_e32 v25, 0x7f800000, v26
	v_cmp_ne_u32_e64 s[6:7], s52, v25
                                        ; implicit-def: $vgpr25
	s_and_saveexec_b64 s[10:11], s[6:7]
	s_xor_b64 s[6:7], exec, s[10:11]
; %bb.44:                               ;   in Loop: Header=BB217_12 Depth=1
	v_bfe_u32 v25, v26, 16, 1
	v_add3_u32 v25, v26, v25, s53
                                        ; implicit-def: $vgpr26
; %bb.45:                               ;   in Loop: Header=BB217_12 Depth=1
	s_andn2_saveexec_b64 s[10:11], s[6:7]
; %bb.46:                               ;   in Loop: Header=BB217_12 Depth=1
	v_or_b32_e32 v25, 0x10000, v26
	v_cmp_eq_u32_sdwa s[6:7], v26, v1 src0_sel:WORD_0 src1_sel:DWORD
	s_nop 1
	v_cndmask_b32_e64 v25, v25, v26, s[6:7]
; %bb.47:                               ;   in Loop: Header=BB217_12 Depth=1
	s_or_b64 exec, exec, s[10:11]
	v_mov_b32_e32 v87, v1
	v_lshl_add_u64 v[30:31], v[86:87], 1, s[14:15]
	global_store_short_d16_hi v[30:31], v25, off
	s_or_b64 exec, exec, s[8:9]
	v_cmp_ne_u32_e64 s[6:7], 0, v3
	s_and_saveexec_b64 s[10:11], s[6:7]
	s_cbranch_execz .LBB217_37
.LBB217_48:                             ;   in Loop: Header=BB217_12 Depth=1
	v_cvt_f32_i32_e32 v23, v23
	v_add_f32_e32 v22, v22, v23
	s_waitcnt vmcnt(6)
	v_lshlrev_b32_e32 v23, 16, v29
	v_add_f32_e32 v23, v22, v23
	v_and_b32_e32 v22, 0x7f800000, v23
	v_cmp_ne_u32_e64 s[8:9], s52, v22
                                        ; implicit-def: $vgpr22
	s_and_saveexec_b64 s[12:13], s[8:9]
	s_xor_b64 s[8:9], exec, s[12:13]
; %bb.49:                               ;   in Loop: Header=BB217_12 Depth=1
	v_bfe_u32 v22, v23, 16, 1
	v_add3_u32 v22, v23, v22, s53
                                        ; implicit-def: $vgpr23
; %bb.50:                               ;   in Loop: Header=BB217_12 Depth=1
	s_andn2_saveexec_b64 s[12:13], s[8:9]
; %bb.51:                               ;   in Loop: Header=BB217_12 Depth=1
	v_or_b32_e32 v22, 0x10000, v23
	v_cmp_eq_u32_sdwa s[8:9], v23, v1 src0_sel:WORD_0 src1_sel:DWORD
	s_nop 1
	v_cndmask_b32_e64 v22, v22, v23, s[8:9]
; %bb.52:                               ;   in Loop: Header=BB217_12 Depth=1
	s_or_b64 exec, exec, s[12:13]
	v_mov_b32_e32 v87, v1
	v_lshl_add_u64 v[30:31], v[86:87], 1, s[34:35]
	global_store_short_d16_hi v[30:31], v22, off
	s_or_b64 exec, exec, s[10:11]
	v_cmp_ne_u32_e64 s[8:9], 0, v4
	s_and_saveexec_b64 s[12:13], s[8:9]
	s_cbranch_execz .LBB217_38
.LBB217_53:                             ;   in Loop: Header=BB217_12 Depth=1
	v_cvt_f32_i32_e32 v21, v21
	v_add_f32_e32 v19, v19, v21
	s_waitcnt vmcnt(5)
	v_lshlrev_b32_e32 v21, 16, v28
	v_add_f32_e32 v21, v19, v21
	v_and_b32_e32 v19, 0x7f800000, v21
	v_cmp_ne_u32_e64 s[10:11], s52, v19
                                        ; implicit-def: $vgpr19
	s_and_saveexec_b64 s[40:41], s[10:11]
	s_xor_b64 s[10:11], exec, s[40:41]
; %bb.54:                               ;   in Loop: Header=BB217_12 Depth=1
	v_bfe_u32 v19, v21, 16, 1
	v_add3_u32 v19, v21, v19, s53
                                        ; implicit-def: $vgpr21
; %bb.55:                               ;   in Loop: Header=BB217_12 Depth=1
	s_andn2_saveexec_b64 s[40:41], s[10:11]
; %bb.56:                               ;   in Loop: Header=BB217_12 Depth=1
	v_or_b32_e32 v19, 0x10000, v21
	v_cmp_eq_u32_sdwa s[10:11], v21, v1 src0_sel:WORD_0 src1_sel:DWORD
	s_nop 1
	v_cndmask_b32_e64 v19, v19, v21, s[10:11]
; %bb.57:                               ;   in Loop: Header=BB217_12 Depth=1
	s_or_b64 exec, exec, s[40:41]
	v_lshl_add_u64 v[22:23], v[0:1], 1, s[14:15]
	global_store_short_d16_hi v[22:23], v19, off
	s_or_b64 exec, exec, s[12:13]
	v_cmp_ne_u32_e64 s[10:11], 0, v5
	s_and_saveexec_b64 s[40:41], s[10:11]
	s_cbranch_execz .LBB217_39
.LBB217_58:                             ;   in Loop: Header=BB217_12 Depth=1
	v_cvt_f32_i32_e32 v0, v15
	s_waitcnt vmcnt(4)
	v_lshlrev_b32_e32 v7, 16, v7
	v_add_f32_e32 v0, v18, v0
	v_add_f32_e32 v7, v0, v7
	v_and_b32_e32 v0, 0x7f800000, v7
	v_cmp_ne_u32_e64 s[12:13], s52, v0
                                        ; implicit-def: $vgpr0
	s_and_saveexec_b64 s[42:43], s[12:13]
	s_xor_b64 s[12:13], exec, s[42:43]
; %bb.59:                               ;   in Loop: Header=BB217_12 Depth=1
	v_bfe_u32 v0, v7, 16, 1
	v_add3_u32 v0, v7, v0, s53
                                        ; implicit-def: $vgpr7
; %bb.60:                               ;   in Loop: Header=BB217_12 Depth=1
	s_andn2_saveexec_b64 s[42:43], s[12:13]
; %bb.61:                               ;   in Loop: Header=BB217_12 Depth=1
	v_or_b32_e32 v0, 0x10000, v7
	v_cmp_eq_u32_sdwa s[12:13], v7, v1 src0_sel:WORD_0 src1_sel:DWORD
	s_nop 1
	v_cndmask_b32_e64 v0, v0, v7, s[12:13]
; %bb.62:                               ;   in Loop: Header=BB217_12 Depth=1
	s_or_b64 exec, exec, s[42:43]
	v_mov_b32_e32 v7, v1
	v_lshl_add_u64 v[6:7], v[6:7], 1, s[14:15]
	global_store_short_d16_hi v[6:7], v0, off
	s_or_b64 exec, exec, s[40:41]
	v_add_u32_e32 v0, s27, v86
	s_and_saveexec_b64 s[12:13], vcc
	s_cbranch_execz .LBB217_40
.LBB217_63:                             ;   in Loop: Header=BB217_12 Depth=1
	v_cvt_f32_i32_e32 v6, v17
	s_waitcnt vmcnt(3)
	v_lshlrev_b32_e32 v7, 16, v27
	v_add_f32_e32 v6, v16, v6
	v_add_f32_e32 v7, v6, v7
	v_and_b32_e32 v6, 0x7f800000, v7
	v_cmp_ne_u32_e32 vcc, s52, v6
                                        ; implicit-def: $vgpr6
	s_and_saveexec_b64 s[40:41], vcc
	s_xor_b64 s[40:41], exec, s[40:41]
; %bb.64:                               ;   in Loop: Header=BB217_12 Depth=1
	v_bfe_u32 v6, v7, 16, 1
	v_add3_u32 v6, v7, v6, s53
                                        ; implicit-def: $vgpr7
; %bb.65:                               ;   in Loop: Header=BB217_12 Depth=1
	s_andn2_saveexec_b64 s[40:41], s[40:41]
; %bb.66:                               ;   in Loop: Header=BB217_12 Depth=1
	v_or_b32_e32 v6, 0x10000, v7
	v_cmp_eq_u32_sdwa vcc, v7, v1 src0_sel:WORD_0 src1_sel:DWORD
	s_nop 1
	v_cndmask_b32_e32 v6, v6, v7, vcc
; %bb.67:                               ;   in Loop: Header=BB217_12 Depth=1
	s_or_b64 exec, exec, s[40:41]
	v_lshl_add_u64 v[16:17], v[0:1], 1, s[14:15]
	global_store_short_d16_hi v[16:17], v6, off
	s_or_b64 exec, exec, s[12:13]
	s_and_saveexec_b64 s[12:13], s[6:7]
	s_cbranch_execz .LBB217_41
.LBB217_68:                             ;   in Loop: Header=BB217_12 Depth=1
	v_cvt_f32_i32_e32 v6, v13
	s_waitcnt vmcnt(2)
	v_lshlrev_b32_e32 v7, 16, v24
	v_add_f32_e32 v6, v12, v6
	v_add_f32_e32 v7, v6, v7
	v_and_b32_e32 v6, 0x7f800000, v7
	v_cmp_ne_u32_e32 vcc, s52, v6
                                        ; implicit-def: $vgpr6
	s_and_saveexec_b64 s[6:7], vcc
	s_xor_b64 s[6:7], exec, s[6:7]
; %bb.69:                               ;   in Loop: Header=BB217_12 Depth=1
	v_bfe_u32 v6, v7, 16, 1
	v_add3_u32 v6, v7, v6, s53
                                        ; implicit-def: $vgpr7
; %bb.70:                               ;   in Loop: Header=BB217_12 Depth=1
	s_andn2_saveexec_b64 s[6:7], s[6:7]
; %bb.71:                               ;   in Loop: Header=BB217_12 Depth=1
	v_or_b32_e32 v6, 0x10000, v7
	v_cmp_eq_u32_sdwa vcc, v7, v1 src0_sel:WORD_0 src1_sel:DWORD
	s_nop 1
	v_cndmask_b32_e32 v6, v6, v7, vcc
; %bb.72:                               ;   in Loop: Header=BB217_12 Depth=1
	s_or_b64 exec, exec, s[6:7]
	v_add_u32_e32 v12, 1, v0
	v_mov_b32_e32 v13, v1
	v_lshl_add_u64 v[12:13], v[12:13], 1, s[14:15]
	global_store_short_d16_hi v[12:13], v6, off
	s_or_b64 exec, exec, s[12:13]
	s_and_saveexec_b64 s[6:7], s[8:9]
	s_cbranch_execz .LBB217_42
.LBB217_73:                             ;   in Loop: Header=BB217_12 Depth=1
	v_cvt_f32_i32_e32 v6, v11
	s_waitcnt vmcnt(1)
	v_lshlrev_b32_e32 v7, 16, v20
	v_add_f32_e32 v6, v10, v6
	v_add_f32_e32 v7, v6, v7
	v_and_b32_e32 v6, 0x7f800000, v7
	v_cmp_ne_u32_e32 vcc, s52, v6
                                        ; implicit-def: $vgpr6
	s_and_saveexec_b64 s[8:9], vcc
	s_xor_b64 s[8:9], exec, s[8:9]
; %bb.74:                               ;   in Loop: Header=BB217_12 Depth=1
	v_bfe_u32 v6, v7, 16, 1
	v_add3_u32 v6, v7, v6, s53
                                        ; implicit-def: $vgpr7
; %bb.75:                               ;   in Loop: Header=BB217_12 Depth=1
	s_andn2_saveexec_b64 s[8:9], s[8:9]
; %bb.76:                               ;   in Loop: Header=BB217_12 Depth=1
	v_or_b32_e32 v6, 0x10000, v7
	v_cmp_eq_u32_sdwa vcc, v7, v1 src0_sel:WORD_0 src1_sel:DWORD
	s_nop 1
	v_cndmask_b32_e32 v6, v6, v7, vcc
; %bb.77:                               ;   in Loop: Header=BB217_12 Depth=1
	s_or_b64 exec, exec, s[8:9]
	v_add_u32_e32 v10, 2, v0
	v_mov_b32_e32 v11, v1
	v_lshl_add_u64 v[10:11], v[10:11], 1, s[14:15]
	global_store_short_d16_hi v[10:11], v6, off
	s_or_b64 exec, exec, s[6:7]
	s_and_b64 exec, exec, s[10:11]
	s_cbranch_execz .LBB217_83
.LBB217_78:                             ;   in Loop: Header=BB217_12 Depth=1
	v_cvt_f32_i32_e32 v6, v9
	s_waitcnt vmcnt(0)
	v_lshlrev_b32_e32 v7, 16, v14
	v_add_f32_e32 v6, v8, v6
	v_add_f32_e32 v7, v6, v7
	v_and_b32_e32 v6, 0x7f800000, v7
	v_cmp_ne_u32_e32 vcc, s52, v6
                                        ; implicit-def: $vgpr6
	s_and_saveexec_b64 s[6:7], vcc
	s_xor_b64 s[6:7], exec, s[6:7]
; %bb.79:                               ;   in Loop: Header=BB217_12 Depth=1
	v_bfe_u32 v6, v7, 16, 1
	v_add3_u32 v6, v7, v6, s53
                                        ; implicit-def: $vgpr7
; %bb.80:                               ;   in Loop: Header=BB217_12 Depth=1
	s_andn2_saveexec_b64 s[6:7], s[6:7]
; %bb.81:                               ;   in Loop: Header=BB217_12 Depth=1
	v_or_b32_e32 v6, 0x10000, v7
	v_cmp_eq_u32_sdwa vcc, v7, v1 src0_sel:WORD_0 src1_sel:DWORD
	s_nop 1
	v_cndmask_b32_e32 v6, v6, v7, vcc
; %bb.82:                               ;   in Loop: Header=BB217_12 Depth=1
	s_or_b64 exec, exec, s[6:7]
	v_add_u32_e32 v0, 3, v0
	v_lshl_add_u64 v[8:9], v[0:1], 1, s[14:15]
	global_store_short_d16_hi v[8:9], v6, off
.LBB217_83:                             ;   in Loop: Header=BB217_12 Depth=1
	s_or_b64 exec, exec, s[38:39]
	v_add_u32_e32 v86, s48, v86
	v_add_u32_e32 v0, 4, v86
	v_cmp_gt_u32_e32 vcc, s27, v86
	v_cmp_le_u32_e64 s[6:7], s27, v0
	s_and_b64 s[6:7], vcc, s[6:7]
	s_and_saveexec_b64 s[8:9], s[6:7]
	s_cbranch_execz .LBB217_10
; %bb.84:                               ;   in Loop: Header=BB217_12 Depth=1
	v_cmp_ne_u32_e32 vcc, s49, v86
	s_and_saveexec_b64 s[10:11], vcc
	s_cbranch_execz .LBB217_9
; %bb.85:                               ;   in Loop: Header=BB217_12 Depth=1
	v_subrev_u32_e32 v0, s49, v86
	v_cmp_lt_u32_e32 vcc, 1, v0
	s_mov_b64 s[12:13], 0
	s_mov_b64 s[38:39], 0
	v_cndmask_b32_e32 v0, 1, v0, vcc
.LBB217_86:                             ;   Parent Loop BB217_12 Depth=1
                                        ; =>  This Inner Loop Header: Depth=2
	s_cmp_lg_u32 s38, 3
	s_cselect_b64 vcc, -1, 0
	s_cmp_lg_u32 s38, 2
	v_cndmask_b32_e32 v5, 0, v5, vcc
	s_cselect_b64 vcc, -1, 0
	s_cmp_lg_u32 s38, 1
	v_cndmask_b32_e32 v4, 0, v4, vcc
	;; [unrolled: 3-line block ×3, first 2 shown]
	s_cselect_b64 vcc, -1, 0
	s_add_u32 s38, s38, 1
	s_addc_u32 s39, s39, 0
	v_cmp_eq_u32_e64 s[6:7], s38, v0
	s_or_b64 s[12:13], s[6:7], s[12:13]
	v_cndmask_b32_e32 v2, 0, v2, vcc
	s_andn2_b64 exec, exec, s[12:13]
	s_cbranch_execnz .LBB217_86
; %bb.87:                               ;   in Loop: Header=BB217_12 Depth=1
	s_or_b64 exec, exec, s[12:13]
	s_branch .LBB217_9
.LBB217_88:
	s_endpgm
	.section	.rodata,"a",@progbits
	.p2align	6, 0x0
	.amdhsa_kernel _Z16wvSplitK_hf_big_I14__hip_bfloat16Li64ELi4ELi16ELi8ELi2ELi2EEviiiiiiPKT_S3_S3_PS1_ii
		.amdhsa_group_segment_fixed_size 65536
		.amdhsa_private_segment_fixed_size 0
		.amdhsa_kernarg_size 64
		.amdhsa_user_sgpr_count 2
		.amdhsa_user_sgpr_dispatch_ptr 0
		.amdhsa_user_sgpr_queue_ptr 0
		.amdhsa_user_sgpr_kernarg_segment_ptr 1
		.amdhsa_user_sgpr_dispatch_id 0
		.amdhsa_user_sgpr_kernarg_preload_length 0
		.amdhsa_user_sgpr_kernarg_preload_offset 0
		.amdhsa_user_sgpr_private_segment_size 0
		.amdhsa_uses_dynamic_stack 0
		.amdhsa_enable_private_segment 0
		.amdhsa_system_sgpr_workgroup_id_x 1
		.amdhsa_system_sgpr_workgroup_id_y 0
		.amdhsa_system_sgpr_workgroup_id_z 0
		.amdhsa_system_sgpr_workgroup_info 0
		.amdhsa_system_vgpr_workitem_id 1
		.amdhsa_next_free_vgpr 102
		.amdhsa_next_free_sgpr 54
		.amdhsa_accum_offset 104
		.amdhsa_reserve_vcc 1
		.amdhsa_float_round_mode_32 0
		.amdhsa_float_round_mode_16_64 0
		.amdhsa_float_denorm_mode_32 3
		.amdhsa_float_denorm_mode_16_64 3
		.amdhsa_dx10_clamp 1
		.amdhsa_ieee_mode 1
		.amdhsa_fp16_overflow 0
		.amdhsa_tg_split 0
		.amdhsa_exception_fp_ieee_invalid_op 0
		.amdhsa_exception_fp_denorm_src 0
		.amdhsa_exception_fp_ieee_div_zero 0
		.amdhsa_exception_fp_ieee_overflow 0
		.amdhsa_exception_fp_ieee_underflow 0
		.amdhsa_exception_fp_ieee_inexact 0
		.amdhsa_exception_int_div_zero 0
	.end_amdhsa_kernel
	.section	.text._Z16wvSplitK_hf_big_I14__hip_bfloat16Li64ELi4ELi16ELi8ELi2ELi2EEviiiiiiPKT_S3_S3_PS1_ii,"axG",@progbits,_Z16wvSplitK_hf_big_I14__hip_bfloat16Li64ELi4ELi16ELi8ELi2ELi2EEviiiiiiPKT_S3_S3_PS1_ii,comdat
.Lfunc_end217:
	.size	_Z16wvSplitK_hf_big_I14__hip_bfloat16Li64ELi4ELi16ELi8ELi2ELi2EEviiiiiiPKT_S3_S3_PS1_ii, .Lfunc_end217-_Z16wvSplitK_hf_big_I14__hip_bfloat16Li64ELi4ELi16ELi8ELi2ELi2EEviiiiiiPKT_S3_S3_PS1_ii
                                        ; -- End function
	.section	.AMDGPU.csdata,"",@progbits
; Kernel info:
; codeLenInByte = 4684
; NumSgprs: 60
; NumVgprs: 102
; NumAgprs: 0
; TotalNumVgprs: 102
; ScratchSize: 0
; MemoryBound: 0
; FloatMode: 240
; IeeeMode: 1
; LDSByteSize: 65536 bytes/workgroup (compile time only)
; SGPRBlocks: 7
; VGPRBlocks: 12
; NumSGPRsForWavesPerEU: 60
; NumVGPRsForWavesPerEU: 102
; AccumOffset: 104
; Occupancy: 4
; WaveLimiterHint : 0
; COMPUTE_PGM_RSRC2:SCRATCH_EN: 0
; COMPUTE_PGM_RSRC2:USER_SGPR: 2
; COMPUTE_PGM_RSRC2:TRAP_HANDLER: 0
; COMPUTE_PGM_RSRC2:TGID_X_EN: 1
; COMPUTE_PGM_RSRC2:TGID_Y_EN: 0
; COMPUTE_PGM_RSRC2:TGID_Z_EN: 0
; COMPUTE_PGM_RSRC2:TIDIG_COMP_CNT: 1
; COMPUTE_PGM_RSRC3_GFX90A:ACCUM_OFFSET: 25
; COMPUTE_PGM_RSRC3_GFX90A:TG_SPLIT: 0
	.section	.text._Z16wvSplitK_hf_sml_I14__hip_bfloat16Li32ELi1ELi16ELi8ELi4ELi3EEviiiiiiPKT_S3_S3_PS1_ii,"axG",@progbits,_Z16wvSplitK_hf_sml_I14__hip_bfloat16Li32ELi1ELi16ELi8ELi4ELi3EEviiiiiiPKT_S3_S3_PS1_ii,comdat
	.protected	_Z16wvSplitK_hf_sml_I14__hip_bfloat16Li32ELi1ELi16ELi8ELi4ELi3EEviiiiiiPKT_S3_S3_PS1_ii ; -- Begin function _Z16wvSplitK_hf_sml_I14__hip_bfloat16Li32ELi1ELi16ELi8ELi4ELi3EEviiiiiiPKT_S3_S3_PS1_ii
	.globl	_Z16wvSplitK_hf_sml_I14__hip_bfloat16Li32ELi1ELi16ELi8ELi4ELi3EEviiiiiiPKT_S3_S3_PS1_ii
	.p2align	8
	.type	_Z16wvSplitK_hf_sml_I14__hip_bfloat16Li32ELi1ELi16ELi8ELi4ELi3EEviiiiiiPKT_S3_S3_PS1_ii,@function
_Z16wvSplitK_hf_sml_I14__hip_bfloat16Li32ELi1ELi16ELi8ELi4ELi3EEviiiiiiPKT_S3_S3_PS1_ii: ; @_Z16wvSplitK_hf_sml_I14__hip_bfloat16Li32ELi1ELi16ELi8ELi4ELi3EEviiiiiiPKT_S3_S3_PS1_ii
; %bb.0:
	s_load_dwordx4 s[4:7], s[0:1], 0x0
	v_and_b32_e32 v4, 0x3ff, v0
	v_bfe_u32 v5, v0, 10, 10
	v_lshlrev_b32_e32 v82, 3, v4
	v_lshl_add_u32 v6, v5, 8, v82
	s_waitcnt lgkmcnt(0)
	s_mul_i32 s3, s6, 3
	s_min_u32 s3, s3, 0x8000
	v_cmp_gt_u32_e32 vcc, s3, v6
	s_and_saveexec_b64 s[8:9], vcc
	s_cbranch_execz .LBB218_9
; %bb.1:
	s_load_dwordx2 s[10:11], s[0:1], 0x20
	v_lshlrev_b32_e32 v0, 1, v6
	v_add_u32_e32 v1, 0x1000, v6
	v_cmp_gt_u32_e32 vcc, s3, v1
	s_waitcnt lgkmcnt(0)
	global_load_dwordx4 v[8:11], v0, s[10:11]
	s_waitcnt vmcnt(0)
	ds_write_b128 v0, v[8:11]
	s_and_saveexec_b64 s[12:13], vcc
	s_xor_b64 s[12:13], exec, s[12:13]
	s_cbranch_execz .LBB218_9
; %bb.2:
	v_mov_b32_e32 v1, 0
	v_lshl_add_u64 v[2:3], s[10:11], 0, v[0:1]
	v_add_co_u32_e32 v8, vcc, 0x2000, v2
	v_add_u32_e32 v1, 0x2000, v6
	s_nop 0
	v_addc_co_u32_e32 v9, vcc, 0, v3, vcc
	global_load_dwordx4 v[8:11], v[8:9], off
	v_cmp_gt_u32_e32 vcc, s3, v1
	s_waitcnt vmcnt(0)
	ds_write_b128 v0, v[8:11] offset:8192
	s_and_saveexec_b64 s[10:11], vcc
	s_xor_b64 s[10:11], exec, s[10:11]
	s_cbranch_execz .LBB218_9
; %bb.3:
	v_add_co_u32_e32 v8, vcc, 0x4000, v2
	v_add_u32_e32 v1, 0x3000, v6
	s_nop 0
	v_addc_co_u32_e32 v9, vcc, 0, v3, vcc
	global_load_dwordx4 v[8:11], v[8:9], off
	v_cmp_gt_u32_e32 vcc, s3, v1
	s_waitcnt vmcnt(0)
	ds_write_b128 v0, v[8:11] offset:16384
	s_and_saveexec_b64 s[10:11], vcc
	s_xor_b64 s[10:11], exec, s[10:11]
	s_cbranch_execz .LBB218_9
; %bb.4:
	;; [unrolled: 12-line block ×6, first 2 shown]
	v_add_co_u32_e32 v2, vcc, 0xe000, v2
	s_nop 1
	v_addc_co_u32_e32 v3, vcc, 0, v3, vcc
	global_load_dwordx4 v[6:9], v[2:3], off
	s_waitcnt vmcnt(0)
	ds_write_b128 v0, v[6:9] offset:57344
.LBB218_9:
	s_or_b64 exec, exec, s[8:9]
	s_load_dwordx2 s[20:21], s[0:1], 0x38
	s_waitcnt lgkmcnt(0)
	s_barrier
	v_cmp_gt_u32_e32 vcc, s20, v5
	s_and_saveexec_b64 s[8:9], vcc
	s_cbranch_execz .LBB218_40
; %bb.10:
	s_load_dwordx2 s[12:13], s[0:1], 0x10
	s_mul_i32 s2, s2, s20
	v_add_u32_e32 v60, s2, v5
	v_cmp_gt_u32_e32 vcc, s7, v60
	s_and_b64 exec, exec, vcc
	s_cbranch_execz .LBB218_40
; %bb.11:
	s_load_dwordx4 s[8:11], s[0:1], 0x28
	s_load_dwordx2 s[14:15], s[0:1], 0x18
	s_cmp_lg_u32 s4, 0
	s_cselect_b64 s[2:3], -1, 0
	s_add_i32 s28, s4, -8
	s_add_i32 s29, s7, -1
	s_waitcnt lgkmcnt(0)
	s_cmp_lg_u64 s[8:9], 0
	s_cselect_b64 s[18:19], -1, 0
	s_abs_i32 s22, s13
	v_cvt_f32_u32_e32 v0, s12
	v_cvt_f32_u32_e32 v1, s22
	s_mul_i32 s13, s21, s20
	s_sub_i32 s20, 0, s12
	v_rcp_iflag_f32_e32 v0, v0
	v_rcp_iflag_f32_e32 v1, v1
	v_cmp_eq_u32_e64 s[0:1], 31, v4
	s_mov_b64 s[16:17], 0
	v_mul_f32_e32 v0, 0x4f7ffffe, v0
	v_mul_f32_e32 v1, 0x4f7ffffe, v1
	v_cvt_u32_f32_e32 v0, v0
	v_cvt_u32_f32_e32 v1, v1
	v_mov_b32_e32 v63, 0
	v_lshlrev_b32_e32 v84, 4, v4
	v_mul_lo_u32 v2, s20, v0
	s_sub_i32 s20, 0, s22
	v_readfirstlane_b32 s21, v1
	s_mul_i32 s20, s20, s21
	s_mul_hi_u32 s20, s21, s20
	s_add_i32 s21, s21, s20
	s_sub_i32 s20, 1, s22
	s_cmp_lt_u32 s22, 2
	s_cselect_b32 s20, s20, 1
	s_sub_i32 s23, s20, s22
	s_cmp_ge_u32 s20, s22
	s_cselect_b32 s30, s23, s20
	s_lshr_b32 s20, s21, 31
	s_mul_i32 s20, s20, s22
	s_sub_i32 s20, 2, s20
	s_sub_i32 s21, s20, s22
	s_cmp_ge_u32 s20, s22
	s_cselect_b32 s20, s21, s20
	s_sub_i32 s21, s20, s22
	v_mul_hi_u32 v2, v0, v2
	s_cmp_ge_u32 s20, s22
	v_add_u32_e32 v83, v0, v2
	s_cselect_b32 s31, s21, s20
	v_cndmask_b32_e64 v0, 0, 1, s[2:3]
	s_mul_i32 s30, s30, s12
	s_mul_i32 s31, s31, s12
	s_lshl_b32 s33, s6, 2
	s_lshl_b32 s6, s6, 1
	v_cmp_ne_u32_e64 s[2:3], 1, v0
	s_mov_b32 s34, 0x7f800000
	s_movk_i32 s35, 0x7fff
	s_branch .LBB218_14
.LBB218_12:                             ;   in Loop: Header=BB218_14 Depth=1
	s_or_b64 exec, exec, s[22:23]
	v_add_u32_e32 v62, s7, v62
	v_lshl_add_u64 v[2:3], v[62:63], 1, s[10:11]
	global_store_short_d16_hi v[2:3], v0, off
.LBB218_13:                             ;   in Loop: Header=BB218_14 Depth=1
	s_or_b64 exec, exec, s[20:21]
	v_add_u32_e32 v60, s13, v60
	v_cmp_le_u32_e32 vcc, s7, v60
	s_or_b64 s[16:17], vcc, s[16:17]
	s_andn2_b64 exec, exec, s[16:17]
	s_cbranch_execz .LBB218_40
.LBB218_14:                             ; =>This Loop Header: Depth=1
                                        ;     Child Loop BB218_20 Depth 2
	s_and_b64 vcc, exec, s[2:3]
	v_mov_b32_e32 v3, v63
	v_mov_b32_e32 v2, v63
	;; [unrolled: 1-line block ×12, first 2 shown]
	s_cbranch_vccnz .LBB218_25
; %bb.15:                               ;   in Loop: Header=BB218_14 Depth=1
	v_min_u32_e32 v0, s29, v60
	v_mul_lo_u32 v62, v0, s5
	v_mov_b32_e32 v8, 0
	v_lshl_add_u64 v[64:65], v[62:63], 1, s[14:15]
	s_mov_b32 s36, 0
	v_mov_b32_e32 v61, v84
	v_mov_b32_e32 v9, v8
	v_mov_b32_e32 v10, v8
	v_mov_b32_e32 v11, v8
	v_mov_b32_e32 v4, v8
	v_mov_b32_e32 v5, v8
	v_mov_b32_e32 v6, v8
	v_mov_b32_e32 v7, v8
	v_mov_b32_e32 v0, v8
	v_mov_b32_e32 v1, v8
	v_mov_b32_e32 v2, v8
	v_mov_b32_e32 v3, v8
	s_branch .LBB218_20
.LBB218_16:                             ;   in Loop: Header=BB218_20 Depth=2
	s_or_b64 exec, exec, s[26:27]
.LBB218_17:                             ;   in Loop: Header=BB218_20 Depth=2
	s_or_b64 exec, exec, s[24:25]
.LBB218_18:                             ;   in Loop: Header=BB218_20 Depth=2
	s_or_b64 exec, exec, s[22:23]
.LBB218_19:                             ;   in Loop: Header=BB218_20 Depth=2
	s_or_b64 exec, exec, s[20:21]
	s_waitcnt vmcnt(3) lgkmcnt(1)
	v_mfma_f32_4x4x4_16b_bf16 v[8:11], v[48:49], v[24:25], v[8:11]
	s_addk_i32 s36, 0x400
	v_mfma_f32_4x4x4_16b_bf16 v[4:7], v[28:29], v[24:25], v[4:7]
	v_add_u32_e32 v61, 0x800, v61
	v_mfma_f32_4x4x4_16b_bf16 v[0:3], v[68:69], v[24:25], v[0:3]
	s_cmp_ge_u32 s36, s4
	v_mfma_f32_4x4x4_16b_bf16 v[8:11], v[50:51], v[26:27], v[8:11]
	v_mfma_f32_4x4x4_16b_bf16 v[4:7], v[30:31], v[26:27], v[4:7]
	s_waitcnt lgkmcnt(0)
	v_mfma_f32_4x4x4_16b_bf16 v[0:3], v[66:67], v[26:27], v[0:3]
	s_waitcnt vmcnt(2)
	v_mfma_f32_4x4x4_16b_bf16 v[8:11], v[44:45], v[16:17], v[8:11]
	v_mfma_f32_4x4x4_16b_bf16 v[4:7], v[32:33], v[16:17], v[4:7]
	v_mfma_f32_4x4x4_16b_bf16 v[0:3], v[72:73], v[16:17], v[0:3]
	v_mfma_f32_4x4x4_16b_bf16 v[8:11], v[46:47], v[18:19], v[8:11]
	v_mfma_f32_4x4x4_16b_bf16 v[4:7], v[34:35], v[18:19], v[4:7]
	v_mfma_f32_4x4x4_16b_bf16 v[0:3], v[74:75], v[18:19], v[0:3]
	s_waitcnt vmcnt(1)
	v_mfma_f32_4x4x4_16b_bf16 v[8:11], v[40:41], v[20:21], v[8:11]
	v_mfma_f32_4x4x4_16b_bf16 v[4:7], v[36:37], v[20:21], v[4:7]
	v_mfma_f32_4x4x4_16b_bf16 v[0:3], v[76:77], v[20:21], v[0:3]
	v_mfma_f32_4x4x4_16b_bf16 v[8:11], v[42:43], v[22:23], v[8:11]
	v_mfma_f32_4x4x4_16b_bf16 v[4:7], v[38:39], v[22:23], v[4:7]
	v_mfma_f32_4x4x4_16b_bf16 v[0:3], v[78:79], v[22:23], v[0:3]
	s_waitcnt vmcnt(0)
	v_mfma_f32_4x4x4_16b_bf16 v[8:11], v[52:53], v[12:13], v[8:11]
	v_mfma_f32_4x4x4_16b_bf16 v[4:7], v[56:57], v[12:13], v[4:7]
	v_mfma_f32_4x4x4_16b_bf16 v[0:3], v[80:81], v[12:13], v[0:3]
	v_mfma_f32_4x4x4_16b_bf16 v[8:11], v[54:55], v[14:15], v[8:11]
	v_mfma_f32_4x4x4_16b_bf16 v[4:7], v[58:59], v[14:15], v[4:7]
	v_mfma_f32_4x4x4_16b_bf16 v[0:3], v[70:71], v[14:15], v[0:3]
	s_cbranch_scc1 .LBB218_25
.LBB218_20:                             ;   Parent Loop BB218_14 Depth=1
                                        ; =>  This Inner Loop Header: Depth=2
	v_add_u32_e32 v32, s36, v82
	v_min_u32_e32 v62, s28, v32
	v_add_u32_e32 v88, 0x100, v32
	v_lshl_add_u64 v[12:13], v[62:63], 1, v[64:65]
	v_min_u32_e32 v62, s28, v88
	v_add_u32_e32 v86, 0x200, v32
	v_lshl_add_u64 v[14:15], v[62:63], 1, v[64:65]
	;; [unrolled: 3-line block ×3, first 2 shown]
	v_min_u32_e32 v62, s28, v85
	global_load_dwordx4 v[24:27], v[12:13], off nt
	global_load_dwordx4 v[16:19], v[14:15], off nt
	v_lshl_add_u64 v[30:31], v[62:63], 1, v[64:65]
	global_load_dwordx4 v[20:23], v[28:29], off nt
	global_load_dwordx4 v[12:15], v[30:31], off nt
	v_cmp_gt_u32_e32 vcc, s4, v32
	v_mov_b32_e32 v80, 0
	v_mov_b32_e32 v81, 0
	;; [unrolled: 1-line block ×48, first 2 shown]
	s_and_saveexec_b64 s[20:21], vcc
	s_cbranch_execz .LBB218_19
; %bb.21:                               ;   in Loop: Header=BB218_20 Depth=2
	v_add_u32_e32 v62, s6, v61
	v_add_u32_e32 v87, s33, v61
	ds_read_b128 v[28:31], v62
	ds_read2_b32 v[68:69], v87 offset1:1
	ds_read_b128 v[48:51], v61
	ds_read2_b32 v[66:67], v87 offset0:2 offset1:3
	v_cmp_gt_u32_e32 vcc, s4, v88
	v_mov_b32_e32 v71, 0
	v_mov_b32_e32 v70, 0
	;; [unrolled: 1-line block ×36, first 2 shown]
	s_and_saveexec_b64 s[22:23], vcc
	s_cbranch_execz .LBB218_18
; %bb.22:                               ;   in Loop: Header=BB218_20 Depth=2
	ds_read_b128 v[32:35], v62 offset:512
	ds_read2_b32 v[72:73], v87 offset0:128 offset1:129
	ds_read_b128 v[44:47], v61 offset:512
	ds_read2_b32 v[74:75], v87 offset0:130 offset1:131
	v_cmp_gt_u32_e32 vcc, s4, v86
	v_mov_b32_e32 v71, 0
	v_mov_b32_e32 v70, 0
	;; [unrolled: 1-line block ×24, first 2 shown]
	s_and_saveexec_b64 s[24:25], vcc
	s_cbranch_execz .LBB218_17
; %bb.23:                               ;   in Loop: Header=BB218_20 Depth=2
	v_add_u32_e32 v40, 0x400, v87
	ds_read_b128 v[36:39], v62 offset:1024
	ds_read2_b32 v[76:77], v40 offset1:1
	v_add_u32_e32 v52, 0x408, v87
	ds_read_b128 v[40:43], v61 offset:1024
	ds_read2_b32 v[78:79], v52 offset1:1
	v_cmp_gt_u32_e32 vcc, s4, v85
	v_mov_b32_e32 v71, 0
	v_mov_b32_e32 v70, 0
	;; [unrolled: 1-line block ×12, first 2 shown]
	s_and_saveexec_b64 s[26:27], vcc
	s_cbranch_execz .LBB218_16
; %bb.24:                               ;   in Loop: Header=BB218_20 Depth=2
	v_add_u32_e32 v52, 0x600, v87
	ds_read_b128 v[56:59], v62 offset:1536
	ds_read2_b32 v[80:81], v52 offset1:1
	v_add_u32_e32 v62, 0x608, v87
	ds_read_b128 v[52:55], v61 offset:1536
	ds_read2_b32 v[70:71], v62 offset1:1
	s_branch .LBB218_16
.LBB218_25:                             ;   in Loop: Header=BB218_14 Depth=1
	; sched_barrier mask(0x00000000)
	s_nop 1
	v_cvt_i32_f32_e32 v9, v9
	v_cvt_i32_f32_e32 v10, v10
	;; [unrolled: 1-line block ×4, first 2 shown]
	v_cvt_f32_i32_dpp v9, v9 row_shl:1 row_mask:0xf bank_mask:0xf bound_ctrl:1
	v_cvt_i32_f32_e32 v1, v1
	v_cvt_f32_i32_dpp v10, v10 row_shl:2 row_mask:0xf bank_mask:0xf bound_ctrl:1
	v_cvt_i32_f32_e32 v6, v6
	v_cvt_i32_f32_e32 v2, v2
	v_cvt_f32_i32_dpp v11, v11 row_shl:3 row_mask:0xf bank_mask:0xf bound_ctrl:1
	v_cvt_i32_f32_e32 v7, v7
	v_cvt_i32_f32_e32 v3, v3
	v_add_f32_e32 v8, v8, v9
	v_cvt_f32_i32_dpp v5, v5 row_shl:1 row_mask:0xf bank_mask:0xf bound_ctrl:1
	v_cvt_f32_i32_dpp v1, v1 row_shl:1 row_mask:0xf bank_mask:0xf bound_ctrl:1
	v_add_f32_e32 v8, v8, v10
	v_cvt_f32_i32_dpp v6, v6 row_shl:2 row_mask:0xf bank_mask:0xf bound_ctrl:1
	v_cvt_f32_i32_dpp v2, v2 row_shl:2 row_mask:0xf bank_mask:0xf bound_ctrl:1
	;; [unrolled: 3-line block ×3, first 2 shown]
	v_cvt_i32_f32_e32 v9, v8
	v_add_f32_e32 v4, v4, v5
	v_add_f32_e32 v0, v0, v1
	;; [unrolled: 1-line block ×6, first 2 shown]
	v_cvt_f32_i32_dpp v9, v9 row_shl:4 row_mask:0xf bank_mask:0xf bound_ctrl:1
	v_cvt_i32_f32_e32 v7, v4
	v_cvt_i32_f32_e32 v1, v0
	v_add_f32_e32 v5, v8, v9
	v_cvt_f32_i32_dpp v3, v7 row_shl:4 row_mask:0xf bank_mask:0xf bound_ctrl:1
	v_cvt_f32_i32_dpp v1, v1 row_shl:4 row_mask:0xf bank_mask:0xf bound_ctrl:1
	v_cvt_i32_f32_e32 v6, v5
	v_add_f32_e32 v3, v4, v3
	v_add_f32_e32 v0, v0, v1
	v_cvt_f32_i32_dpp v2, v6 row_shl:8 row_mask:0xf bank_mask:0xf bound_ctrl:1
	v_cvt_i32_f32_e32 v4, v3
	v_cvt_i32_f32_e32 v1, v0
	v_add_f32_e32 v2, v5, v2
	v_cvt_f32_i32_dpp v4, v4 row_shl:8 row_mask:0xf bank_mask:0xf bound_ctrl:1
	v_cvt_f32_i32_dpp v1, v1 row_shl:8 row_mask:0xf bank_mask:0xf bound_ctrl:1
	v_cvt_i32_f32_e32 v2, v2
	v_add_f32_e32 v3, v3, v4
	v_add_f32_e32 v0, v0, v1
	v_cvt_f32_i32_dpp v2, v2 row_shr:15 row_mask:0xf bank_mask:0xf bound_ctrl:1
	v_cvt_i32_f32_e32 v3, v3
	v_cvt_i32_f32_e32 v0, v0
	s_nop 0
	v_cvt_f32_i32_dpp v1, v3 row_shr:15 row_mask:0xf bank_mask:0xf bound_ctrl:1
	v_cvt_i32_f32_e32 v3, v2
	v_cvt_f32_i32_dpp v0, v0 row_shr:15 row_mask:0xf bank_mask:0xf bound_ctrl:1
	v_cvt_i32_f32_e32 v4, v1
	v_cvt_f32_i32_dpp v3, v3 row_bcast:15 row_mask:0xf bank_mask:0xf bound_ctrl:1
	v_cvt_i32_f32_e32 v6, v0
	v_cvt_f32_i32_dpp v4, v4 row_bcast:15 row_mask:0xf bank_mask:0xf bound_ctrl:1
	v_add_f32_e32 v5, v2, v3
	v_cvt_f32_i32_dpp v3, v6 row_bcast:15 row_mask:0xf bank_mask:0xf bound_ctrl:1
	v_cvt_i32_f32_e32 v6, v5
	v_add_f32_e32 v2, v1, v4
	v_cvt_i32_f32_e32 v1, v2
	v_add_f32_e32 v0, v0, v3
	v_cvt_i32_f32_e32 v3, v0
	v_mov_b32_dpp v7, v6 row_bcast:31 row_mask:0xf bank_mask:0xf bound_ctrl:1
	v_mov_b32_dpp v4, v1 row_bcast:31 row_mask:0xf bank_mask:0xf bound_ctrl:1
	;; [unrolled: 1-line block ×3, first 2 shown]
	s_and_saveexec_b64 s[20:21], s[0:1]
	s_cbranch_execz .LBB218_13
; %bb.26:                               ;   in Loop: Header=BB218_14 Depth=1
	s_andn2_b64 vcc, exec, s[18:19]
	v_mov_b32_e32 v8, 0
	v_mov_b32_e32 v6, 0
	;; [unrolled: 1-line block ×3, first 2 shown]
	s_cbranch_vccnz .LBB218_28
; %bb.27:                               ;   in Loop: Header=BB218_14 Depth=1
	v_mul_hi_u32 v3, v60, v83
	v_mul_lo_u32 v3, v3, s12
	v_sub_u32_e32 v3, v60, v3
	v_subrev_u32_e32 v6, s12, v3
	v_cmp_le_u32_e32 vcc, s12, v3
	v_mov_b32_e32 v9, v63
	s_nop 0
	v_cndmask_b32_e32 v3, v3, v6, vcc
	v_subrev_u32_e32 v6, s12, v3
	v_cmp_le_u32_e32 vcc, s12, v3
	s_nop 1
	v_cndmask_b32_e32 v62, v3, v6, vcc
	v_lshl_add_u64 v[10:11], v[62:63], 1, s[8:9]
	v_add_u32_e32 v8, s30, v62
	v_add_u32_e32 v62, s31, v62
	v_lshl_add_u64 v[12:13], v[8:9], 1, s[8:9]
	v_lshl_add_u64 v[14:15], v[62:63], 1, s[8:9]
	global_load_ushort v8, v[10:11], off
	global_load_ushort v6, v[12:13], off
	;; [unrolled: 1-line block ×3, first 2 shown]
.LBB218_28:                             ;   in Loop: Header=BB218_14 Depth=1
	v_cvt_f32_i32_e32 v7, v7
	v_add_f32_e32 v5, v5, v7
	s_waitcnt vmcnt(2)
	v_lshlrev_b32_e32 v7, 16, v8
	v_add_f32_e32 v7, v5, v7
	v_and_b32_e32 v5, 0x7f800000, v7
	v_cmp_ne_u32_e32 vcc, s34, v5
                                        ; implicit-def: $vgpr5
	s_and_saveexec_b64 s[22:23], vcc
	s_xor_b64 s[22:23], exec, s[22:23]
; %bb.29:                               ;   in Loop: Header=BB218_14 Depth=1
	v_bfe_u32 v5, v7, 16, 1
	v_add3_u32 v5, v7, v5, s35
                                        ; implicit-def: $vgpr7
; %bb.30:                               ;   in Loop: Header=BB218_14 Depth=1
	s_andn2_saveexec_b64 s[22:23], s[22:23]
; %bb.31:                               ;   in Loop: Header=BB218_14 Depth=1
	v_or_b32_e32 v5, 0x10000, v7
	v_cmp_eq_u32_sdwa vcc, v7, v63 src0_sel:WORD_0 src1_sel:DWORD
	s_nop 1
	v_cndmask_b32_e32 v5, v5, v7, vcc
; %bb.32:                               ;   in Loop: Header=BB218_14 Depth=1
	s_or_b64 exec, exec, s[22:23]
	v_cvt_f32_i32_e32 v4, v4
	v_mov_b32_e32 v61, v63
	v_lshl_add_u64 v[8:9], v[60:61], 1, s[10:11]
	global_store_short_d16_hi v[8:9], v5, off
	v_add_f32_e32 v2, v2, v4
	s_waitcnt vmcnt(2)
	v_lshlrev_b32_e32 v4, 16, v6
	v_add_f32_e32 v4, v2, v4
	v_and_b32_e32 v2, 0x7f800000, v4
	v_cmp_ne_u32_e32 vcc, s34, v2
                                        ; implicit-def: $vgpr2
	s_and_saveexec_b64 s[22:23], vcc
	s_xor_b64 s[22:23], exec, s[22:23]
; %bb.33:                               ;   in Loop: Header=BB218_14 Depth=1
	v_bfe_u32 v2, v4, 16, 1
	v_add3_u32 v2, v4, v2, s35
                                        ; implicit-def: $vgpr4
; %bb.34:                               ;   in Loop: Header=BB218_14 Depth=1
	s_andn2_saveexec_b64 s[22:23], s[22:23]
; %bb.35:                               ;   in Loop: Header=BB218_14 Depth=1
	v_or_b32_e32 v2, 0x10000, v4
	v_cmp_eq_u32_sdwa vcc, v4, v63 src0_sel:WORD_0 src1_sel:DWORD
	s_nop 1
	v_cndmask_b32_e32 v2, v2, v4, vcc
; %bb.36:                               ;   in Loop: Header=BB218_14 Depth=1
	s_or_b64 exec, exec, s[22:23]
	v_cvt_f32_i32_e32 v1, v1
	v_add_u32_e32 v62, s7, v60
	v_lshl_add_u64 v[4:5], v[62:63], 1, s[10:11]
	global_store_short_d16_hi v[4:5], v2, off
	v_add_f32_e32 v0, v0, v1
	s_waitcnt vmcnt(2)
	v_lshlrev_b32_e32 v1, 16, v3
	v_add_f32_e32 v1, v0, v1
	v_and_b32_e32 v0, 0x7f800000, v1
	v_cmp_ne_u32_e32 vcc, s34, v0
                                        ; implicit-def: $vgpr0
	s_and_saveexec_b64 s[22:23], vcc
	s_xor_b64 s[22:23], exec, s[22:23]
; %bb.37:                               ;   in Loop: Header=BB218_14 Depth=1
	v_bfe_u32 v0, v1, 16, 1
	v_add3_u32 v0, v1, v0, s35
                                        ; implicit-def: $vgpr1
; %bb.38:                               ;   in Loop: Header=BB218_14 Depth=1
	s_andn2_saveexec_b64 s[22:23], s[22:23]
	s_cbranch_execz .LBB218_12
; %bb.39:                               ;   in Loop: Header=BB218_14 Depth=1
	v_or_b32_e32 v0, 0x10000, v1
	v_cmp_eq_u32_sdwa vcc, v1, v63 src0_sel:WORD_0 src1_sel:DWORD
	s_nop 1
	v_cndmask_b32_e32 v0, v0, v1, vcc
	s_branch .LBB218_12
.LBB218_40:
	s_endpgm
	.section	.rodata,"a",@progbits
	.p2align	6, 0x0
	.amdhsa_kernel _Z16wvSplitK_hf_sml_I14__hip_bfloat16Li32ELi1ELi16ELi8ELi4ELi3EEviiiiiiPKT_S3_S3_PS1_ii
		.amdhsa_group_segment_fixed_size 65536
		.amdhsa_private_segment_fixed_size 0
		.amdhsa_kernarg_size 64
		.amdhsa_user_sgpr_count 2
		.amdhsa_user_sgpr_dispatch_ptr 0
		.amdhsa_user_sgpr_queue_ptr 0
		.amdhsa_user_sgpr_kernarg_segment_ptr 1
		.amdhsa_user_sgpr_dispatch_id 0
		.amdhsa_user_sgpr_kernarg_preload_length 0
		.amdhsa_user_sgpr_kernarg_preload_offset 0
		.amdhsa_user_sgpr_private_segment_size 0
		.amdhsa_uses_dynamic_stack 0
		.amdhsa_enable_private_segment 0
		.amdhsa_system_sgpr_workgroup_id_x 1
		.amdhsa_system_sgpr_workgroup_id_y 0
		.amdhsa_system_sgpr_workgroup_id_z 0
		.amdhsa_system_sgpr_workgroup_info 0
		.amdhsa_system_vgpr_workitem_id 1
		.amdhsa_next_free_vgpr 89
		.amdhsa_next_free_sgpr 37
		.amdhsa_accum_offset 92
		.amdhsa_reserve_vcc 1
		.amdhsa_float_round_mode_32 0
		.amdhsa_float_round_mode_16_64 0
		.amdhsa_float_denorm_mode_32 3
		.amdhsa_float_denorm_mode_16_64 3
		.amdhsa_dx10_clamp 1
		.amdhsa_ieee_mode 1
		.amdhsa_fp16_overflow 0
		.amdhsa_tg_split 0
		.amdhsa_exception_fp_ieee_invalid_op 0
		.amdhsa_exception_fp_denorm_src 0
		.amdhsa_exception_fp_ieee_div_zero 0
		.amdhsa_exception_fp_ieee_overflow 0
		.amdhsa_exception_fp_ieee_underflow 0
		.amdhsa_exception_fp_ieee_inexact 0
		.amdhsa_exception_int_div_zero 0
	.end_amdhsa_kernel
	.section	.text._Z16wvSplitK_hf_sml_I14__hip_bfloat16Li32ELi1ELi16ELi8ELi4ELi3EEviiiiiiPKT_S3_S3_PS1_ii,"axG",@progbits,_Z16wvSplitK_hf_sml_I14__hip_bfloat16Li32ELi1ELi16ELi8ELi4ELi3EEviiiiiiPKT_S3_S3_PS1_ii,comdat
.Lfunc_end218:
	.size	_Z16wvSplitK_hf_sml_I14__hip_bfloat16Li32ELi1ELi16ELi8ELi4ELi3EEviiiiiiPKT_S3_S3_PS1_ii, .Lfunc_end218-_Z16wvSplitK_hf_sml_I14__hip_bfloat16Li32ELi1ELi16ELi8ELi4ELi3EEviiiiiiPKT_S3_S3_PS1_ii
                                        ; -- End function
	.section	.AMDGPU.csdata,"",@progbits
; Kernel info:
; codeLenInByte = 2916
; NumSgprs: 43
; NumVgprs: 89
; NumAgprs: 0
; TotalNumVgprs: 89
; ScratchSize: 0
; MemoryBound: 0
; FloatMode: 240
; IeeeMode: 1
; LDSByteSize: 65536 bytes/workgroup (compile time only)
; SGPRBlocks: 5
; VGPRBlocks: 11
; NumSGPRsForWavesPerEU: 43
; NumVGPRsForWavesPerEU: 89
; AccumOffset: 92
; Occupancy: 2
; WaveLimiterHint : 0
; COMPUTE_PGM_RSRC2:SCRATCH_EN: 0
; COMPUTE_PGM_RSRC2:USER_SGPR: 2
; COMPUTE_PGM_RSRC2:TRAP_HANDLER: 0
; COMPUTE_PGM_RSRC2:TGID_X_EN: 1
; COMPUTE_PGM_RSRC2:TGID_Y_EN: 0
; COMPUTE_PGM_RSRC2:TGID_Z_EN: 0
; COMPUTE_PGM_RSRC2:TIDIG_COMP_CNT: 1
; COMPUTE_PGM_RSRC3_GFX90A:ACCUM_OFFSET: 22
; COMPUTE_PGM_RSRC3_GFX90A:TG_SPLIT: 0
	.section	.text._Z12wvSplitK_hf_I14__hip_bfloat16Li32ELi1ELi16ELi8ELi4ELi3EEviiiiiiPKT_S3_S3_PS1_ii,"axG",@progbits,_Z12wvSplitK_hf_I14__hip_bfloat16Li32ELi1ELi16ELi8ELi4ELi3EEviiiiiiPKT_S3_S3_PS1_ii,comdat
	.protected	_Z12wvSplitK_hf_I14__hip_bfloat16Li32ELi1ELi16ELi8ELi4ELi3EEviiiiiiPKT_S3_S3_PS1_ii ; -- Begin function _Z12wvSplitK_hf_I14__hip_bfloat16Li32ELi1ELi16ELi8ELi4ELi3EEviiiiiiPKT_S3_S3_PS1_ii
	.globl	_Z12wvSplitK_hf_I14__hip_bfloat16Li32ELi1ELi16ELi8ELi4ELi3EEviiiiiiPKT_S3_S3_PS1_ii
	.p2align	8
	.type	_Z12wvSplitK_hf_I14__hip_bfloat16Li32ELi1ELi16ELi8ELi4ELi3EEviiiiiiPKT_S3_S3_PS1_ii,@function
_Z12wvSplitK_hf_I14__hip_bfloat16Li32ELi1ELi16ELi8ELi4ELi3EEviiiiiiPKT_S3_S3_PS1_ii: ; @_Z12wvSplitK_hf_I14__hip_bfloat16Li32ELi1ELi16ELi8ELi4ELi3EEviiiiiiPKT_S3_S3_PS1_ii
; %bb.0:
	s_load_dwordx2 s[4:5], s[0:1], 0x38
	s_load_dwordx2 s[16:17], s[0:1], 0x20
	s_load_dwordx4 s[8:11], s[0:1], 0x0
	s_load_dwordx2 s[18:19], s[0:1], 0x10
	v_bfe_u32 v5, v0, 10, 10
	s_waitcnt lgkmcnt(0)
	s_mul_i32 s2, s2, s4
	v_add_u32_e32 v76, s2, v5
	v_add_u32_e32 v1, 1, v76
	v_cmp_gt_u32_e32 vcc, s11, v76
	v_cmp_le_u32_e64 s[2:3], s11, v1
	s_and_b64 s[6:7], vcc, s[2:3]
	v_mov_b32_e32 v90, 1
	s_and_saveexec_b64 s[2:3], s[6:7]
; %bb.1:
	v_subrev_u32_e32 v1, s11, v76
	v_cmp_eq_u32_e32 vcc, -1, v1
	s_add_i32 s6, s11, -1
	v_mov_b32_e32 v76, s6
	v_cndmask_b32_e64 v90, 0, 1, vcc
; %bb.2:
	s_or_b64 exec, exec, s[2:3]
	v_and_b32_e32 v4, 0x3ff, v0
	v_lshlrev_b32_e32 v91, 3, v4
	s_mul_i32 s2, s10, 3
	v_lshl_add_u32 v6, v5, 8, v91
	s_min_u32 s6, s2, 0x8000
	v_cmp_gt_u32_e32 vcc, s6, v6
	s_and_saveexec_b64 s[2:3], vcc
	s_cbranch_execz .LBB219_11
; %bb.3:
	v_lshlrev_b32_e32 v0, 1, v6
	global_load_dwordx4 v[8:11], v0, s[16:17]
	v_add_u32_e32 v1, 0x1000, v6
	v_cmp_gt_u32_e32 vcc, s6, v1
	s_waitcnt vmcnt(0)
	ds_write_b128 v0, v[8:11]
	s_and_saveexec_b64 s[12:13], vcc
	s_xor_b64 s[12:13], exec, s[12:13]
	s_cbranch_execz .LBB219_11
; %bb.4:
	v_mov_b32_e32 v1, 0
	v_lshl_add_u64 v[2:3], s[16:17], 0, v[0:1]
	v_add_co_u32_e32 v8, vcc, 0x2000, v2
	v_add_u32_e32 v1, 0x2000, v6
	s_nop 0
	v_addc_co_u32_e32 v9, vcc, 0, v3, vcc
	global_load_dwordx4 v[8:11], v[8:9], off
	v_cmp_gt_u32_e32 vcc, s6, v1
	s_waitcnt vmcnt(0)
	ds_write_b128 v0, v[8:11] offset:8192
	s_and_saveexec_b64 s[12:13], vcc
	s_xor_b64 s[12:13], exec, s[12:13]
	s_cbranch_execz .LBB219_11
; %bb.5:
	v_add_co_u32_e32 v8, vcc, 0x4000, v2
	v_add_u32_e32 v1, 0x3000, v6
	s_nop 0
	v_addc_co_u32_e32 v9, vcc, 0, v3, vcc
	global_load_dwordx4 v[8:11], v[8:9], off
	v_cmp_gt_u32_e32 vcc, s6, v1
	s_waitcnt vmcnt(0)
	ds_write_b128 v0, v[8:11] offset:16384
	s_and_saveexec_b64 s[12:13], vcc
	s_xor_b64 s[12:13], exec, s[12:13]
	s_cbranch_execz .LBB219_11
; %bb.6:
	;; [unrolled: 12-line block ×6, first 2 shown]
	v_add_co_u32_e32 v2, vcc, 0xe000, v2
	s_nop 1
	v_addc_co_u32_e32 v3, vcc, 0, v3, vcc
	global_load_dwordx4 v[6:9], v[2:3], off
	s_waitcnt vmcnt(0)
	ds_write_b128 v0, v[6:9] offset:57344
.LBB219_11:
	s_or_b64 exec, exec, s[2:3]
	v_cmp_gt_u32_e32 vcc, s4, v5
	v_cmp_gt_u32_e64 s[2:3], s11, v76
	s_and_b64 s[2:3], vcc, s[2:3]
	s_waitcnt lgkmcnt(0)
	s_barrier
	s_and_saveexec_b64 s[6:7], s[2:3]
	s_cbranch_execz .LBB219_90
; %bb.12:
	s_load_dwordx4 s[12:15], s[0:1], 0x28
	s_load_dwordx2 s[20:21], s[0:1], 0x18
	s_cmp_lg_u32 s8, 0
	s_cselect_b64 s[2:3], -1, 0
	s_add_i32 s33, s8, -8
	s_add_i32 s38, s11, -1
	s_waitcnt lgkmcnt(0)
	s_cmp_lg_u64 s[12:13], 0
	s_cselect_b64 s[24:25], -1, 0
	s_mul_i32 s39, s5, s4
	s_abs_i32 s4, s19
	v_cvt_f32_u32_e32 v0, s18
	v_cvt_f32_u32_e32 v1, s4
	s_sub_i32 s5, 0, s18
	s_sub_i32 s40, s39, s11
	v_rcp_iflag_f32_e32 v0, v0
	v_rcp_iflag_f32_e32 v1, v1
	s_add_i32 s40, s40, 2
	s_lshl_b32 s19, s10, 1
	v_mul_f32_e32 v0, 0x4f7ffffe, v0
	v_mul_f32_e32 v1, 0x4f7ffffe, v1
	v_cvt_u32_f32_e32 v0, v0
	v_cvt_u32_f32_e32 v1, v1
	v_cmp_eq_u32_e64 s[0:1], 31, v4
	s_mov_b64 s[22:23], 0
	v_mul_lo_u32 v2, s5, v0
	s_sub_i32 s5, 0, s4
	v_readfirstlane_b32 s6, v1
	s_mul_i32 s5, s5, s6
	s_mul_hi_u32 s5, s6, s5
	s_add_i32 s6, s6, s5
	s_sub_i32 s5, 1, s4
	s_cmp_lt_u32 s4, 2
	s_cselect_b32 s5, s5, 1
	s_sub_i32 s7, s5, s4
	s_cmp_ge_u32 s5, s4
	s_cselect_b32 s41, s7, s5
	s_lshr_b32 s5, s6, 31
	s_mul_i32 s5, s5, s4
	s_sub_i32 s5, 2, s5
	s_sub_i32 s6, s5, s4
	s_cmp_ge_u32 s5, s4
	s_cselect_b32 s5, s6, s5
	s_sub_i32 s6, s5, s4
	v_mul_hi_u32 v2, v0, v2
	s_cmp_ge_u32 s5, s4
	v_add_u32_e32 v92, v0, v2
	s_cselect_b32 s42, s6, s5
	v_cndmask_b32_e64 v0, 0, 1, s[2:3]
	v_mov_b32_e32 v79, 0
	s_mul_i32 s41, s41, s18
	s_mul_i32 s42, s42, s18
	v_lshlrev_b32_e32 v93, 4, v4
	s_lshl_b32 s43, s10, 2
	v_add_u32_e32 v94, s19, v91
	v_add_u32_e32 v95, s10, v91
	v_cmp_ne_u32_e64 s[2:3], 1, v0
	s_movk_i32 s10, 0x7fff
	s_mov_b32 s44, 0x7f800000
	s_mov_b32 s26, 0
	s_branch .LBB219_15
.LBB219_13:                             ;   in Loop: Header=BB219_15 Depth=1
	s_or_b64 exec, exec, s[6:7]
	v_add_u32_e32 v78, s11, v78
	v_lshl_add_u64 v[2:3], v[78:79], 1, s[14:15]
	global_store_short_d16_hi v[2:3], v0, off
.LBB219_14:                             ;   in Loop: Header=BB219_15 Depth=1
	s_or_b64 exec, exec, s[4:5]
	v_add_u32_e32 v0, s39, v76
	v_add_u32_e32 v1, 1, v0
	v_cmp_le_u32_e32 vcc, s11, v0
	v_cmp_gt_u32_e64 s[4:5], s11, v1
	v_add_u32_e32 v1, s40, v76
	v_cmp_eq_u32_e64 s[6:7], 1, v1
	v_mov_b32_e32 v1, s38
	s_or_b64 vcc, vcc, s[4:5]
	v_cndmask_b32_e32 v76, v1, v0, vcc
	v_cmp_le_u32_e64 s[4:5], s11, v76
	s_or_b64 vcc, vcc, s[6:7]
	s_or_b64 s[22:23], s[4:5], s[22:23]
	v_cndmask_b32_e32 v90, 0, v90, vcc
	s_andn2_b64 exec, exec, s[22:23]
	s_cbranch_execz .LBB219_90
.LBB219_15:                             ; =>This Loop Header: Depth=1
                                        ;     Child Loop BB219_22 Depth 2
	s_and_b64 vcc, exec, s[2:3]
	s_waitcnt vmcnt(0)
	v_mov_b32_e32 v3, v79
	v_mov_b32_e32 v2, v79
	;; [unrolled: 1-line block ×12, first 2 shown]
	s_cbranch_vccnz .LBB219_74
; %bb.16:                               ;   in Loop: Header=BB219_15 Depth=1
	v_min_u32_e32 v0, s38, v76
	v_mul_lo_u32 v78, v0, s9
	v_mov_b32_e32 v8, 0
	v_lshl_add_u64 v[80:81], v[78:79], 1, s[20:21]
	s_mov_b32 s4, 0
	v_mov_b32_e32 v77, v93
	s_mov_b32 s45, 0
	v_mov_b32_e32 v9, v8
	v_mov_b32_e32 v10, v8
	;; [unrolled: 1-line block ×11, first 2 shown]
	s_branch .LBB219_22
.LBB219_17:                             ;   in Loop: Header=BB219_22 Depth=2
	s_or_b64 exec, exec, s[36:37]
.LBB219_18:                             ;   in Loop: Header=BB219_22 Depth=2
	s_or_b64 exec, exec, s[34:35]
.LBB219_19:                             ;   in Loop: Header=BB219_22 Depth=2
	s_or_b64 exec, exec, s[30:31]
.LBB219_20:                             ;   in Loop: Header=BB219_22 Depth=2
	s_or_b64 exec, exec, s[28:29]
.LBB219_21:                             ;   in Loop: Header=BB219_22 Depth=2
	s_or_b64 exec, exec, s[6:7]
	s_waitcnt vmcnt(0) lgkmcnt(0)
	v_mfma_f32_4x4x4_16b_bf16 v[8:11], v[28:29], v[20:21], v[8:11]
	s_addk_i32 s45, 0x400
	v_mfma_f32_4x4x4_16b_bf16 v[4:7], v[32:33], v[20:21], v[4:7]
	v_add_u32_e32 v77, 0x800, v77
	v_mfma_f32_4x4x4_16b_bf16 v[0:3], v[36:37], v[20:21], v[0:3]
	s_cmp_ge_u32 s45, s8
	v_mfma_f32_4x4x4_16b_bf16 v[8:11], v[30:31], v[22:23], v[8:11]
	v_mfma_f32_4x4x4_16b_bf16 v[4:7], v[34:35], v[22:23], v[4:7]
	;; [unrolled: 1-line block ×21, first 2 shown]
	s_cbranch_scc1 .LBB219_74
.LBB219_22:                             ;   Parent Loop BB219_15 Depth=1
                                        ; =>  This Inner Loop Header: Depth=2
	v_add_u32_e32 v84, s45, v91
	v_min_u32_e32 v78, s33, v84
	v_add_u32_e32 v88, 0x100, v84
	v_lshl_add_u64 v[12:13], v[78:79], 1, v[80:81]
	v_min_u32_e32 v78, s33, v88
	v_add_u32_e32 v86, 0x200, v84
	v_lshl_add_u64 v[14:15], v[78:79], 1, v[80:81]
	;; [unrolled: 3-line block ×3, first 2 shown]
	v_min_u32_e32 v78, s33, v82
	global_load_dwordx4 v[20:23], v[12:13], off nt
	global_load_dwordx4 v[16:19], v[14:15], off nt
	v_lshl_add_u64 v[30:31], v[78:79], 1, v[80:81]
	global_load_dwordx4 v[24:27], v[28:29], off nt
	global_load_dwordx4 v[12:15], v[30:31], off nt
	s_mov_b32 s5, s4
	v_cmp_gt_u32_e32 vcc, s8, v84
	v_mov_b64_e32 v[28:29], s[4:5]
	v_mov_b32_e32 v71, 0
	v_mov_b32_e32 v70, 0
	;; [unrolled: 1-line block ×4, first 2 shown]
	v_mov_b64_e32 v[30:31], s[4:5]
	v_mov_b64_e32 v[40:41], s[4:5]
	;; [unrolled: 1-line block ×21, first 2 shown]
	s_and_saveexec_b64 s[6:7], vcc
	s_cbranch_execz .LBB219_21
; %bb.23:                               ;   in Loop: Header=BB219_22 Depth=2
	v_cmp_lt_u32_e32 vcc, s10, v84
                                        ; implicit-def: $vgpr28_vgpr29
	s_and_saveexec_b64 s[28:29], vcc
	s_xor_b64 s[28:29], exec, s[28:29]
	s_cbranch_execz .LBB219_25
; %bb.24:                               ;   in Loop: Header=BB219_22 Depth=2
	v_mov_b32_e32 v85, v79
	v_lshl_add_u64 v[28:29], v[84:85], 1, s[16:17]
	global_load_dwordx4 v[28:31], v[28:29], off
.LBB219_25:                             ;   in Loop: Header=BB219_22 Depth=2
	s_andn2_saveexec_b64 s[28:29], s[28:29]
	s_cbranch_execz .LBB219_27
; %bb.26:                               ;   in Loop: Header=BB219_22 Depth=2
	s_waitcnt vmcnt(0)
	ds_read_b128 v[28:31], v77
.LBB219_27:                             ;   in Loop: Header=BB219_22 Depth=2
	s_or_b64 exec, exec, s[28:29]
	v_add_u32_e32 v78, s45, v95
	v_cmp_lt_u32_e32 vcc, s10, v78
                                        ; implicit-def: $vgpr32_vgpr33
	s_and_saveexec_b64 s[28:29], vcc
	s_xor_b64 s[28:29], exec, s[28:29]
	s_cbranch_execz .LBB219_29
; %bb.28:                               ;   in Loop: Header=BB219_22 Depth=2
	v_lshl_add_u64 v[32:33], v[78:79], 1, s[16:17]
	global_load_dwordx4 v[32:35], v[32:33], off
.LBB219_29:                             ;   in Loop: Header=BB219_22 Depth=2
	s_andn2_saveexec_b64 s[28:29], s[28:29]
	s_cbranch_execz .LBB219_31
; %bb.30:                               ;   in Loop: Header=BB219_22 Depth=2
	s_waitcnt vmcnt(0)
	v_add_u32_e32 v32, s19, v77
	ds_read_b128 v[32:35], v32
.LBB219_31:                             ;   in Loop: Header=BB219_22 Depth=2
	s_or_b64 exec, exec, s[28:29]
	v_add_u32_e32 v84, s45, v94
	v_cmp_lt_u32_e32 vcc, s10, v84
                                        ; implicit-def: $vgpr36_vgpr37
	s_and_saveexec_b64 s[28:29], vcc
	s_xor_b64 s[28:29], exec, s[28:29]
	s_cbranch_execz .LBB219_33
; %bb.32:                               ;   in Loop: Header=BB219_22 Depth=2
	v_mov_b32_e32 v85, v79
	v_lshl_add_u64 v[36:37], v[84:85], 1, s[16:17]
	global_load_dwordx4 v[36:39], v[36:37], off
.LBB219_33:                             ;   in Loop: Header=BB219_22 Depth=2
	s_andn2_saveexec_b64 s[28:29], s[28:29]
	s_cbranch_execz .LBB219_35
; %bb.34:                               ;   in Loop: Header=BB219_22 Depth=2
	s_waitcnt vmcnt(0)
	v_add_u32_e32 v38, s43, v77
	ds_read2_b32 v[36:37], v38 offset1:1
	ds_read2_b32 v[38:39], v38 offset0:2 offset1:3
.LBB219_35:                             ;   in Loop: Header=BB219_22 Depth=2
	s_or_b64 exec, exec, s[28:29]
	s_mov_b32 s27, s26
	v_cmp_gt_u32_e32 vcc, s8, v88
	v_mov_b32_e32 v71, 0
	v_mov_b64_e32 v[40:41], s[26:27]
	v_mov_b32_e32 v70, 0
	v_mov_b32_e32 v69, 0
	;; [unrolled: 1-line block ×3, first 2 shown]
	v_mov_b64_e32 v[42:43], s[26:27]
	v_mov_b64_e32 v[52:53], s[26:27]
	;; [unrolled: 1-line block ×15, first 2 shown]
	s_and_saveexec_b64 s[28:29], vcc
	s_cbranch_execz .LBB219_20
; %bb.36:                               ;   in Loop: Header=BB219_22 Depth=2
	v_cmp_lt_u32_e32 vcc, s10, v88
                                        ; implicit-def: $vgpr40_vgpr41
	s_and_saveexec_b64 s[30:31], vcc
	s_xor_b64 s[30:31], exec, s[30:31]
	s_cbranch_execz .LBB219_38
; %bb.37:                               ;   in Loop: Header=BB219_22 Depth=2
	v_mov_b32_e32 v89, v79
	v_lshl_add_u64 v[40:41], v[88:89], 1, s[16:17]
	global_load_dwordx4 v[40:43], v[40:41], off
.LBB219_38:                             ;   in Loop: Header=BB219_22 Depth=2
	s_andn2_saveexec_b64 s[30:31], s[30:31]
	s_cbranch_execz .LBB219_40
; %bb.39:                               ;   in Loop: Header=BB219_22 Depth=2
	s_waitcnt vmcnt(0)
	ds_read_b128 v[40:43], v77 offset:512
.LBB219_40:                             ;   in Loop: Header=BB219_22 Depth=2
	s_or_b64 exec, exec, s[30:31]
	v_add_u32_e32 v46, 0x100, v78
	v_cmp_lt_u32_e32 vcc, s10, v46
                                        ; implicit-def: $vgpr44_vgpr45
	s_and_saveexec_b64 s[30:31], vcc
	s_xor_b64 s[30:31], exec, s[30:31]
	s_cbranch_execz .LBB219_42
; %bb.41:                               ;   in Loop: Header=BB219_22 Depth=2
	v_mov_b32_e32 v47, v79
	v_lshl_add_u64 v[44:45], v[46:47], 1, s[16:17]
	global_load_dwordx4 v[44:47], v[44:45], off
.LBB219_42:                             ;   in Loop: Header=BB219_22 Depth=2
	s_andn2_saveexec_b64 s[30:31], s[30:31]
	s_cbranch_execz .LBB219_44
; %bb.43:                               ;   in Loop: Header=BB219_22 Depth=2
	s_waitcnt vmcnt(0)
	v_add_u32_e32 v44, s19, v77
	ds_read_b128 v[44:47], v44 offset:512
.LBB219_44:                             ;   in Loop: Header=BB219_22 Depth=2
	s_or_b64 exec, exec, s[30:31]
	v_add_u32_e32 v50, 0x100, v84
	v_cmp_lt_u32_e32 vcc, s10, v50
                                        ; implicit-def: $vgpr48_vgpr49
	s_and_saveexec_b64 s[30:31], vcc
	s_xor_b64 s[30:31], exec, s[30:31]
	s_cbranch_execz .LBB219_46
; %bb.45:                               ;   in Loop: Header=BB219_22 Depth=2
	v_mov_b32_e32 v51, v79
	v_lshl_add_u64 v[48:49], v[50:51], 1, s[16:17]
	global_load_dwordx4 v[48:51], v[48:49], off
.LBB219_46:                             ;   in Loop: Header=BB219_22 Depth=2
	s_andn2_saveexec_b64 s[30:31], s[30:31]
	s_cbranch_execz .LBB219_48
; %bb.47:                               ;   in Loop: Header=BB219_22 Depth=2
	s_waitcnt vmcnt(0)
	v_add_u32_e32 v50, s43, v77
	ds_read2_b32 v[48:49], v50 offset0:128 offset1:129
	ds_read2_b32 v[50:51], v50 offset0:130 offset1:131
.LBB219_48:                             ;   in Loop: Header=BB219_22 Depth=2
	s_or_b64 exec, exec, s[30:31]
	s_mov_b32 s27, s26
	v_cmp_gt_u32_e32 vcc, s8, v86
	v_mov_b32_e32 v71, 0
	v_mov_b64_e32 v[52:53], s[26:27]
	v_mov_b32_e32 v70, 0
	v_mov_b32_e32 v69, 0
	v_mov_b32_e32 v68, 0
	v_mov_b64_e32 v[54:55], s[26:27]
	v_mov_b64_e32 v[64:65], s[26:27]
	;; [unrolled: 1-line block ×9, first 2 shown]
	s_and_saveexec_b64 s[30:31], vcc
	s_cbranch_execz .LBB219_19
; %bb.49:                               ;   in Loop: Header=BB219_22 Depth=2
	v_cmp_lt_u32_e32 vcc, s10, v86
                                        ; implicit-def: $vgpr52_vgpr53
	s_and_saveexec_b64 s[34:35], vcc
	s_xor_b64 s[34:35], exec, s[34:35]
	s_cbranch_execz .LBB219_51
; %bb.50:                               ;   in Loop: Header=BB219_22 Depth=2
	v_mov_b32_e32 v87, v79
	v_lshl_add_u64 v[52:53], v[86:87], 1, s[16:17]
	global_load_dwordx4 v[52:55], v[52:53], off
.LBB219_51:                             ;   in Loop: Header=BB219_22 Depth=2
	s_andn2_saveexec_b64 s[34:35], s[34:35]
	s_cbranch_execz .LBB219_53
; %bb.52:                               ;   in Loop: Header=BB219_22 Depth=2
	s_waitcnt vmcnt(0)
	ds_read_b128 v[52:55], v77 offset:1024
.LBB219_53:                             ;   in Loop: Header=BB219_22 Depth=2
	s_or_b64 exec, exec, s[34:35]
	v_add_u32_e32 v58, 0x200, v78
	v_cmp_lt_u32_e32 vcc, s10, v58
                                        ; implicit-def: $vgpr56_vgpr57
	s_and_saveexec_b64 s[34:35], vcc
	s_xor_b64 s[34:35], exec, s[34:35]
	s_cbranch_execz .LBB219_55
; %bb.54:                               ;   in Loop: Header=BB219_22 Depth=2
	v_mov_b32_e32 v59, v79
	v_lshl_add_u64 v[56:57], v[58:59], 1, s[16:17]
	global_load_dwordx4 v[56:59], v[56:57], off
.LBB219_55:                             ;   in Loop: Header=BB219_22 Depth=2
	s_andn2_saveexec_b64 s[34:35], s[34:35]
	s_cbranch_execz .LBB219_57
; %bb.56:                               ;   in Loop: Header=BB219_22 Depth=2
	s_waitcnt vmcnt(0)
	v_add_u32_e32 v56, s19, v77
	ds_read_b128 v[56:59], v56 offset:1024
.LBB219_57:                             ;   in Loop: Header=BB219_22 Depth=2
	s_or_b64 exec, exec, s[34:35]
	v_add_u32_e32 v62, 0x200, v84
	v_cmp_lt_u32_e32 vcc, s10, v62
                                        ; implicit-def: $vgpr60_vgpr61
	s_and_saveexec_b64 s[34:35], vcc
	s_xor_b64 s[34:35], exec, s[34:35]
	s_cbranch_execz .LBB219_59
; %bb.58:                               ;   in Loop: Header=BB219_22 Depth=2
	v_mov_b32_e32 v63, v79
	v_lshl_add_u64 v[60:61], v[62:63], 1, s[16:17]
	global_load_dwordx4 v[60:63], v[60:61], off
.LBB219_59:                             ;   in Loop: Header=BB219_22 Depth=2
	s_andn2_saveexec_b64 s[34:35], s[34:35]
	s_cbranch_execz .LBB219_61
; %bb.60:                               ;   in Loop: Header=BB219_22 Depth=2
	s_waitcnt vmcnt(0)
	v_add_u32_e32 v60, s43, v77
	v_add_u32_e32 v61, 0x400, v60
	;; [unrolled: 1-line block ×3, first 2 shown]
	ds_read2_b32 v[60:61], v61 offset1:1
	ds_read2_b32 v[62:63], v62 offset1:1
.LBB219_61:                             ;   in Loop: Header=BB219_22 Depth=2
	s_or_b64 exec, exec, s[34:35]
	s_mov_b32 s27, s26
	v_cmp_gt_u32_e32 vcc, s8, v82
	v_mov_b32_e32 v71, 0
	v_mov_b64_e32 v[64:65], s[26:27]
	v_mov_b32_e32 v70, 0
	v_mov_b32_e32 v69, 0
	;; [unrolled: 1-line block ×3, first 2 shown]
	v_mov_b64_e32 v[66:67], s[26:27]
	v_mov_b64_e32 v[72:73], s[26:27]
	;; [unrolled: 1-line block ×3, first 2 shown]
	s_and_saveexec_b64 s[34:35], vcc
	s_cbranch_execz .LBB219_18
; %bb.62:                               ;   in Loop: Header=BB219_22 Depth=2
	v_cmp_lt_u32_e32 vcc, s10, v82
                                        ; implicit-def: $vgpr64_vgpr65
	s_and_saveexec_b64 s[36:37], vcc
	s_xor_b64 s[36:37], exec, s[36:37]
	s_cbranch_execz .LBB219_64
; %bb.63:                               ;   in Loop: Header=BB219_22 Depth=2
	v_mov_b32_e32 v83, v79
	v_lshl_add_u64 v[64:65], v[82:83], 1, s[16:17]
	global_load_dwordx4 v[64:67], v[64:65], off
.LBB219_64:                             ;   in Loop: Header=BB219_22 Depth=2
	s_andn2_saveexec_b64 s[36:37], s[36:37]
	s_cbranch_execz .LBB219_66
; %bb.65:                               ;   in Loop: Header=BB219_22 Depth=2
	s_waitcnt vmcnt(0)
	ds_read_b128 v[64:67], v77 offset:1536
.LBB219_66:                             ;   in Loop: Header=BB219_22 Depth=2
	s_or_b64 exec, exec, s[36:37]
	v_add_u32_e32 v78, 0x300, v78
	v_cmp_lt_u32_e32 vcc, s10, v78
                                        ; implicit-def: $vgpr72_vgpr73
	s_and_saveexec_b64 s[36:37], vcc
	s_xor_b64 s[36:37], exec, s[36:37]
	s_cbranch_execz .LBB219_68
; %bb.67:                               ;   in Loop: Header=BB219_22 Depth=2
	v_lshl_add_u64 v[68:69], v[78:79], 1, s[16:17]
	global_load_dwordx4 v[72:75], v[68:69], off
.LBB219_68:                             ;   in Loop: Header=BB219_22 Depth=2
	s_andn2_saveexec_b64 s[36:37], s[36:37]
	s_cbranch_execz .LBB219_70
; %bb.69:                               ;   in Loop: Header=BB219_22 Depth=2
	v_add_u32_e32 v68, s19, v77
	s_waitcnt vmcnt(0)
	ds_read_b128 v[72:75], v68 offset:1536
.LBB219_70:                             ;   in Loop: Header=BB219_22 Depth=2
	s_or_b64 exec, exec, s[36:37]
	v_add_u32_e32 v78, 0x300, v84
	v_cmp_lt_u32_e32 vcc, s10, v78
                                        ; implicit-def: $vgpr71
	s_and_saveexec_b64 s[36:37], vcc
	s_xor_b64 s[36:37], exec, s[36:37]
	s_cbranch_execz .LBB219_72
; %bb.71:                               ;   in Loop: Header=BB219_22 Depth=2
	v_lshl_add_u64 v[68:69], v[78:79], 1, s[16:17]
	global_load_dwordx4 v[68:71], v[68:69], off
.LBB219_72:                             ;   in Loop: Header=BB219_22 Depth=2
	s_andn2_saveexec_b64 s[36:37], s[36:37]
	s_cbranch_execz .LBB219_17
; %bb.73:                               ;   in Loop: Header=BB219_22 Depth=2
	s_waitcnt vmcnt(0)
	v_add_u32_e32 v68, s43, v77
	v_add_u32_e32 v69, 0x600, v68
	;; [unrolled: 1-line block ×3, first 2 shown]
	ds_read2_b32 v[68:69], v69 offset1:1
	ds_read2_b32 v[70:71], v70 offset1:1
	s_branch .LBB219_17
.LBB219_74:                             ;   in Loop: Header=BB219_15 Depth=1
	s_nop 1
	v_cvt_i32_f32_e32 v9, v9
	v_cvt_i32_f32_e32 v10, v10
	v_cvt_i32_f32_e32 v11, v11
	v_cvt_i32_f32_e32 v5, v5
	v_cvt_f32_i32_dpp v9, v9 row_shl:1 row_mask:0xf bank_mask:0xf bound_ctrl:1
	v_cvt_i32_f32_e32 v1, v1
	v_cvt_f32_i32_dpp v10, v10 row_shl:2 row_mask:0xf bank_mask:0xf bound_ctrl:1
	v_cvt_i32_f32_e32 v6, v6
	v_cvt_i32_f32_e32 v2, v2
	v_cvt_f32_i32_dpp v11, v11 row_shl:3 row_mask:0xf bank_mask:0xf bound_ctrl:1
	v_cvt_i32_f32_e32 v7, v7
	v_cvt_i32_f32_e32 v3, v3
	v_add_f32_e32 v8, v8, v9
	v_cvt_f32_i32_dpp v5, v5 row_shl:1 row_mask:0xf bank_mask:0xf bound_ctrl:1
	v_cvt_f32_i32_dpp v1, v1 row_shl:1 row_mask:0xf bank_mask:0xf bound_ctrl:1
	v_add_f32_e32 v8, v8, v10
	v_cvt_f32_i32_dpp v6, v6 row_shl:2 row_mask:0xf bank_mask:0xf bound_ctrl:1
	v_cvt_f32_i32_dpp v2, v2 row_shl:2 row_mask:0xf bank_mask:0xf bound_ctrl:1
	;; [unrolled: 3-line block ×3, first 2 shown]
	v_cvt_i32_f32_e32 v9, v8
	v_add_f32_e32 v4, v4, v5
	v_add_f32_e32 v0, v0, v1
	v_add_f32_e32 v4, v4, v6
	v_add_f32_e32 v0, v0, v2
	v_add_f32_e32 v4, v4, v7
	v_add_f32_e32 v0, v0, v3
	v_cvt_f32_i32_dpp v9, v9 row_shl:4 row_mask:0xf bank_mask:0xf bound_ctrl:1
	v_cvt_i32_f32_e32 v7, v4
	v_cvt_i32_f32_e32 v1, v0
	v_add_f32_e32 v5, v8, v9
	v_cvt_f32_i32_dpp v3, v7 row_shl:4 row_mask:0xf bank_mask:0xf bound_ctrl:1
	v_cvt_f32_i32_dpp v1, v1 row_shl:4 row_mask:0xf bank_mask:0xf bound_ctrl:1
	v_cvt_i32_f32_e32 v6, v5
	v_add_f32_e32 v3, v4, v3
	v_add_f32_e32 v0, v0, v1
	v_cvt_f32_i32_dpp v2, v6 row_shl:8 row_mask:0xf bank_mask:0xf bound_ctrl:1
	v_cvt_i32_f32_e32 v4, v3
	v_cvt_i32_f32_e32 v1, v0
	v_add_f32_e32 v2, v5, v2
	v_cvt_f32_i32_dpp v4, v4 row_shl:8 row_mask:0xf bank_mask:0xf bound_ctrl:1
	v_cvt_f32_i32_dpp v1, v1 row_shl:8 row_mask:0xf bank_mask:0xf bound_ctrl:1
	v_cvt_i32_f32_e32 v2, v2
	v_add_f32_e32 v3, v3, v4
	v_add_f32_e32 v0, v0, v1
	v_cvt_f32_i32_dpp v2, v2 row_shr:15 row_mask:0xf bank_mask:0xf bound_ctrl:1
	v_cvt_i32_f32_e32 v3, v3
	v_cvt_i32_f32_e32 v0, v0
	s_nop 0
	v_cvt_f32_i32_dpp v1, v3 row_shr:15 row_mask:0xf bank_mask:0xf bound_ctrl:1
	v_cvt_i32_f32_e32 v3, v2
	v_cvt_f32_i32_dpp v0, v0 row_shr:15 row_mask:0xf bank_mask:0xf bound_ctrl:1
	v_cvt_i32_f32_e32 v4, v1
	v_cvt_f32_i32_dpp v3, v3 row_bcast:15 row_mask:0xf bank_mask:0xf bound_ctrl:1
	v_cvt_i32_f32_e32 v6, v0
	v_cvt_f32_i32_dpp v4, v4 row_bcast:15 row_mask:0xf bank_mask:0xf bound_ctrl:1
	v_add_f32_e32 v5, v2, v3
	v_cvt_f32_i32_dpp v3, v6 row_bcast:15 row_mask:0xf bank_mask:0xf bound_ctrl:1
	v_cvt_i32_f32_e32 v6, v5
	v_add_f32_e32 v2, v1, v4
	v_cvt_i32_f32_e32 v1, v2
	v_add_f32_e32 v0, v0, v3
	v_cvt_i32_f32_e32 v3, v0
	v_mov_b32_dpp v7, v6 row_bcast:31 row_mask:0xf bank_mask:0xf bound_ctrl:1
	v_mov_b32_dpp v4, v1 row_bcast:31 row_mask:0xf bank_mask:0xf bound_ctrl:1
	;; [unrolled: 1-line block ×3, first 2 shown]
	s_and_saveexec_b64 s[4:5], s[0:1]
	s_cbranch_execz .LBB219_14
; %bb.75:                               ;   in Loop: Header=BB219_15 Depth=1
	s_andn2_b64 vcc, exec, s[24:25]
	v_mov_b32_e32 v8, 0
	v_mov_b32_e32 v6, 0
	;; [unrolled: 1-line block ×3, first 2 shown]
	s_cbranch_vccnz .LBB219_77
; %bb.76:                               ;   in Loop: Header=BB219_15 Depth=1
	v_mul_hi_u32 v3, v76, v92
	v_mul_lo_u32 v3, v3, s18
	v_sub_u32_e32 v3, v76, v3
	v_subrev_u32_e32 v6, s18, v3
	v_cmp_le_u32_e32 vcc, s18, v3
	v_mov_b32_e32 v9, v79
	s_nop 0
	v_cndmask_b32_e32 v3, v3, v6, vcc
	v_subrev_u32_e32 v6, s18, v3
	v_cmp_le_u32_e32 vcc, s18, v3
	s_nop 1
	v_cndmask_b32_e32 v78, v3, v6, vcc
	v_lshl_add_u64 v[10:11], v[78:79], 1, s[12:13]
	v_add_u32_e32 v8, s41, v78
	v_add_u32_e32 v78, s42, v78
	v_lshl_add_u64 v[12:13], v[8:9], 1, s[12:13]
	v_lshl_add_u64 v[14:15], v[78:79], 1, s[12:13]
	global_load_ushort v8, v[10:11], off
	global_load_ushort v6, v[12:13], off
	;; [unrolled: 1-line block ×3, first 2 shown]
.LBB219_77:                             ;   in Loop: Header=BB219_15 Depth=1
	v_cmp_ne_u32_e32 vcc, 0, v90
	s_and_b64 exec, exec, vcc
	s_cbranch_execz .LBB219_14
; %bb.78:                               ;   in Loop: Header=BB219_15 Depth=1
	v_cvt_f32_i32_e32 v7, v7
	v_add_f32_e32 v5, v5, v7
	s_waitcnt vmcnt(2)
	v_lshlrev_b32_e32 v7, 16, v8
	v_add_f32_e32 v7, v5, v7
	v_and_b32_e32 v5, 0x7f800000, v7
	v_cmp_ne_u32_e32 vcc, s44, v5
                                        ; implicit-def: $vgpr5
	s_and_saveexec_b64 s[6:7], vcc
	s_xor_b64 s[6:7], exec, s[6:7]
; %bb.79:                               ;   in Loop: Header=BB219_15 Depth=1
	v_bfe_u32 v5, v7, 16, 1
	v_add3_u32 v5, v7, v5, s10
                                        ; implicit-def: $vgpr7
; %bb.80:                               ;   in Loop: Header=BB219_15 Depth=1
	s_andn2_saveexec_b64 s[6:7], s[6:7]
; %bb.81:                               ;   in Loop: Header=BB219_15 Depth=1
	v_or_b32_e32 v5, 0x10000, v7
	v_cmp_eq_u32_sdwa vcc, v7, v79 src0_sel:WORD_0 src1_sel:DWORD
	s_nop 1
	v_cndmask_b32_e32 v5, v5, v7, vcc
; %bb.82:                               ;   in Loop: Header=BB219_15 Depth=1
	s_or_b64 exec, exec, s[6:7]
	v_cvt_f32_i32_e32 v4, v4
	v_mov_b32_e32 v77, v79
	v_lshl_add_u64 v[8:9], v[76:77], 1, s[14:15]
	global_store_short_d16_hi v[8:9], v5, off
	v_add_f32_e32 v2, v2, v4
	s_waitcnt vmcnt(2)
	v_lshlrev_b32_e32 v4, 16, v6
	v_add_f32_e32 v4, v2, v4
	v_and_b32_e32 v2, 0x7f800000, v4
	v_cmp_ne_u32_e32 vcc, s44, v2
                                        ; implicit-def: $vgpr2
	s_and_saveexec_b64 s[6:7], vcc
	s_xor_b64 s[6:7], exec, s[6:7]
; %bb.83:                               ;   in Loop: Header=BB219_15 Depth=1
	v_bfe_u32 v2, v4, 16, 1
	v_add3_u32 v2, v4, v2, s10
                                        ; implicit-def: $vgpr4
; %bb.84:                               ;   in Loop: Header=BB219_15 Depth=1
	s_andn2_saveexec_b64 s[6:7], s[6:7]
; %bb.85:                               ;   in Loop: Header=BB219_15 Depth=1
	v_or_b32_e32 v2, 0x10000, v4
	v_cmp_eq_u32_sdwa vcc, v4, v79 src0_sel:WORD_0 src1_sel:DWORD
	s_nop 1
	v_cndmask_b32_e32 v2, v2, v4, vcc
; %bb.86:                               ;   in Loop: Header=BB219_15 Depth=1
	s_or_b64 exec, exec, s[6:7]
	v_cvt_f32_i32_e32 v1, v1
	v_add_u32_e32 v78, s11, v76
	v_lshl_add_u64 v[4:5], v[78:79], 1, s[14:15]
	global_store_short_d16_hi v[4:5], v2, off
	v_add_f32_e32 v0, v0, v1
	s_waitcnt vmcnt(2)
	v_lshlrev_b32_e32 v1, 16, v3
	v_add_f32_e32 v1, v0, v1
	v_and_b32_e32 v0, 0x7f800000, v1
	v_cmp_ne_u32_e32 vcc, s44, v0
                                        ; implicit-def: $vgpr0
	s_and_saveexec_b64 s[6:7], vcc
	s_xor_b64 s[6:7], exec, s[6:7]
; %bb.87:                               ;   in Loop: Header=BB219_15 Depth=1
	v_bfe_u32 v0, v1, 16, 1
	v_add3_u32 v0, v1, v0, s10
                                        ; implicit-def: $vgpr1
; %bb.88:                               ;   in Loop: Header=BB219_15 Depth=1
	s_andn2_saveexec_b64 s[6:7], s[6:7]
	s_cbranch_execz .LBB219_13
; %bb.89:                               ;   in Loop: Header=BB219_15 Depth=1
	v_or_b32_e32 v0, 0x10000, v1
	v_cmp_eq_u32_sdwa vcc, v1, v79 src0_sel:WORD_0 src1_sel:DWORD
	s_nop 1
	v_cndmask_b32_e32 v0, v0, v1, vcc
	s_branch .LBB219_13
.LBB219_90:
	s_endpgm
	.section	.rodata,"a",@progbits
	.p2align	6, 0x0
	.amdhsa_kernel _Z12wvSplitK_hf_I14__hip_bfloat16Li32ELi1ELi16ELi8ELi4ELi3EEviiiiiiPKT_S3_S3_PS1_ii
		.amdhsa_group_segment_fixed_size 65536
		.amdhsa_private_segment_fixed_size 0
		.amdhsa_kernarg_size 64
		.amdhsa_user_sgpr_count 2
		.amdhsa_user_sgpr_dispatch_ptr 0
		.amdhsa_user_sgpr_queue_ptr 0
		.amdhsa_user_sgpr_kernarg_segment_ptr 1
		.amdhsa_user_sgpr_dispatch_id 0
		.amdhsa_user_sgpr_kernarg_preload_length 0
		.amdhsa_user_sgpr_kernarg_preload_offset 0
		.amdhsa_user_sgpr_private_segment_size 0
		.amdhsa_uses_dynamic_stack 0
		.amdhsa_enable_private_segment 0
		.amdhsa_system_sgpr_workgroup_id_x 1
		.amdhsa_system_sgpr_workgroup_id_y 0
		.amdhsa_system_sgpr_workgroup_id_z 0
		.amdhsa_system_sgpr_workgroup_info 0
		.amdhsa_system_vgpr_workitem_id 1
		.amdhsa_next_free_vgpr 96
		.amdhsa_next_free_sgpr 46
		.amdhsa_accum_offset 96
		.amdhsa_reserve_vcc 1
		.amdhsa_float_round_mode_32 0
		.amdhsa_float_round_mode_16_64 0
		.amdhsa_float_denorm_mode_32 3
		.amdhsa_float_denorm_mode_16_64 3
		.amdhsa_dx10_clamp 1
		.amdhsa_ieee_mode 1
		.amdhsa_fp16_overflow 0
		.amdhsa_tg_split 0
		.amdhsa_exception_fp_ieee_invalid_op 0
		.amdhsa_exception_fp_denorm_src 0
		.amdhsa_exception_fp_ieee_div_zero 0
		.amdhsa_exception_fp_ieee_overflow 0
		.amdhsa_exception_fp_ieee_underflow 0
		.amdhsa_exception_fp_ieee_inexact 0
		.amdhsa_exception_int_div_zero 0
	.end_amdhsa_kernel
	.section	.text._Z12wvSplitK_hf_I14__hip_bfloat16Li32ELi1ELi16ELi8ELi4ELi3EEviiiiiiPKT_S3_S3_PS1_ii,"axG",@progbits,_Z12wvSplitK_hf_I14__hip_bfloat16Li32ELi1ELi16ELi8ELi4ELi3EEviiiiiiPKT_S3_S3_PS1_ii,comdat
.Lfunc_end219:
	.size	_Z12wvSplitK_hf_I14__hip_bfloat16Li32ELi1ELi16ELi8ELi4ELi3EEviiiiiiPKT_S3_S3_PS1_ii, .Lfunc_end219-_Z12wvSplitK_hf_I14__hip_bfloat16Li32ELi1ELi16ELi8ELi4ELi3EEviiiiiiPKT_S3_S3_PS1_ii
                                        ; -- End function
	.section	.AMDGPU.csdata,"",@progbits
; Kernel info:
; codeLenInByte = 3544
; NumSgprs: 52
; NumVgprs: 96
; NumAgprs: 0
; TotalNumVgprs: 96
; ScratchSize: 0
; MemoryBound: 1
; FloatMode: 240
; IeeeMode: 1
; LDSByteSize: 65536 bytes/workgroup (compile time only)
; SGPRBlocks: 6
; VGPRBlocks: 11
; NumSGPRsForWavesPerEU: 52
; NumVGPRsForWavesPerEU: 96
; AccumOffset: 96
; Occupancy: 2
; WaveLimiterHint : 0
; COMPUTE_PGM_RSRC2:SCRATCH_EN: 0
; COMPUTE_PGM_RSRC2:USER_SGPR: 2
; COMPUTE_PGM_RSRC2:TRAP_HANDLER: 0
; COMPUTE_PGM_RSRC2:TGID_X_EN: 1
; COMPUTE_PGM_RSRC2:TGID_Y_EN: 0
; COMPUTE_PGM_RSRC2:TGID_Z_EN: 0
; COMPUTE_PGM_RSRC2:TIDIG_COMP_CNT: 1
; COMPUTE_PGM_RSRC3_GFX90A:ACCUM_OFFSET: 23
; COMPUTE_PGM_RSRC3_GFX90A:TG_SPLIT: 0
	.section	.text._Z16wvSplitK_hf_big_I14__hip_bfloat16Li32ELi1ELi16ELi8ELi4ELi3EEviiiiiiPKT_S3_S3_PS1_ii,"axG",@progbits,_Z16wvSplitK_hf_big_I14__hip_bfloat16Li32ELi1ELi16ELi8ELi4ELi3EEviiiiiiPKT_S3_S3_PS1_ii,comdat
	.protected	_Z16wvSplitK_hf_big_I14__hip_bfloat16Li32ELi1ELi16ELi8ELi4ELi3EEviiiiiiPKT_S3_S3_PS1_ii ; -- Begin function _Z16wvSplitK_hf_big_I14__hip_bfloat16Li32ELi1ELi16ELi8ELi4ELi3EEviiiiiiPKT_S3_S3_PS1_ii
	.globl	_Z16wvSplitK_hf_big_I14__hip_bfloat16Li32ELi1ELi16ELi8ELi4ELi3EEviiiiiiPKT_S3_S3_PS1_ii
	.p2align	8
	.type	_Z16wvSplitK_hf_big_I14__hip_bfloat16Li32ELi1ELi16ELi8ELi4ELi3EEviiiiiiPKT_S3_S3_PS1_ii,@function
_Z16wvSplitK_hf_big_I14__hip_bfloat16Li32ELi1ELi16ELi8ELi4ELi3EEviiiiiiPKT_S3_S3_PS1_ii: ; @_Z16wvSplitK_hf_big_I14__hip_bfloat16Li32ELi1ELi16ELi8ELi4ELi3EEviiiiiiPKT_S3_S3_PS1_ii
; %bb.0:
	s_load_dwordx2 s[4:5], s[0:1], 0x38
	v_bfe_u32 v1, v0, 10, 10
	s_waitcnt lgkmcnt(0)
	v_cmp_gt_u32_e32 vcc, s4, v1
	s_and_saveexec_b64 s[6:7], vcc
	s_cbranch_execz .LBB220_50
; %bb.1:
	s_load_dwordx4 s[20:23], s[0:1], 0x0
	s_mul_i32 s2, s2, s4
	v_add_u32_e32 v76, s2, v1
	v_add_u32_e32 v2, 1, v76
	v_mov_b32_e32 v82, 1
	s_waitcnt lgkmcnt(0)
	v_cmp_gt_u32_e32 vcc, s23, v76
	v_cmp_le_u32_e64 s[2:3], s23, v2
	s_and_b64 s[6:7], vcc, s[2:3]
	s_and_saveexec_b64 s[2:3], s[6:7]
; %bb.2:
	v_subrev_u32_e32 v2, s23, v76
	v_cmp_eq_u32_e32 vcc, -1, v2
	s_add_i32 s6, s23, -1
	v_mov_b32_e32 v76, s6
	v_cndmask_b32_e64 v82, 0, 1, vcc
; %bb.3:
	s_or_b64 exec, exec, s[2:3]
	s_abs_i32 s2, s4
	v_cvt_f32_u32_e32 v2, s2
	s_sub_i32 s7, 0, s2
	s_abs_i32 s6, s23
	s_ashr_i32 s3, s23, 31
	v_rcp_iflag_f32_e32 v2, v2
	s_nop 0
	v_mul_f32_e32 v2, 0x4f7ffffe, v2
	v_cvt_u32_f32_e32 v2, v2
	s_nop 0
	v_readfirstlane_b32 s8, v2
	s_mul_i32 s7, s7, s8
	s_mul_hi_u32 s7, s8, s7
	s_add_i32 s8, s8, s7
	s_mul_hi_u32 s7, s6, s8
	s_mul_i32 s7, s7, s2
	s_sub_i32 s6, s6, s7
	s_sub_i32 s7, s6, s2
	s_cmp_ge_u32 s6, s2
	s_cselect_b32 s6, s7, s6
	s_sub_i32 s7, s6, s2
	s_cmp_ge_u32 s6, s2
	s_cselect_b32 s2, s7, s6
	s_xor_b32 s2, s2, s3
	s_sub_i32 s2, s2, s3
	s_add_i32 s3, s4, s23
	s_sub_i32 s3, s3, s2
	s_cmp_eq_u32 s2, 0
	s_cselect_b32 s33, s23, s3
	v_cmp_gt_u32_e32 vcc, s33, v76
	s_and_b64 exec, exec, vcc
	s_cbranch_execz .LBB220_50
; %bb.4:
	s_load_dwordx8 s[12:19], s[0:1], 0x10
	s_min_u32 s38, s22, 0x2800
	s_cmp_lg_u32 s20, 0
	s_cselect_b64 s[2:3], -1, 0
	s_cmp_lg_u32 s22, 0
	s_cselect_b64 s[6:7], -1, 0
	s_lshl_b32 s39, s4, 8
	s_add_i32 s40, s20, -8
	s_add_i32 s41, s23, -1
	s_waitcnt lgkmcnt(0)
	s_cmp_lg_u64 s[18:19], 0
	s_cselect_b64 s[26:27], -1, 0
	s_abs_i32 s8, s13
	v_cvt_f32_u32_e32 v2, s12
	v_cvt_f32_u32_e32 v3, s8
	s_mul_i32 s42, s5, s4
	s_sub_i32 s5, s42, s23
	v_rcp_iflag_f32_e32 v2, v2
	v_rcp_iflag_f32_e32 v3, v3
	s_add_i32 s13, s5, 2
	s_sub_i32 s5, 0, s12
	v_mul_f32_e32 v2, 0x4f7ffffe, v2
	v_mul_f32_e32 v3, 0x4f7ffffe, v3
	v_cvt_u32_f32_e32 v2, v2
	v_cvt_u32_f32_e32 v3, v3
	s_load_dwordx2 s[10:11], s[0:1], 0x30
	v_and_b32_e32 v0, 0x3ff, v0
	v_mul_lo_u32 v4, s5, v2
	s_sub_i32 s5, 0, s8
	v_readfirstlane_b32 s9, v3
	s_mul_i32 s5, s5, s9
	s_mul_hi_u32 s5, s9, s5
	s_add_i32 s9, s9, s5
	s_sub_i32 s5, 1, s8
	s_cmp_lt_u32 s8, 2
	s_cselect_b32 s5, s5, 1
	s_sub_i32 s28, s5, s8
	s_cmp_ge_u32 s5, s8
	s_cselect_b32 s43, s28, s5
	s_lshr_b32 s5, s9, 31
	s_mul_i32 s5, s5, s8
	s_sub_i32 s5, 2, s5
	s_sub_i32 s9, s5, s8
	s_cmp_ge_u32 s5, s8
	s_cselect_b32 s5, s9, s5
	v_lshlrev_b32_e32 v83, 3, v0
	v_cmp_eq_u32_e64 s[0:1], 31, v0
	s_sub_i32 s9, s5, s8
	v_lshlrev_b32_e32 v0, 4, v0
	s_cmp_ge_u32 s5, s8
	v_lshl_add_u32 v85, v1, 9, v0
	v_cndmask_b32_e64 v0, 0, 1, s[2:3]
	v_mul_hi_u32 v4, v2, v4
	s_cselect_b32 s44, s9, s5
	v_lshl_add_u32 v86, v1, 8, v83
	v_cmp_ne_u32_e64 s[2:3], 1, v0
	v_cndmask_b32_e64 v0, 0, 1, s[6:7]
	s_mov_b64 s[24:25], 0
	v_add_u32_e32 v84, v2, v4
	v_mov_b32_e32 v79, 0
	s_mul_i32 s43, s43, s12
	s_mul_i32 s44, s44, s12
	s_lshl_b32 s45, s38, 2
	s_lshl_b32 s46, s4, 9
	;; [unrolled: 1-line block ×3, first 2 shown]
	v_lshl_add_u32 v87, s22, 1, v86
	v_add_u32_e32 v88, s22, v86
	v_cmp_ne_u32_e64 s[4:5], 1, v0
	s_mov_b32 s48, 0x7f800000
	s_movk_i32 s49, 0x7fff
	s_branch .LBB220_7
.LBB220_5:                              ;   in Loop: Header=BB220_7 Depth=1
	s_or_b64 exec, exec, s[6:7]
.LBB220_6:                              ;   in Loop: Header=BB220_7 Depth=1
	s_or_b64 exec, exec, s[8:9]
	v_cmp_le_u32_e32 vcc, s33, v12
	s_or_b64 s[24:25], vcc, s[24:25]
	v_mov_b32_e32 v76, v12
	s_andn2_b64 exec, exec, s[24:25]
	s_cbranch_execz .LBB220_50
.LBB220_7:                              ; =>This Loop Header: Depth=1
                                        ;     Child Loop BB220_14 Depth 2
                                        ;       Child Loop BB220_19 Depth 3
	s_and_b64 vcc, exec, s[2:3]
	s_waitcnt vmcnt(0)
	v_mov_b32_e32 v3, v79
	v_mov_b32_e32 v2, v79
	;; [unrolled: 1-line block ×12, first 2 shown]
	s_cbranch_vccnz .LBB220_28
; %bb.8:                                ;   in Loop: Header=BB220_7 Depth=1
	v_min_u32_e32 v0, s41, v76
	v_mul_lo_u32 v78, v0, s21
	v_mov_b32_e32 v8, 0
	v_cmp_gt_u32_e64 s[6:7], s23, v76
	v_lshl_add_u64 v[80:81], v[78:79], 1, s[14:15]
	s_mov_b32 s50, 0
	s_mov_b32 s51, 0
	v_mov_b32_e32 v9, v8
	v_mov_b32_e32 v10, v8
	;; [unrolled: 1-line block ×11, first 2 shown]
	s_branch .LBB220_14
.LBB220_9:                              ;   in Loop: Header=BB220_14 Depth=2
	s_or_b64 exec, exec, s[36:37]
.LBB220_10:                             ;   in Loop: Header=BB220_14 Depth=2
	s_or_b64 exec, exec, s[34:35]
.LBB220_11:                             ;   in Loop: Header=BB220_14 Depth=2
	s_or_b64 exec, exec, s[30:31]
.LBB220_12:                             ;   in Loop: Header=BB220_14 Depth=2
	s_or_b64 exec, exec, s[28:29]
	s_waitcnt vmcnt(3) lgkmcnt(0)
	v_mfma_f32_4x4x4_16b_bf16 v[8:11], v[72:73], v[24:25], v[8:11]
	v_mfma_f32_4x4x4_16b_bf16 v[4:7], v[40:41], v[24:25], v[4:7]
	v_mfma_f32_4x4x4_16b_bf16 v[0:3], v[32:33], v[24:25], v[0:3]
	v_mfma_f32_4x4x4_16b_bf16 v[8:11], v[74:75], v[26:27], v[8:11]
	v_mfma_f32_4x4x4_16b_bf16 v[4:7], v[42:43], v[26:27], v[4:7]
	v_mfma_f32_4x4x4_16b_bf16 v[0:3], v[34:35], v[26:27], v[0:3]
	s_waitcnt vmcnt(2)
	v_mfma_f32_4x4x4_16b_bf16 v[8:11], v[60:61], v[16:17], v[8:11]
	v_mfma_f32_4x4x4_16b_bf16 v[4:7], v[52:53], v[16:17], v[4:7]
	v_mfma_f32_4x4x4_16b_bf16 v[0:3], v[36:37], v[16:17], v[0:3]
	v_mfma_f32_4x4x4_16b_bf16 v[8:11], v[62:63], v[18:19], v[8:11]
	v_mfma_f32_4x4x4_16b_bf16 v[4:7], v[54:55], v[18:19], v[4:7]
	v_mfma_f32_4x4x4_16b_bf16 v[0:3], v[38:39], v[18:19], v[0:3]
	s_waitcnt vmcnt(1)
	v_mfma_f32_4x4x4_16b_bf16 v[8:11], v[48:49], v[20:21], v[8:11]
	v_mfma_f32_4x4x4_16b_bf16 v[4:7], v[56:57], v[20:21], v[4:7]
	v_mfma_f32_4x4x4_16b_bf16 v[0:3], v[64:65], v[20:21], v[0:3]
	v_mfma_f32_4x4x4_16b_bf16 v[8:11], v[50:51], v[22:23], v[8:11]
	v_mfma_f32_4x4x4_16b_bf16 v[4:7], v[58:59], v[22:23], v[4:7]
	v_mfma_f32_4x4x4_16b_bf16 v[0:3], v[66:67], v[22:23], v[0:3]
	s_waitcnt vmcnt(0)
	v_mfma_f32_4x4x4_16b_bf16 v[8:11], v[44:45], v[12:13], v[8:11]
	v_mfma_f32_4x4x4_16b_bf16 v[4:7], v[68:69], v[12:13], v[4:7]
	;; [unrolled: 1-line block ×6, first 2 shown]
.LBB220_13:                             ;   in Loop: Header=BB220_14 Depth=2
	s_or_b64 exec, exec, s[8:9]
	s_addk_i32 s51, 0x400
	s_cmp_ge_u32 s51, s20
	s_cbranch_scc1 .LBB220_28
.LBB220_14:                             ;   Parent Loop BB220_7 Depth=1
                                        ; =>  This Loop Header: Depth=2
                                        ;       Child Loop BB220_19 Depth 3
	s_cmp_eq_u32 s51, 0
	s_cselect_b64 s[8:9], -1, 0
	s_add_i32 s28, s50, s38
	s_cmp_eq_u32 s51, s28
	s_cselect_b64 s[30:31], -1, 0
	s_or_b64 s[30:31], s[8:9], s[30:31]
	s_andn2_b64 vcc, exec, s[30:31]
	s_cbranch_vccz .LBB220_16
; %bb.15:                               ;   in Loop: Header=BB220_14 Depth=2
	s_and_saveexec_b64 s[8:9], s[6:7]
	s_cbranch_execz .LBB220_13
	s_branch .LBB220_23
.LBB220_16:                             ;   in Loop: Header=BB220_14 Depth=2
	s_and_b64 s[8:9], s[8:9], exec
	s_cselect_b32 s50, s50, s28
	s_and_b64 vcc, exec, s[4:5]
	s_waitcnt lgkmcnt(0)
	s_barrier
	s_cbranch_vccnz .LBB220_22
; %bb.17:                               ;   in Loop: Header=BB220_14 Depth=2
	v_add_u32_e32 v12, s50, v87
	v_add_u32_e32 v13, s50, v88
	;; [unrolled: 1-line block ×3, first 2 shown]
	s_mov_b32 s34, 0
	s_mov_b64 s[28:29], 0
	v_mov_b32_e32 v15, v85
                                        ; implicit-def: $sgpr30_sgpr31
	s_branch .LBB220_19
.LBB220_18:                             ;   in Loop: Header=BB220_19 Depth=3
	s_or_b64 exec, exec, s[8:9]
	s_and_b64 s[8:9], exec, s[30:31]
	s_or_b64 s[28:29], s[8:9], s[28:29]
	s_andn2_b64 exec, exec, s[28:29]
	s_cbranch_execz .LBB220_21
.LBB220_19:                             ;   Parent Loop BB220_7 Depth=1
                                        ;     Parent Loop BB220_14 Depth=2
                                        ; =>    This Inner Loop Header: Depth=3
	v_add_u32_e32 v16, s34, v86
	v_add_u32_e32 v78, s34, v14
	v_cmp_gt_u32_e32 vcc, s22, v78
	v_cmp_gt_u32_e64 s[8:9], s38, v16
	s_and_b64 s[36:37], s[8:9], vcc
	s_or_b64 s[30:31], s[30:31], exec
	s_and_saveexec_b64 s[8:9], s[36:37]
	s_cbranch_execz .LBB220_18
; %bb.20:                               ;   in Loop: Header=BB220_19 Depth=3
	v_lshl_add_u64 v[24:25], v[78:79], 1, s[16:17]
	v_add_u32_e32 v78, s34, v13
	v_lshl_add_u64 v[26:27], v[78:79], 1, s[16:17]
	v_add_u32_e32 v78, s34, v12
	global_load_dwordx4 v[16:19], v[24:25], off
	global_load_dwordx4 v[20:23], v[26:27], off
	v_lshl_add_u64 v[24:25], v[78:79], 1, s[16:17]
	global_load_dwordx4 v[24:27], v[24:25], off
	s_add_i32 s34, s34, s39
	s_cmp_ge_u32 s34, s38
	s_cselect_b64 s[36:37], -1, 0
	s_andn2_b64 s[30:31], s[30:31], exec
	s_and_b64 s[36:37], s[36:37], exec
	v_add_u32_e32 v28, s47, v15
	v_add_u32_e32 v29, s45, v15
	s_or_b64 s[30:31], s[30:31], s[36:37]
	s_waitcnt vmcnt(2)
	ds_write_b128 v15, v[16:19]
	v_add_u32_e32 v15, s46, v15
	s_waitcnt vmcnt(1)
	ds_write2_b64 v28, v[20:21], v[22:23] offset1:1
	s_waitcnt vmcnt(0)
	ds_write2_b32 v29, v24, v25 offset1:1
	ds_write2_b32 v29, v26, v27 offset0:2 offset1:3
	s_branch .LBB220_18
.LBB220_21:                             ;   in Loop: Header=BB220_14 Depth=2
	s_or_b64 exec, exec, s[28:29]
.LBB220_22:                             ;   in Loop: Header=BB220_14 Depth=2
	s_waitcnt lgkmcnt(0)
	s_barrier
	s_and_saveexec_b64 s[8:9], s[6:7]
	s_cbranch_execz .LBB220_13
.LBB220_23:                             ;   in Loop: Header=BB220_14 Depth=2
	v_add_u32_e32 v90, s51, v83
	v_min_u32_e32 v78, s40, v90
	v_add_u32_e32 v92, 0x100, v90
	v_lshl_add_u64 v[12:13], v[78:79], 1, v[80:81]
	v_min_u32_e32 v78, s40, v92
	v_add_u32_e32 v89, 0x200, v90
	v_lshl_add_u64 v[14:15], v[78:79], 1, v[80:81]
	;; [unrolled: 3-line block ×3, first 2 shown]
	v_min_u32_e32 v78, s40, v77
	global_load_dwordx4 v[24:27], v[12:13], off nt
	global_load_dwordx4 v[16:19], v[14:15], off nt
	v_lshl_add_u64 v[30:31], v[78:79], 1, v[80:81]
	global_load_dwordx4 v[20:23], v[28:29], off nt
	global_load_dwordx4 v[12:15], v[30:31], off nt
	v_cmp_gt_u32_e32 vcc, s20, v90
	v_mov_b32_e32 v28, 0
	v_mov_b32_e32 v29, 0
	;; [unrolled: 1-line block ×48, first 2 shown]
	s_and_saveexec_b64 s[28:29], vcc
	s_cbranch_execz .LBB220_12
; %bb.24:                               ;   in Loop: Header=BB220_14 Depth=2
	v_subrev_u32_e32 v28, s50, v90
	v_lshlrev_b32_e32 v91, 1, v28
	v_add_u32_e32 v90, s47, v91
	v_add_u32_e32 v78, s47, v90
	ds_read_b128 v[72:75], v91
	ds_read_b128 v[40:43], v90
	;; [unrolled: 1-line block ×3, first 2 shown]
	v_cmp_gt_u32_e32 vcc, s20, v92
	v_mov_b32_e32 v31, 0
	v_mov_b32_e32 v30, 0
	;; [unrolled: 1-line block ×36, first 2 shown]
	s_and_saveexec_b64 s[30:31], vcc
	s_cbranch_execz .LBB220_11
; %bb.25:                               ;   in Loop: Header=BB220_14 Depth=2
	ds_read_b128 v[60:63], v91 offset:512
	ds_read_b128 v[52:55], v90 offset:512
	;; [unrolled: 1-line block ×3, first 2 shown]
	v_cmp_gt_u32_e32 vcc, s20, v89
	v_mov_b32_e32 v31, 0
	v_mov_b32_e32 v30, 0
	;; [unrolled: 1-line block ×24, first 2 shown]
	s_and_saveexec_b64 s[34:35], vcc
	s_cbranch_execz .LBB220_10
; %bb.26:                               ;   in Loop: Header=BB220_14 Depth=2
	ds_read_b128 v[48:51], v91 offset:1024
	ds_read_b128 v[56:59], v90 offset:1024
	;; [unrolled: 1-line block ×3, first 2 shown]
	v_cmp_gt_u32_e32 vcc, s20, v77
	v_mov_b32_e32 v31, 0
	v_mov_b32_e32 v30, 0
	v_mov_b32_e32 v45, 0
	v_mov_b32_e32 v44, 0
	v_mov_b32_e32 v47, 0
	v_mov_b32_e32 v46, 0
	v_mov_b32_e32 v69, 0
	v_mov_b32_e32 v68, 0
	v_mov_b32_e32 v71, 0
	v_mov_b32_e32 v70, 0
	v_mov_b32_e32 v29, 0
	v_mov_b32_e32 v28, 0
	s_and_saveexec_b64 s[36:37], vcc
	s_cbranch_execz .LBB220_9
; %bb.27:                               ;   in Loop: Header=BB220_14 Depth=2
	ds_read_b128 v[44:47], v91 offset:1536
	ds_read_b128 v[68:71], v90 offset:1536
	;; [unrolled: 1-line block ×3, first 2 shown]
	s_branch .LBB220_9
.LBB220_28:                             ;   in Loop: Header=BB220_7 Depth=1
	v_cmp_le_u32_e32 vcc, s23, v76
                                        ; implicit-def: $vgpr12
	s_and_saveexec_b64 s[6:7], vcc
	s_xor_b64 s[6:7], exec, s[6:7]
; %bb.29:                               ;   in Loop: Header=BB220_7 Depth=1
	v_add_u32_e32 v12, s42, v76
                                        ; implicit-def: $vgpr76
                                        ; implicit-def: $vgpr3
                                        ; implicit-def: $vgpr7
                                        ; implicit-def: $vgpr11
; %bb.30:                               ;   in Loop: Header=BB220_7 Depth=1
	s_andn2_saveexec_b64 s[8:9], s[6:7]
	s_cbranch_execz .LBB220_6
; %bb.31:                               ;   in Loop: Header=BB220_7 Depth=1
	v_cvt_i32_f32_e32 v9, v9
	v_cvt_i32_f32_e32 v10, v10
	;; [unrolled: 1-line block ×4, first 2 shown]
	v_cvt_f32_i32_dpp v9, v9 row_shl:1 row_mask:0xf bank_mask:0xf bound_ctrl:1
	v_cvt_i32_f32_e32 v1, v1
	v_cvt_f32_i32_dpp v10, v10 row_shl:2 row_mask:0xf bank_mask:0xf bound_ctrl:1
	v_cvt_i32_f32_e32 v6, v6
	v_cvt_i32_f32_e32 v2, v2
	v_cvt_f32_i32_dpp v11, v11 row_shl:3 row_mask:0xf bank_mask:0xf bound_ctrl:1
	v_cvt_i32_f32_e32 v7, v7
	v_cvt_i32_f32_e32 v3, v3
	v_add_f32_e32 v8, v8, v9
	v_cvt_f32_i32_dpp v5, v5 row_shl:1 row_mask:0xf bank_mask:0xf bound_ctrl:1
	v_cvt_f32_i32_dpp v1, v1 row_shl:1 row_mask:0xf bank_mask:0xf bound_ctrl:1
	v_add_f32_e32 v8, v8, v10
	v_cvt_f32_i32_dpp v6, v6 row_shl:2 row_mask:0xf bank_mask:0xf bound_ctrl:1
	v_cvt_f32_i32_dpp v2, v2 row_shl:2 row_mask:0xf bank_mask:0xf bound_ctrl:1
	;; [unrolled: 3-line block ×3, first 2 shown]
	v_cvt_i32_f32_e32 v9, v8
	v_add_f32_e32 v4, v4, v5
	v_add_f32_e32 v0, v0, v1
	;; [unrolled: 1-line block ×6, first 2 shown]
	v_cvt_f32_i32_dpp v9, v9 row_shl:4 row_mask:0xf bank_mask:0xf bound_ctrl:1
	v_cvt_i32_f32_e32 v7, v4
	v_cvt_i32_f32_e32 v1, v0
	v_add_f32_e32 v5, v8, v9
	v_cvt_f32_i32_dpp v3, v7 row_shl:4 row_mask:0xf bank_mask:0xf bound_ctrl:1
	v_cvt_f32_i32_dpp v1, v1 row_shl:4 row_mask:0xf bank_mask:0xf bound_ctrl:1
	v_cvt_i32_f32_e32 v6, v5
	v_add_f32_e32 v3, v4, v3
	v_add_f32_e32 v0, v0, v1
	v_cvt_f32_i32_dpp v2, v6 row_shl:8 row_mask:0xf bank_mask:0xf bound_ctrl:1
	v_cvt_i32_f32_e32 v4, v3
	v_cvt_i32_f32_e32 v1, v0
	v_add_f32_e32 v2, v5, v2
	v_cvt_f32_i32_dpp v4, v4 row_shl:8 row_mask:0xf bank_mask:0xf bound_ctrl:1
	v_cvt_f32_i32_dpp v1, v1 row_shl:8 row_mask:0xf bank_mask:0xf bound_ctrl:1
	v_cvt_i32_f32_e32 v2, v2
	v_add_f32_e32 v3, v3, v4
	v_add_f32_e32 v0, v0, v1
	v_cvt_f32_i32_dpp v2, v2 row_shr:15 row_mask:0xf bank_mask:0xf bound_ctrl:1
	v_cvt_i32_f32_e32 v3, v3
	v_cvt_i32_f32_e32 v0, v0
	s_nop 0
	v_cvt_f32_i32_dpp v1, v3 row_shr:15 row_mask:0xf bank_mask:0xf bound_ctrl:1
	v_cvt_i32_f32_e32 v3, v2
	v_cvt_f32_i32_dpp v0, v0 row_shr:15 row_mask:0xf bank_mask:0xf bound_ctrl:1
	v_cvt_i32_f32_e32 v4, v1
	v_cvt_f32_i32_dpp v3, v3 row_bcast:15 row_mask:0xf bank_mask:0xf bound_ctrl:1
	v_cvt_i32_f32_e32 v6, v0
	v_cvt_f32_i32_dpp v4, v4 row_bcast:15 row_mask:0xf bank_mask:0xf bound_ctrl:1
	v_add_f32_e32 v5, v2, v3
	v_cvt_f32_i32_dpp v3, v6 row_bcast:15 row_mask:0xf bank_mask:0xf bound_ctrl:1
	v_cvt_i32_f32_e32 v6, v5
	v_add_f32_e32 v2, v1, v4
	v_cvt_i32_f32_e32 v1, v2
	v_add_f32_e32 v0, v0, v3
	v_cvt_i32_f32_e32 v3, v0
	v_mov_b32_dpp v7, v6 row_bcast:31 row_mask:0xf bank_mask:0xf bound_ctrl:1
	v_mov_b32_dpp v4, v1 row_bcast:31 row_mask:0xf bank_mask:0xf bound_ctrl:1
	;; [unrolled: 1-line block ×3, first 2 shown]
	s_and_saveexec_b64 s[6:7], s[0:1]
	s_cbranch_execz .LBB220_48
; %bb.32:                               ;   in Loop: Header=BB220_7 Depth=1
	s_andn2_b64 vcc, exec, s[26:27]
	v_mov_b32_e32 v8, 0
	v_mov_b32_e32 v6, 0
	;; [unrolled: 1-line block ×3, first 2 shown]
	s_cbranch_vccnz .LBB220_34
; %bb.33:                               ;   in Loop: Header=BB220_7 Depth=1
	v_mul_hi_u32 v3, v76, v84
	v_mul_lo_u32 v3, v3, s12
	v_sub_u32_e32 v3, v76, v3
	v_subrev_u32_e32 v6, s12, v3
	v_cmp_le_u32_e32 vcc, s12, v3
	v_mov_b32_e32 v9, v79
	s_nop 0
	v_cndmask_b32_e32 v3, v3, v6, vcc
	v_subrev_u32_e32 v6, s12, v3
	v_cmp_le_u32_e32 vcc, s12, v3
	s_nop 1
	v_cndmask_b32_e32 v78, v3, v6, vcc
	v_lshl_add_u64 v[10:11], v[78:79], 1, s[18:19]
	v_add_u32_e32 v8, s43, v78
	v_add_u32_e32 v78, s44, v78
	v_lshl_add_u64 v[12:13], v[8:9], 1, s[18:19]
	v_lshl_add_u64 v[14:15], v[78:79], 1, s[18:19]
	global_load_ushort v8, v[10:11], off
	global_load_ushort v6, v[12:13], off
	;; [unrolled: 1-line block ×3, first 2 shown]
.LBB220_34:                             ;   in Loop: Header=BB220_7 Depth=1
	v_cmp_ne_u32_e32 vcc, 0, v82
	s_and_b64 exec, exec, vcc
	s_cbranch_execz .LBB220_48
; %bb.35:                               ;   in Loop: Header=BB220_7 Depth=1
	v_cvt_f32_i32_e32 v7, v7
	v_add_f32_e32 v5, v5, v7
	s_waitcnt vmcnt(2)
	v_lshlrev_b32_e32 v7, 16, v8
	v_add_f32_e32 v7, v5, v7
	v_and_b32_e32 v5, 0x7f800000, v7
	v_cmp_ne_u32_e32 vcc, s48, v5
                                        ; implicit-def: $vgpr5
	s_and_saveexec_b64 s[28:29], vcc
	s_xor_b64 s[28:29], exec, s[28:29]
; %bb.36:                               ;   in Loop: Header=BB220_7 Depth=1
	v_bfe_u32 v5, v7, 16, 1
	v_add3_u32 v5, v7, v5, s49
                                        ; implicit-def: $vgpr7
; %bb.37:                               ;   in Loop: Header=BB220_7 Depth=1
	s_andn2_saveexec_b64 s[28:29], s[28:29]
; %bb.38:                               ;   in Loop: Header=BB220_7 Depth=1
	v_or_b32_e32 v5, 0x10000, v7
	v_cmp_eq_u32_sdwa vcc, v7, v79 src0_sel:WORD_0 src1_sel:DWORD
	s_nop 1
	v_cndmask_b32_e32 v5, v5, v7, vcc
; %bb.39:                               ;   in Loop: Header=BB220_7 Depth=1
	s_or_b64 exec, exec, s[28:29]
	v_cvt_f32_i32_e32 v4, v4
	v_mov_b32_e32 v77, v79
	s_waitcnt lgkmcnt(0)
	v_lshl_add_u64 v[8:9], v[76:77], 1, s[10:11]
	global_store_short_d16_hi v[8:9], v5, off
	v_add_f32_e32 v2, v2, v4
	s_waitcnt vmcnt(2)
	v_lshlrev_b32_e32 v4, 16, v6
	v_add_f32_e32 v4, v2, v4
	v_and_b32_e32 v2, 0x7f800000, v4
	v_cmp_ne_u32_e32 vcc, s48, v2
                                        ; implicit-def: $vgpr2
	s_and_saveexec_b64 s[28:29], vcc
	s_xor_b64 s[28:29], exec, s[28:29]
; %bb.40:                               ;   in Loop: Header=BB220_7 Depth=1
	v_bfe_u32 v2, v4, 16, 1
	v_add3_u32 v2, v4, v2, s49
                                        ; implicit-def: $vgpr4
; %bb.41:                               ;   in Loop: Header=BB220_7 Depth=1
	s_andn2_saveexec_b64 s[28:29], s[28:29]
; %bb.42:                               ;   in Loop: Header=BB220_7 Depth=1
	v_or_b32_e32 v2, 0x10000, v4
	v_cmp_eq_u32_sdwa vcc, v4, v79 src0_sel:WORD_0 src1_sel:DWORD
	s_nop 1
	v_cndmask_b32_e32 v2, v2, v4, vcc
; %bb.43:                               ;   in Loop: Header=BB220_7 Depth=1
	s_or_b64 exec, exec, s[28:29]
	v_cvt_f32_i32_e32 v1, v1
	v_add_u32_e32 v78, s23, v76
	v_lshl_add_u64 v[4:5], v[78:79], 1, s[10:11]
	global_store_short_d16_hi v[4:5], v2, off
	v_add_f32_e32 v0, v0, v1
	s_waitcnt vmcnt(2)
	v_lshlrev_b32_e32 v1, 16, v3
	v_add_f32_e32 v1, v0, v1
	v_and_b32_e32 v0, 0x7f800000, v1
	v_cmp_ne_u32_e32 vcc, s48, v0
                                        ; implicit-def: $vgpr0
	s_and_saveexec_b64 s[28:29], vcc
	s_xor_b64 s[28:29], exec, s[28:29]
; %bb.44:                               ;   in Loop: Header=BB220_7 Depth=1
	v_bfe_u32 v0, v1, 16, 1
	v_add3_u32 v0, v1, v0, s49
                                        ; implicit-def: $vgpr1
; %bb.45:                               ;   in Loop: Header=BB220_7 Depth=1
	s_andn2_saveexec_b64 s[28:29], s[28:29]
; %bb.46:                               ;   in Loop: Header=BB220_7 Depth=1
	v_or_b32_e32 v0, 0x10000, v1
	v_cmp_eq_u32_sdwa vcc, v1, v79 src0_sel:WORD_0 src1_sel:DWORD
	s_nop 1
	v_cndmask_b32_e32 v0, v0, v1, vcc
; %bb.47:                               ;   in Loop: Header=BB220_7 Depth=1
	s_or_b64 exec, exec, s[28:29]
	v_add_u32_e32 v78, s23, v78
	v_lshl_add_u64 v[2:3], v[78:79], 1, s[10:11]
	global_store_short_d16_hi v[2:3], v0, off
.LBB220_48:                             ;   in Loop: Header=BB220_7 Depth=1
	s_or_b64 exec, exec, s[6:7]
	v_add_u32_e32 v12, s42, v76
	v_add_u32_e32 v0, 1, v12
	v_cmp_gt_u32_e32 vcc, s23, v12
	v_cmp_le_u32_e64 s[6:7], s23, v0
	s_and_b64 s[28:29], vcc, s[6:7]
	s_and_saveexec_b64 s[6:7], s[28:29]
	s_cbranch_execz .LBB220_5
; %bb.49:                               ;   in Loop: Header=BB220_7 Depth=1
	v_add_u32_e32 v0, s13, v76
	v_cmp_eq_u32_e32 vcc, 1, v0
	v_mov_b32_e32 v12, s41
	s_nop 0
	v_cndmask_b32_e32 v82, 0, v82, vcc
	s_branch .LBB220_5
.LBB220_50:
	s_endpgm
	.section	.rodata,"a",@progbits
	.p2align	6, 0x0
	.amdhsa_kernel _Z16wvSplitK_hf_big_I14__hip_bfloat16Li32ELi1ELi16ELi8ELi4ELi3EEviiiiiiPKT_S3_S3_PS1_ii
		.amdhsa_group_segment_fixed_size 65536
		.amdhsa_private_segment_fixed_size 0
		.amdhsa_kernarg_size 64
		.amdhsa_user_sgpr_count 2
		.amdhsa_user_sgpr_dispatch_ptr 0
		.amdhsa_user_sgpr_queue_ptr 0
		.amdhsa_user_sgpr_kernarg_segment_ptr 1
		.amdhsa_user_sgpr_dispatch_id 0
		.amdhsa_user_sgpr_kernarg_preload_length 0
		.amdhsa_user_sgpr_kernarg_preload_offset 0
		.amdhsa_user_sgpr_private_segment_size 0
		.amdhsa_uses_dynamic_stack 0
		.amdhsa_enable_private_segment 0
		.amdhsa_system_sgpr_workgroup_id_x 1
		.amdhsa_system_sgpr_workgroup_id_y 0
		.amdhsa_system_sgpr_workgroup_id_z 0
		.amdhsa_system_sgpr_workgroup_info 0
		.amdhsa_system_vgpr_workitem_id 1
		.amdhsa_next_free_vgpr 93
		.amdhsa_next_free_sgpr 52
		.amdhsa_accum_offset 96
		.amdhsa_reserve_vcc 1
		.amdhsa_float_round_mode_32 0
		.amdhsa_float_round_mode_16_64 0
		.amdhsa_float_denorm_mode_32 3
		.amdhsa_float_denorm_mode_16_64 3
		.amdhsa_dx10_clamp 1
		.amdhsa_ieee_mode 1
		.amdhsa_fp16_overflow 0
		.amdhsa_tg_split 0
		.amdhsa_exception_fp_ieee_invalid_op 0
		.amdhsa_exception_fp_denorm_src 0
		.amdhsa_exception_fp_ieee_div_zero 0
		.amdhsa_exception_fp_ieee_overflow 0
		.amdhsa_exception_fp_ieee_underflow 0
		.amdhsa_exception_fp_ieee_inexact 0
		.amdhsa_exception_int_div_zero 0
	.end_amdhsa_kernel
	.section	.text._Z16wvSplitK_hf_big_I14__hip_bfloat16Li32ELi1ELi16ELi8ELi4ELi3EEviiiiiiPKT_S3_S3_PS1_ii,"axG",@progbits,_Z16wvSplitK_hf_big_I14__hip_bfloat16Li32ELi1ELi16ELi8ELi4ELi3EEviiiiiiPKT_S3_S3_PS1_ii,comdat
.Lfunc_end220:
	.size	_Z16wvSplitK_hf_big_I14__hip_bfloat16Li32ELi1ELi16ELi8ELi4ELi3EEviiiiiiPKT_S3_S3_PS1_ii, .Lfunc_end220-_Z16wvSplitK_hf_big_I14__hip_bfloat16Li32ELi1ELi16ELi8ELi4ELi3EEviiiiiiPKT_S3_S3_PS1_ii
                                        ; -- End function
	.section	.AMDGPU.csdata,"",@progbits
; Kernel info:
; codeLenInByte = 3004
; NumSgprs: 58
; NumVgprs: 93
; NumAgprs: 0
; TotalNumVgprs: 93
; ScratchSize: 0
; MemoryBound: 0
; FloatMode: 240
; IeeeMode: 1
; LDSByteSize: 65536 bytes/workgroup (compile time only)
; SGPRBlocks: 7
; VGPRBlocks: 11
; NumSGPRsForWavesPerEU: 58
; NumVGPRsForWavesPerEU: 93
; AccumOffset: 96
; Occupancy: 2
; WaveLimiterHint : 0
; COMPUTE_PGM_RSRC2:SCRATCH_EN: 0
; COMPUTE_PGM_RSRC2:USER_SGPR: 2
; COMPUTE_PGM_RSRC2:TRAP_HANDLER: 0
; COMPUTE_PGM_RSRC2:TGID_X_EN: 1
; COMPUTE_PGM_RSRC2:TGID_Y_EN: 0
; COMPUTE_PGM_RSRC2:TGID_Z_EN: 0
; COMPUTE_PGM_RSRC2:TIDIG_COMP_CNT: 1
; COMPUTE_PGM_RSRC3_GFX90A:ACCUM_OFFSET: 23
; COMPUTE_PGM_RSRC3_GFX90A:TG_SPLIT: 0
	.section	.text._Z16wvSplitK_hf_sml_I14__hip_bfloat16Li32ELi2ELi16ELi8ELi2ELi3EEviiiiiiPKT_S3_S3_PS1_ii,"axG",@progbits,_Z16wvSplitK_hf_sml_I14__hip_bfloat16Li32ELi2ELi16ELi8ELi2ELi3EEviiiiiiPKT_S3_S3_PS1_ii,comdat
	.protected	_Z16wvSplitK_hf_sml_I14__hip_bfloat16Li32ELi2ELi16ELi8ELi2ELi3EEviiiiiiPKT_S3_S3_PS1_ii ; -- Begin function _Z16wvSplitK_hf_sml_I14__hip_bfloat16Li32ELi2ELi16ELi8ELi2ELi3EEviiiiiiPKT_S3_S3_PS1_ii
	.globl	_Z16wvSplitK_hf_sml_I14__hip_bfloat16Li32ELi2ELi16ELi8ELi2ELi3EEviiiiiiPKT_S3_S3_PS1_ii
	.p2align	8
	.type	_Z16wvSplitK_hf_sml_I14__hip_bfloat16Li32ELi2ELi16ELi8ELi2ELi3EEviiiiiiPKT_S3_S3_PS1_ii,@function
_Z16wvSplitK_hf_sml_I14__hip_bfloat16Li32ELi2ELi16ELi8ELi2ELi3EEviiiiiiPKT_S3_S3_PS1_ii: ; @_Z16wvSplitK_hf_sml_I14__hip_bfloat16Li32ELi2ELi16ELi8ELi2ELi3EEviiiiiiPKT_S3_S3_PS1_ii
; %bb.0:
	s_load_dwordx4 s[4:7], s[0:1], 0x0
	v_and_b32_e32 v4, 0x3ff, v0
	v_bfe_u32 v5, v0, 10, 10
	v_lshlrev_b32_e32 v72, 3, v4
	v_lshl_add_u32 v6, v5, 8, v72
	s_waitcnt lgkmcnt(0)
	s_mul_i32 s3, s6, 3
	s_min_u32 s3, s3, 0x8000
	v_cmp_gt_u32_e32 vcc, s3, v6
	s_and_saveexec_b64 s[8:9], vcc
	s_cbranch_execz .LBB221_9
; %bb.1:
	s_load_dwordx2 s[10:11], s[0:1], 0x20
	v_lshlrev_b32_e32 v0, 1, v6
	v_add_u32_e32 v1, 0x1000, v6
	v_cmp_gt_u32_e32 vcc, s3, v1
	s_waitcnt lgkmcnt(0)
	global_load_dwordx4 v[8:11], v0, s[10:11]
	s_waitcnt vmcnt(0)
	ds_write_b128 v0, v[8:11]
	s_and_saveexec_b64 s[12:13], vcc
	s_xor_b64 s[12:13], exec, s[12:13]
	s_cbranch_execz .LBB221_9
; %bb.2:
	v_mov_b32_e32 v1, 0
	v_lshl_add_u64 v[2:3], s[10:11], 0, v[0:1]
	v_add_co_u32_e32 v8, vcc, 0x2000, v2
	v_add_u32_e32 v1, 0x2000, v6
	s_nop 0
	v_addc_co_u32_e32 v9, vcc, 0, v3, vcc
	global_load_dwordx4 v[8:11], v[8:9], off
	v_cmp_gt_u32_e32 vcc, s3, v1
	s_waitcnt vmcnt(0)
	ds_write_b128 v0, v[8:11] offset:8192
	s_and_saveexec_b64 s[10:11], vcc
	s_xor_b64 s[10:11], exec, s[10:11]
	s_cbranch_execz .LBB221_9
; %bb.3:
	v_add_co_u32_e32 v8, vcc, 0x4000, v2
	v_add_u32_e32 v1, 0x3000, v6
	s_nop 0
	v_addc_co_u32_e32 v9, vcc, 0, v3, vcc
	global_load_dwordx4 v[8:11], v[8:9], off
	v_cmp_gt_u32_e32 vcc, s3, v1
	s_waitcnt vmcnt(0)
	ds_write_b128 v0, v[8:11] offset:16384
	s_and_saveexec_b64 s[10:11], vcc
	s_xor_b64 s[10:11], exec, s[10:11]
	s_cbranch_execz .LBB221_9
; %bb.4:
	;; [unrolled: 12-line block ×6, first 2 shown]
	v_add_co_u32_e32 v2, vcc, 0xe000, v2
	s_nop 1
	v_addc_co_u32_e32 v3, vcc, 0, v3, vcc
	global_load_dwordx4 v[6:9], v[2:3], off
	s_waitcnt vmcnt(0)
	ds_write_b128 v0, v[6:9] offset:57344
.LBB221_9:
	s_or_b64 exec, exec, s[8:9]
	s_load_dwordx2 s[16:17], s[0:1], 0x38
	s_waitcnt lgkmcnt(0)
	s_barrier
	v_cmp_gt_u32_e32 vcc, s16, v5
	s_and_saveexec_b64 s[8:9], vcc
	s_cbranch_execz .LBB221_48
; %bb.10:
	s_load_dwordx2 s[12:13], s[0:1], 0x10
	s_mul_i32 s2, s2, s16
	v_add_lshl_u32 v56, s2, v5, 1
	v_cmp_gt_u32_e32 vcc, s7, v56
	s_and_b64 exec, exec, vcc
	s_cbranch_execz .LBB221_48
; %bb.11:
	s_load_dwordx4 s[8:11], s[0:1], 0x28
	s_load_dwordx2 s[14:15], s[0:1], 0x18
	s_cmp_lg_u32 s4, 0
	s_cselect_b64 s[2:3], -1, 0
	s_add_i32 s24, s4, -8
	s_add_i32 s25, s7, -1
	s_waitcnt lgkmcnt(0)
	s_cmp_lg_u64 s[8:9], 0
	s_cselect_b64 s[18:19], -1, 0
	s_abs_i32 s21, s13
	v_cvt_f32_u32_e32 v0, s12
	v_cvt_f32_u32_e32 v1, s21
	s_mul_i32 s20, s16, s17
	s_lshl_b32 s13, s20, 1
	v_rcp_iflag_f32_e32 v0, v0
	v_rcp_iflag_f32_e32 v1, v1
	s_sub_i32 s20, 0, s12
	v_cmp_eq_u32_e64 s[0:1], 31, v4
	v_mul_f32_e32 v0, 0x4f7ffffe, v0
	v_mul_f32_e32 v1, 0x4f7ffffe, v1
	v_cvt_u32_f32_e32 v0, v0
	v_cvt_u32_f32_e32 v1, v1
	s_mov_b64 s[16:17], 0
	v_mov_b32_e32 v59, 0
	v_mul_lo_u32 v2, s20, v0
	s_sub_i32 s20, 0, s21
	v_readfirstlane_b32 s22, v1
	s_mul_i32 s20, s20, s22
	s_mul_hi_u32 s20, s22, s20
	s_add_i32 s22, s22, s20
	s_sub_i32 s20, 1, s21
	s_cmp_lt_u32 s21, 2
	s_cselect_b32 s20, s20, 1
	s_sub_i32 s23, s20, s21
	s_cmp_ge_u32 s20, s21
	s_cselect_b32 s26, s23, s20
	s_lshr_b32 s20, s22, 31
	s_mul_i32 s20, s20, s21
	s_sub_i32 s20, 2, s20
	s_sub_i32 s22, s20, s21
	s_cmp_ge_u32 s20, s21
	s_cselect_b32 s20, s22, s20
	s_sub_i32 s22, s20, s21
	v_mul_hi_u32 v2, v0, v2
	s_cmp_ge_u32 s20, s21
	v_add_u32_e32 v73, v0, v2
	s_cselect_b32 s27, s22, s20
	v_cndmask_b32_e64 v0, 0, 1, s[2:3]
	s_mul_i32 s26, s26, s12
	s_mul_i32 s27, s27, s12
	s_lshl_b32 s28, s6, 2
	v_lshlrev_b32_e32 v74, 4, v4
	s_lshl_b32 s6, s6, 1
	v_cmp_ne_u32_e64 s[2:3], 1, v0
	s_mov_b32 s29, 0x7f800000
	s_movk_i32 s30, 0x7fff
	s_branch .LBB221_14
.LBB221_12:                             ;   in Loop: Header=BB221_14 Depth=1
	s_or_b64 exec, exec, s[22:23]
	global_store_short_d16_hi v[0:1], v3, off offset:2
.LBB221_13:                             ;   in Loop: Header=BB221_14 Depth=1
	s_or_b64 exec, exec, s[20:21]
	v_add_u32_e32 v56, s13, v56
	v_cmp_le_u32_e32 vcc, s7, v56
	s_or_b64 s[16:17], vcc, s[16:17]
	s_andn2_b64 exec, exec, s[16:17]
	s_cbranch_execz .LBB221_48
.LBB221_14:                             ; =>This Loop Header: Depth=1
                                        ;     Child Loop BB221_18 Depth 2
	s_and_b64 vcc, exec, s[2:3]
	v_mov_b32_e32 v7, v59
	v_mov_b32_e32 v6, v59
	;; [unrolled: 1-line block ×24, first 2 shown]
	s_cbranch_vccnz .LBB221_21
; %bb.15:                               ;   in Loop: Header=BB221_14 Depth=1
	v_min_u32_e32 v0, s25, v56
	v_mul_lo_u32 v58, v0, s5
	v_or_b32_e32 v0, 1, v56
	v_min_u32_e32 v0, s25, v0
	v_mul_lo_u32 v0, v0, s5
	v_mov_b32_e32 v1, v59
	v_mov_b32_e32 v16, 0
	s_mov_b32 s31, 0
	v_lshlrev_b64 v[60:61], 1, v[58:59]
	v_lshlrev_b64 v[62:63], 1, v[0:1]
	v_mov_b32_e32 v57, v74
	v_mov_b32_e32 v17, v16
	;; [unrolled: 1-line block ×24, first 2 shown]
	s_branch .LBB221_18
.LBB221_16:                             ;   in Loop: Header=BB221_18 Depth=2
	s_or_b64 exec, exec, s[22:23]
.LBB221_17:                             ;   in Loop: Header=BB221_18 Depth=2
	s_or_b64 exec, exec, s[20:21]
	s_waitcnt vmcnt(3) lgkmcnt(1)
	v_mfma_f32_4x4x4_16b_bf16 v[20:23], v[52:53], v[36:37], v[20:23]
	s_addk_i32 s31, 0x200
	s_waitcnt vmcnt(2)
	v_mfma_f32_4x4x4_16b_bf16 v[16:19], v[52:53], v[32:33], v[16:19]
	v_add_u32_e32 v57, 0x400, v57
	v_mfma_f32_4x4x4_16b_bf16 v[12:15], v[48:49], v[36:37], v[12:15]
	s_cmp_ge_u32 s31, s4
	v_mfma_f32_4x4x4_16b_bf16 v[8:11], v[48:49], v[32:33], v[8:11]
	v_mfma_f32_4x4x4_16b_bf16 v[0:3], v[70:71], v[36:37], v[0:3]
	;; [unrolled: 1-line block ×7, first 2 shown]
	s_waitcnt lgkmcnt(0)
	v_mfma_f32_4x4x4_16b_bf16 v[0:3], v[68:69], v[38:39], v[0:3]
	v_mfma_f32_4x4x4_16b_bf16 v[4:7], v[68:69], v[34:35], v[4:7]
	s_waitcnt vmcnt(1)
	v_mfma_f32_4x4x4_16b_bf16 v[20:23], v[44:45], v[28:29], v[20:23]
	s_waitcnt vmcnt(0)
	v_mfma_f32_4x4x4_16b_bf16 v[16:19], v[44:45], v[24:25], v[16:19]
	v_mfma_f32_4x4x4_16b_bf16 v[12:15], v[40:41], v[28:29], v[12:15]
	;; [unrolled: 1-line block ×11, first 2 shown]
	s_cbranch_scc1 .LBB221_21
.LBB221_18:                             ;   Parent Loop BB221_14 Depth=1
                                        ; =>  This Inner Loop Header: Depth=2
	v_add_u32_e32 v44, s31, v72
	v_min_u32_e32 v58, s24, v44
	v_lshl_add_u64 v[24:25], v[58:59], 1, s[14:15]
	v_add_u32_e32 v75, 0x100, v44
	v_lshl_add_u64 v[26:27], v[24:25], 0, v[60:61]
	v_lshl_add_u64 v[24:25], v[24:25], 0, v[62:63]
	v_min_u32_e32 v58, s24, v75
	global_load_dwordx4 v[36:39], v[26:27], off nt
	global_load_dwordx4 v[32:35], v[24:25], off nt
	v_lshl_add_u64 v[24:25], v[58:59], 1, s[14:15]
	v_lshl_add_u64 v[40:41], v[24:25], 0, v[60:61]
	;; [unrolled: 1-line block ×3, first 2 shown]
	global_load_dwordx4 v[28:31], v[40:41], off nt
	global_load_dwordx4 v[24:27], v[42:43], off nt
	v_cmp_gt_u32_e32 vcc, s4, v44
	v_mov_b32_e32 v64, 0
	v_mov_b32_e32 v65, 0
	;; [unrolled: 1-line block ×24, first 2 shown]
	s_and_saveexec_b64 s[20:21], vcc
	s_cbranch_execz .LBB221_17
; %bb.19:                               ;   in Loop: Header=BB221_18 Depth=2
	v_add_u32_e32 v76, s6, v57
	v_add_u32_e32 v58, s28, v57
	ds_read_b128 v[48:51], v76
	ds_read2_b32 v[70:71], v58 offset1:1
	ds_read_b128 v[52:55], v57
	ds_read2_b32 v[68:69], v58 offset0:2 offset1:3
	v_cmp_gt_u32_e32 vcc, s4, v75
	v_mov_b32_e32 v45, 0
	v_mov_b32_e32 v44, 0
	;; [unrolled: 1-line block ×12, first 2 shown]
	s_and_saveexec_b64 s[22:23], vcc
	s_cbranch_execz .LBB221_16
; %bb.20:                               ;   in Loop: Header=BB221_18 Depth=2
	ds_read_b128 v[40:43], v76 offset:512
	ds_read2_b32 v[66:67], v58 offset0:128 offset1:129
	ds_read_b128 v[44:47], v57 offset:512
	ds_read2_b32 v[64:65], v58 offset0:130 offset1:131
	s_branch .LBB221_16
.LBB221_21:                             ;   in Loop: Header=BB221_14 Depth=1
	; sched_barrier mask(0x00000000)
	v_cvt_i32_f32_e32 v21, v21
	v_cvt_i32_f32_e32 v22, v22
	;; [unrolled: 1-line block ×4, first 2 shown]
	v_cvt_f32_i32_dpp v21, v21 row_shl:1 row_mask:0xf bank_mask:0xf bound_ctrl:1
	v_cvt_f32_i32_dpp v22, v22 row_shl:2 row_mask:0xf bank_mask:0xf bound_ctrl:1
	v_cvt_i32_f32_e32 v18, v18
	v_cvt_f32_i32_dpp v23, v23 row_shl:3 row_mask:0xf bank_mask:0xf bound_ctrl:1
	v_cvt_i32_f32_e32 v19, v19
	v_add_f32_e32 v20, v20, v21
	v_cvt_f32_i32_dpp v17, v17 row_shl:1 row_mask:0xf bank_mask:0xf bound_ctrl:1
	v_add_f32_e32 v20, v20, v22
	v_cvt_f32_i32_dpp v18, v18 row_shl:2 row_mask:0xf bank_mask:0xf bound_ctrl:1
	;; [unrolled: 2-line block ×3, first 2 shown]
	v_cvt_i32_f32_e32 v21, v20
	v_add_f32_e32 v16, v16, v17
	v_add_f32_e32 v16, v16, v18
	;; [unrolled: 1-line block ×3, first 2 shown]
	v_cvt_i32_f32_e32 v17, v16
	v_cvt_f32_i32_dpp v18, v21 row_shl:4 row_mask:0xf bank_mask:0xf bound_ctrl:1
	v_cvt_i32_f32_e32 v1, v1
	v_cvt_i32_f32_e32 v13, v13
	v_cvt_f32_i32_dpp v17, v17 row_shl:4 row_mask:0xf bank_mask:0xf bound_ctrl:1
	v_add_f32_e32 v18, v20, v18
	v_cvt_i32_f32_e32 v19, v18
	v_cvt_i32_f32_e32 v2, v2
	v_add_f32_e32 v16, v16, v17
	v_cvt_i32_f32_e32 v17, v16
	v_cvt_f32_i32_dpp v19, v19 row_shl:8 row_mask:0xf bank_mask:0xf bound_ctrl:1
	v_cvt_i32_f32_e32 v14, v14
	v_cvt_i32_f32_e32 v15, v15
	v_cvt_f32_i32_dpp v17, v17 row_shl:8 row_mask:0xf bank_mask:0xf bound_ctrl:1
	v_add_f32_e32 v18, v18, v19
	v_cvt_i32_f32_e32 v18, v18
	v_cvt_f32_i32_dpp v1, v1 row_shl:1 row_mask:0xf bank_mask:0xf bound_ctrl:1
	v_add_f32_e32 v16, v16, v17
	v_cvt_i32_f32_e32 v16, v16
	v_cvt_f32_i32_dpp v17, v18 row_shr:15 row_mask:0xf bank_mask:0xf bound_ctrl:1
	v_cvt_f32_i32_dpp v13, v13 row_shl:1 row_mask:0xf bank_mask:0xf bound_ctrl:1
	v_cvt_i32_f32_e32 v9, v9
	v_cvt_f32_i32_dpp v2, v2 row_shl:2 row_mask:0xf bank_mask:0xf bound_ctrl:1
	v_cvt_i32_f32_e32 v3, v3
	;; [unrolled: 2-line block ×4, first 2 shown]
	v_cvt_i32_f32_e32 v18, v17
	v_cvt_f32_i32_dpp v16, v16 row_shr:15 row_mask:0xf bank_mask:0xf bound_ctrl:1
	v_add_f32_e32 v0, v0, v1
	v_add_f32_e32 v12, v12, v13
	v_cvt_f32_i32_dpp v9, v9 row_shl:1 row_mask:0xf bank_mask:0xf bound_ctrl:1
	v_add_f32_e32 v0, v0, v2
	v_cvt_f32_i32_dpp v1, v3 row_shl:3 row_mask:0xf bank_mask:0xf bound_ctrl:1
	v_cvt_i32_f32_e32 v2, v5
	v_add_f32_e32 v12, v12, v14
	v_cvt_f32_i32_dpp v10, v10 row_shl:2 row_mask:0xf bank_mask:0xf bound_ctrl:1
	v_cvt_i32_f32_e32 v3, v6
	;; [unrolled: 3-line block ×3, first 2 shown]
	v_cvt_f32_i32_dpp v18, v18 row_bcast:15 row_mask:0xf bank_mask:0xf bound_ctrl:1
	v_cvt_i32_f32_e32 v19, v16
	v_cvt_i32_f32_e32 v12, v14
	v_add_f32_e32 v8, v8, v9
	v_add_f32_e32 v0, v0, v1
	v_cvt_f32_i32_dpp v1, v2 row_shl:1 row_mask:0xf bank_mask:0xf bound_ctrl:1
	v_add_f32_e32 v8, v8, v10
	v_cvt_f32_i32_dpp v2, v3 row_shl:2 row_mask:0xf bank_mask:0xf bound_ctrl:1
	;; [unrolled: 2-line block ×3, first 2 shown]
	v_cvt_f32_i32_dpp v15, v19 row_bcast:15 row_mask:0xf bank_mask:0xf bound_ctrl:1
	v_add_f32_e32 v13, v17, v18
	v_cvt_f32_i32_dpp v17, v12 row_shl:4 row_mask:0xf bank_mask:0xf bound_ctrl:1
	v_cvt_i32_f32_e32 v10, v9
	v_add_f32_e32 v1, v4, v1
	v_add_f32_e32 v1, v1, v2
	;; [unrolled: 1-line block ×5, first 2 shown]
	v_cvt_f32_i32_dpp v10, v10 row_shl:4 row_mask:0xf bank_mask:0xf bound_ctrl:1
	v_cvt_i32_f32_e32 v5, v0
	v_cvt_i32_f32_e32 v2, v1
	;; [unrolled: 1-line block ×3, first 2 shown]
	v_add_f32_e32 v9, v9, v10
	v_cvt_f32_i32_dpp v4, v5 row_shl:4 row_mask:0xf bank_mask:0xf bound_ctrl:1
	v_cvt_f32_i32_dpp v2, v2 row_shl:4 row_mask:0xf bank_mask:0xf bound_ctrl:1
	;; [unrolled: 1-line block ×3, first 2 shown]
	v_cvt_i32_f32_e32 v10, v9
	v_add_f32_e32 v0, v0, v4
	v_add_f32_e32 v1, v1, v2
	;; [unrolled: 1-line block ×3, first 2 shown]
	v_cvt_f32_i32_dpp v3, v10 row_shl:8 row_mask:0xf bank_mask:0xf bound_ctrl:1
	v_cvt_i32_f32_e32 v4, v0
	v_cvt_i32_f32_e32 v2, v1
	;; [unrolled: 1-line block ×3, first 2 shown]
	v_add_f32_e32 v3, v9, v3
	v_cvt_f32_i32_dpp v4, v4 row_shl:8 row_mask:0xf bank_mask:0xf bound_ctrl:1
	v_cvt_f32_i32_dpp v2, v2 row_shl:8 row_mask:0xf bank_mask:0xf bound_ctrl:1
	v_cvt_f32_i32_dpp v5, v11 row_shr:15 row_mask:0xf bank_mask:0xf bound_ctrl:1
	v_cvt_i32_f32_e32 v3, v3
	v_add_f32_e32 v0, v0, v4
	v_add_f32_e32 v1, v1, v2
	v_cvt_i32_f32_e32 v6, v5
	v_cvt_f32_i32_dpp v3, v3 row_shr:15 row_mask:0xf bank_mask:0xf bound_ctrl:1
	v_cvt_i32_f32_e32 v0, v0
	v_cvt_i32_f32_e32 v1, v1
	v_cvt_f32_i32_dpp v2, v6 row_bcast:15 row_mask:0xf bank_mask:0xf bound_ctrl:1
	v_cvt_i32_f32_e32 v4, v3
	v_cvt_f32_i32_dpp v0, v0 row_shr:15 row_mask:0xf bank_mask:0xf bound_ctrl:1
	v_cvt_f32_i32_dpp v1, v1 row_shr:15 row_mask:0xf bank_mask:0xf bound_ctrl:1
	v_add_f32_e32 v11, v5, v2
	v_cvt_f32_i32_dpp v4, v4 row_bcast:15 row_mask:0xf bank_mask:0xf bound_ctrl:1
	v_cvt_i32_f32_e32 v2, v0
	v_cvt_i32_f32_e32 v5, v1
	;; [unrolled: 1-line block ×3, first 2 shown]
	v_add_f32_e32 v7, v3, v4
	v_cvt_f32_i32_dpp v2, v2 row_bcast:15 row_mask:0xf bank_mask:0xf bound_ctrl:1
	v_cvt_f32_i32_dpp v3, v5 row_bcast:15 row_mask:0xf bank_mask:0xf bound_ctrl:1
	v_cvt_i32_f32_e32 v15, v12
	v_cvt_i32_f32_e32 v6, v11
	v_add_f32_e32 v4, v0, v2
	v_add_f32_e32 v2, v1, v3
	v_cvt_i32_f32_e32 v5, v7
	v_cvt_i32_f32_e32 v0, v4
	;; [unrolled: 1-line block ×3, first 2 shown]
	v_mov_b32_dpp v14, v18 row_bcast:31 row_mask:0xf bank_mask:0xf bound_ctrl:1
	v_mov_b32_dpp v8, v15 row_bcast:31 row_mask:0xf bank_mask:0xf bound_ctrl:1
	;; [unrolled: 1-line block ×6, first 2 shown]
	s_and_saveexec_b64 s[20:21], s[0:1]
	s_cbranch_execz .LBB221_13
; %bb.22:                               ;   in Loop: Header=BB221_14 Depth=1
	s_andn2_b64 vcc, exec, s[18:19]
	v_mov_b32_e32 v0, 0
	v_mov_b32_e32 v18, 0
	;; [unrolled: 1-line block ×6, first 2 shown]
	s_cbranch_vccnz .LBB221_24
; %bb.23:                               ;   in Loop: Header=BB221_14 Depth=1
	v_mul_hi_u32 v0, v56, v73
	v_mul_lo_u32 v0, v0, s12
	v_sub_u32_e32 v0, v56, v0
	v_subrev_u32_e32 v1, s12, v0
	v_cmp_le_u32_e32 vcc, s12, v0
	v_mov_b32_e32 v17, v59
	s_nop 0
	v_cndmask_b32_e32 v0, v0, v1, vcc
	v_subrev_u32_e32 v1, s12, v0
	v_cmp_le_u32_e32 vcc, s12, v0
	s_nop 1
	v_cndmask_b32_e32 v58, v0, v1, vcc
	v_or_b32_e32 v0, 1, v56
	v_mul_hi_u32 v1, v0, v73
	v_mul_lo_u32 v1, v1, s12
	v_sub_u32_e32 v0, v0, v1
	v_subrev_u32_e32 v1, s12, v0
	v_cmp_le_u32_e32 vcc, s12, v0
	v_lshl_add_u64 v[20:21], v[58:59], 1, s[8:9]
	v_add_u32_e32 v16, s26, v58
	v_cndmask_b32_e32 v0, v0, v1, vcc
	v_subrev_u32_e32 v1, s12, v0
	v_cmp_le_u32_e32 vcc, s12, v0
	v_add_u32_e32 v58, s27, v58
	v_lshl_add_u64 v[24:25], v[16:17], 1, s[8:9]
	v_cndmask_b32_e32 v0, v0, v1, vcc
	v_mov_b32_e32 v1, v59
	v_add_u32_e32 v16, s26, v0
	v_lshl_add_u64 v[28:29], v[58:59], 1, s[8:9]
	v_add_u32_e32 v58, s27, v0
	v_lshl_add_u64 v[22:23], v[0:1], 1, s[8:9]
	v_lshl_add_u64 v[26:27], v[16:17], 1, s[8:9]
	;; [unrolled: 1-line block ×3, first 2 shown]
	global_load_ushort v0, v[20:21], off
	global_load_ushort v18, v[22:23], off
	;; [unrolled: 1-line block ×6, first 2 shown]
.LBB221_24:                             ;   in Loop: Header=BB221_14 Depth=1
	v_cvt_f32_i32_e32 v1, v14
	s_waitcnt vmcnt(5)
	v_lshlrev_b32_e32 v0, 16, v0
	v_add_f32_e32 v1, v13, v1
	v_add_f32_e32 v0, v1, v0
	v_and_b32_e32 v1, 0x7f800000, v0
	v_cmp_ne_u32_e32 vcc, s29, v1
                                        ; implicit-def: $vgpr13
	s_and_saveexec_b64 s[22:23], vcc
	s_xor_b64 s[22:23], exec, s[22:23]
; %bb.25:                               ;   in Loop: Header=BB221_14 Depth=1
	v_bfe_u32 v1, v0, 16, 1
	v_add3_u32 v13, v0, v1, s30
                                        ; implicit-def: $vgpr0
; %bb.26:                               ;   in Loop: Header=BB221_14 Depth=1
	s_andn2_saveexec_b64 s[22:23], s[22:23]
; %bb.27:                               ;   in Loop: Header=BB221_14 Depth=1
	v_or_b32_e32 v1, 0x10000, v0
	v_cmp_eq_u32_sdwa vcc, v0, v59 src0_sel:WORD_0 src1_sel:DWORD
	s_nop 1
	v_cndmask_b32_e32 v13, v1, v0, vcc
; %bb.28:                               ;   in Loop: Header=BB221_14 Depth=1
	s_or_b64 exec, exec, s[22:23]
	v_cvt_f32_i32_e32 v8, v8
	v_mov_b32_e32 v57, v59
	v_lshl_add_u64 v[0:1], v[56:57], 1, s[10:11]
	global_store_short_d16_hi v[0:1], v13, off
	v_add_f32_e32 v8, v12, v8
	s_waitcnt vmcnt(5)
	v_lshlrev_b32_e32 v12, 16, v18
	v_add_f32_e32 v8, v8, v12
	v_and_b32_e32 v12, 0x7f800000, v8
	v_cmp_ne_u32_e32 vcc, s29, v12
                                        ; implicit-def: $vgpr12
	s_and_saveexec_b64 s[22:23], vcc
	s_xor_b64 s[22:23], exec, s[22:23]
; %bb.29:                               ;   in Loop: Header=BB221_14 Depth=1
	v_bfe_u32 v12, v8, 16, 1
	v_add3_u32 v12, v8, v12, s30
                                        ; implicit-def: $vgpr8
; %bb.30:                               ;   in Loop: Header=BB221_14 Depth=1
	s_andn2_saveexec_b64 s[22:23], s[22:23]
; %bb.31:                               ;   in Loop: Header=BB221_14 Depth=1
	v_or_b32_e32 v12, 0x10000, v8
	v_cmp_eq_u32_sdwa vcc, v8, v59 src0_sel:WORD_0 src1_sel:DWORD
	s_nop 1
	v_cndmask_b32_e32 v12, v12, v8, vcc
; %bb.32:                               ;   in Loop: Header=BB221_14 Depth=1
	s_or_b64 exec, exec, s[22:23]
	v_cvt_f32_i32_e32 v8, v15
	global_store_short_d16_hi v[0:1], v12, off offset:2
	s_waitcnt vmcnt(5)
	v_lshlrev_b32_e32 v1, 16, v17
	v_add_f32_e32 v0, v11, v8
	v_add_f32_e32 v1, v0, v1
	v_and_b32_e32 v0, 0x7f800000, v1
	v_cmp_ne_u32_e32 vcc, s29, v0
                                        ; implicit-def: $vgpr0
	s_and_saveexec_b64 s[22:23], vcc
	s_xor_b64 s[22:23], exec, s[22:23]
; %bb.33:                               ;   in Loop: Header=BB221_14 Depth=1
	v_bfe_u32 v0, v1, 16, 1
	v_add3_u32 v0, v1, v0, s30
                                        ; implicit-def: $vgpr1
; %bb.34:                               ;   in Loop: Header=BB221_14 Depth=1
	s_andn2_saveexec_b64 s[22:23], s[22:23]
; %bb.35:                               ;   in Loop: Header=BB221_14 Depth=1
	v_or_b32_e32 v0, 0x10000, v1
	v_cmp_eq_u32_sdwa vcc, v1, v59 src0_sel:WORD_0 src1_sel:DWORD
	s_nop 1
	v_cndmask_b32_e32 v0, v0, v1, vcc
; %bb.36:                               ;   in Loop: Header=BB221_14 Depth=1
	s_or_b64 exec, exec, s[22:23]
	v_cvt_f32_i32_e32 v1, v9
	v_add_u32_e32 v58, s7, v56
	v_lshl_add_u64 v[8:9], v[58:59], 1, s[10:11]
	global_store_short_d16_hi v[8:9], v0, off
	v_add_f32_e32 v0, v7, v1
	s_waitcnt vmcnt(5)
	v_lshlrev_b32_e32 v1, 16, v16
	v_add_f32_e32 v1, v0, v1
	v_and_b32_e32 v0, 0x7f800000, v1
	v_cmp_ne_u32_e32 vcc, s29, v0
                                        ; implicit-def: $vgpr0
	s_and_saveexec_b64 s[22:23], vcc
	s_xor_b64 s[22:23], exec, s[22:23]
; %bb.37:                               ;   in Loop: Header=BB221_14 Depth=1
	v_bfe_u32 v0, v1, 16, 1
	v_add3_u32 v0, v1, v0, s30
                                        ; implicit-def: $vgpr1
; %bb.38:                               ;   in Loop: Header=BB221_14 Depth=1
	s_andn2_saveexec_b64 s[22:23], s[22:23]
; %bb.39:                               ;   in Loop: Header=BB221_14 Depth=1
	v_or_b32_e32 v0, 0x10000, v1
	v_cmp_eq_u32_sdwa vcc, v1, v59 src0_sel:WORD_0 src1_sel:DWORD
	s_nop 1
	v_cndmask_b32_e32 v0, v0, v1, vcc
; %bb.40:                               ;   in Loop: Header=BB221_14 Depth=1
	s_or_b64 exec, exec, s[22:23]
	v_cvt_f32_i32_e32 v1, v5
	v_add_u32_e32 v8, 1, v58
	v_mov_b32_e32 v9, v59
	v_lshl_add_u64 v[8:9], v[8:9], 1, s[10:11]
	v_add_f32_e32 v1, v4, v1
	global_store_short_d16_hi v[8:9], v0, off
	s_waitcnt vmcnt(5)
	v_lshlrev_b32_e32 v0, 16, v10
	v_add_f32_e32 v0, v1, v0
	v_and_b32_e32 v1, 0x7f800000, v0
	v_cmp_ne_u32_e32 vcc, s29, v1
                                        ; implicit-def: $vgpr4
	s_and_saveexec_b64 s[22:23], vcc
	s_xor_b64 s[22:23], exec, s[22:23]
; %bb.41:                               ;   in Loop: Header=BB221_14 Depth=1
	v_bfe_u32 v1, v0, 16, 1
	v_add3_u32 v4, v0, v1, s30
                                        ; implicit-def: $vgpr0
; %bb.42:                               ;   in Loop: Header=BB221_14 Depth=1
	s_andn2_saveexec_b64 s[22:23], s[22:23]
; %bb.43:                               ;   in Loop: Header=BB221_14 Depth=1
	v_or_b32_e32 v1, 0x10000, v0
	v_cmp_eq_u32_sdwa vcc, v0, v59 src0_sel:WORD_0 src1_sel:DWORD
	s_nop 1
	v_cndmask_b32_e32 v4, v1, v0, vcc
; %bb.44:                               ;   in Loop: Header=BB221_14 Depth=1
	s_or_b64 exec, exec, s[22:23]
	v_cvt_f32_i32_e32 v3, v3
	v_add_u32_e32 v58, s7, v58
	v_lshl_add_u64 v[0:1], v[58:59], 1, s[10:11]
	global_store_short_d16_hi v[0:1], v4, off
	v_add_f32_e32 v2, v2, v3
	s_waitcnt vmcnt(5)
	v_lshlrev_b32_e32 v3, 16, v6
	v_add_f32_e32 v2, v2, v3
	v_and_b32_e32 v3, 0x7f800000, v2
	v_cmp_ne_u32_e32 vcc, s29, v3
                                        ; implicit-def: $vgpr3
	s_and_saveexec_b64 s[22:23], vcc
	s_xor_b64 s[22:23], exec, s[22:23]
; %bb.45:                               ;   in Loop: Header=BB221_14 Depth=1
	v_bfe_u32 v3, v2, 16, 1
	v_add3_u32 v3, v2, v3, s30
                                        ; implicit-def: $vgpr2
; %bb.46:                               ;   in Loop: Header=BB221_14 Depth=1
	s_andn2_saveexec_b64 s[22:23], s[22:23]
	s_cbranch_execz .LBB221_12
; %bb.47:                               ;   in Loop: Header=BB221_14 Depth=1
	v_or_b32_e32 v3, 0x10000, v2
	v_cmp_eq_u32_sdwa vcc, v2, v59 src0_sel:WORD_0 src1_sel:DWORD
	s_nop 1
	v_cndmask_b32_e32 v3, v3, v2, vcc
	s_branch .LBB221_12
.LBB221_48:
	s_endpgm
	.section	.rodata,"a",@progbits
	.p2align	6, 0x0
	.amdhsa_kernel _Z16wvSplitK_hf_sml_I14__hip_bfloat16Li32ELi2ELi16ELi8ELi2ELi3EEviiiiiiPKT_S3_S3_PS1_ii
		.amdhsa_group_segment_fixed_size 65536
		.amdhsa_private_segment_fixed_size 0
		.amdhsa_kernarg_size 64
		.amdhsa_user_sgpr_count 2
		.amdhsa_user_sgpr_dispatch_ptr 0
		.amdhsa_user_sgpr_queue_ptr 0
		.amdhsa_user_sgpr_kernarg_segment_ptr 1
		.amdhsa_user_sgpr_dispatch_id 0
		.amdhsa_user_sgpr_kernarg_preload_length 0
		.amdhsa_user_sgpr_kernarg_preload_offset 0
		.amdhsa_user_sgpr_private_segment_size 0
		.amdhsa_uses_dynamic_stack 0
		.amdhsa_enable_private_segment 0
		.amdhsa_system_sgpr_workgroup_id_x 1
		.amdhsa_system_sgpr_workgroup_id_y 0
		.amdhsa_system_sgpr_workgroup_id_z 0
		.amdhsa_system_sgpr_workgroup_info 0
		.amdhsa_system_vgpr_workitem_id 1
		.amdhsa_next_free_vgpr 77
		.amdhsa_next_free_sgpr 32
		.amdhsa_accum_offset 80
		.amdhsa_reserve_vcc 1
		.amdhsa_float_round_mode_32 0
		.amdhsa_float_round_mode_16_64 0
		.amdhsa_float_denorm_mode_32 3
		.amdhsa_float_denorm_mode_16_64 3
		.amdhsa_dx10_clamp 1
		.amdhsa_ieee_mode 1
		.amdhsa_fp16_overflow 0
		.amdhsa_tg_split 0
		.amdhsa_exception_fp_ieee_invalid_op 0
		.amdhsa_exception_fp_denorm_src 0
		.amdhsa_exception_fp_ieee_div_zero 0
		.amdhsa_exception_fp_ieee_overflow 0
		.amdhsa_exception_fp_ieee_underflow 0
		.amdhsa_exception_fp_ieee_inexact 0
		.amdhsa_exception_int_div_zero 0
	.end_amdhsa_kernel
	.section	.text._Z16wvSplitK_hf_sml_I14__hip_bfloat16Li32ELi2ELi16ELi8ELi2ELi3EEviiiiiiPKT_S3_S3_PS1_ii,"axG",@progbits,_Z16wvSplitK_hf_sml_I14__hip_bfloat16Li32ELi2ELi16ELi8ELi2ELi3EEviiiiiiPKT_S3_S3_PS1_ii,comdat
.Lfunc_end221:
	.size	_Z16wvSplitK_hf_sml_I14__hip_bfloat16Li32ELi2ELi16ELi8ELi2ELi3EEviiiiiiPKT_S3_S3_PS1_ii, .Lfunc_end221-_Z16wvSplitK_hf_sml_I14__hip_bfloat16Li32ELi2ELi16ELi8ELi2ELi3EEviiiiiiPKT_S3_S3_PS1_ii
                                        ; -- End function
	.section	.AMDGPU.csdata,"",@progbits
; Kernel info:
; codeLenInByte = 3352
; NumSgprs: 38
; NumVgprs: 77
; NumAgprs: 0
; TotalNumVgprs: 77
; ScratchSize: 0
; MemoryBound: 0
; FloatMode: 240
; IeeeMode: 1
; LDSByteSize: 65536 bytes/workgroup (compile time only)
; SGPRBlocks: 4
; VGPRBlocks: 9
; NumSGPRsForWavesPerEU: 38
; NumVGPRsForWavesPerEU: 77
; AccumOffset: 80
; Occupancy: 2
; WaveLimiterHint : 0
; COMPUTE_PGM_RSRC2:SCRATCH_EN: 0
; COMPUTE_PGM_RSRC2:USER_SGPR: 2
; COMPUTE_PGM_RSRC2:TRAP_HANDLER: 0
; COMPUTE_PGM_RSRC2:TGID_X_EN: 1
; COMPUTE_PGM_RSRC2:TGID_Y_EN: 0
; COMPUTE_PGM_RSRC2:TGID_Z_EN: 0
; COMPUTE_PGM_RSRC2:TIDIG_COMP_CNT: 1
; COMPUTE_PGM_RSRC3_GFX90A:ACCUM_OFFSET: 19
; COMPUTE_PGM_RSRC3_GFX90A:TG_SPLIT: 0
	.section	.text._Z12wvSplitK_hf_I14__hip_bfloat16Li32ELi2ELi16ELi8ELi2ELi3EEviiiiiiPKT_S3_S3_PS1_ii,"axG",@progbits,_Z12wvSplitK_hf_I14__hip_bfloat16Li32ELi2ELi16ELi8ELi2ELi3EEviiiiiiPKT_S3_S3_PS1_ii,comdat
	.protected	_Z12wvSplitK_hf_I14__hip_bfloat16Li32ELi2ELi16ELi8ELi2ELi3EEviiiiiiPKT_S3_S3_PS1_ii ; -- Begin function _Z12wvSplitK_hf_I14__hip_bfloat16Li32ELi2ELi16ELi8ELi2ELi3EEviiiiiiPKT_S3_S3_PS1_ii
	.globl	_Z12wvSplitK_hf_I14__hip_bfloat16Li32ELi2ELi16ELi8ELi2ELi3EEviiiiiiPKT_S3_S3_PS1_ii
	.p2align	8
	.type	_Z12wvSplitK_hf_I14__hip_bfloat16Li32ELi2ELi16ELi8ELi2ELi3EEviiiiiiPKT_S3_S3_PS1_ii,@function
_Z12wvSplitK_hf_I14__hip_bfloat16Li32ELi2ELi16ELi8ELi2ELi3EEviiiiiiPKT_S3_S3_PS1_ii: ; @_Z12wvSplitK_hf_I14__hip_bfloat16Li32ELi2ELi16ELi8ELi2ELi3EEviiiiiiPKT_S3_S3_PS1_ii
; %bb.0:
	s_load_dwordx2 s[4:5], s[0:1], 0x38
	s_load_dwordx2 s[16:17], s[0:1], 0x20
	s_load_dwordx4 s[8:11], s[0:1], 0x0
	s_load_dwordx2 s[18:19], s[0:1], 0x10
	v_bfe_u32 v4, v0, 10, 10
	s_waitcnt lgkmcnt(0)
	s_mul_i32 s2, s2, s4
	v_add_lshl_u32 v66, s2, v4, 1
	s_mov_b32 s6, 1
	v_add_u32_e32 v1, 2, v66
	v_cmp_gt_u32_e32 vcc, s11, v66
	v_cmp_le_u32_e64 s[2:3], s11, v1
	s_mov_b32 s7, s6
	s_and_b64 s[12:13], vcc, s[2:3]
	v_mov_b64_e32 v[64:65], s[6:7]
	s_and_saveexec_b64 s[2:3], s[12:13]
	s_cbranch_execz .LBB222_6
; %bb.1:
	s_add_i32 s22, s11, -2
	v_cmp_ne_u32_e32 vcc, s22, v66
	v_mov_b64_e32 v[64:65], s[6:7]
	s_and_saveexec_b64 s[6:7], vcc
	s_cbranch_execz .LBB222_5
; %bb.2:
	v_subrev_u32_e32 v1, s22, v66
	s_mov_b32 s12, 1
	v_cmp_lt_u32_e32 vcc, 1, v1
	s_mov_b64 s[14:15], 0
	s_mov_b64 s[20:21], 0
	v_cndmask_b32_e32 v2, 1, v1, vcc
	s_mov_b32 s13, s12
.LBB222_3:                              ; =>This Inner Loop Header: Depth=1
	s_cmp_lg_u32 s20, 1
	s_cselect_b32 s13, s13, 0
	s_cmp_lg_u32 s20, 0
	s_cselect_b32 s12, s12, 0
	s_add_u32 s20, s20, 1
	s_addc_u32 s21, s21, 0
	v_cmp_eq_u32_e32 vcc, s20, v2
	s_or_b64 s[14:15], vcc, s[14:15]
	v_mov_b64_e32 v[64:65], s[12:13]
	s_andn2_b64 exec, exec, s[14:15]
	s_cbranch_execnz .LBB222_3
; %bb.4:
	s_or_b64 exec, exec, s[14:15]
	v_mov_b32_e32 v66, s22
.LBB222_5:
	s_or_b64 exec, exec, s[6:7]
.LBB222_6:
	s_or_b64 exec, exec, s[2:3]
	v_and_b32_e32 v5, 0x3ff, v0
	v_lshlrev_b32_e32 v80, 3, v5
	s_mul_i32 s2, s10, 3
	v_lshl_add_u32 v6, v4, 8, v80
	s_min_u32 s6, s2, 0x8000
	v_cmp_gt_u32_e32 vcc, s6, v6
	s_and_saveexec_b64 s[2:3], vcc
	s_cbranch_execz .LBB222_15
; %bb.7:
	v_lshlrev_b32_e32 v0, 1, v6
	global_load_dwordx4 v[8:11], v0, s[16:17]
	v_add_u32_e32 v1, 0x1000, v6
	v_cmp_gt_u32_e32 vcc, s6, v1
	s_waitcnt vmcnt(0)
	ds_write_b128 v0, v[8:11]
	s_and_saveexec_b64 s[12:13], vcc
	s_xor_b64 s[12:13], exec, s[12:13]
	s_cbranch_execz .LBB222_15
; %bb.8:
	v_mov_b32_e32 v1, 0
	v_lshl_add_u64 v[2:3], s[16:17], 0, v[0:1]
	v_add_co_u32_e32 v8, vcc, 0x2000, v2
	v_add_u32_e32 v1, 0x2000, v6
	s_nop 0
	v_addc_co_u32_e32 v9, vcc, 0, v3, vcc
	global_load_dwordx4 v[8:11], v[8:9], off
	v_cmp_gt_u32_e32 vcc, s6, v1
	s_waitcnt vmcnt(0)
	ds_write_b128 v0, v[8:11] offset:8192
	s_and_saveexec_b64 s[12:13], vcc
	s_xor_b64 s[12:13], exec, s[12:13]
	s_cbranch_execz .LBB222_15
; %bb.9:
	v_add_co_u32_e32 v8, vcc, 0x4000, v2
	v_add_u32_e32 v1, 0x3000, v6
	s_nop 0
	v_addc_co_u32_e32 v9, vcc, 0, v3, vcc
	global_load_dwordx4 v[8:11], v[8:9], off
	v_cmp_gt_u32_e32 vcc, s6, v1
	s_waitcnt vmcnt(0)
	ds_write_b128 v0, v[8:11] offset:16384
	s_and_saveexec_b64 s[12:13], vcc
	s_xor_b64 s[12:13], exec, s[12:13]
	s_cbranch_execz .LBB222_15
; %bb.10:
	;; [unrolled: 12-line block ×6, first 2 shown]
	v_add_co_u32_e32 v2, vcc, 0xe000, v2
	s_nop 1
	v_addc_co_u32_e32 v3, vcc, 0, v3, vcc
	global_load_dwordx4 v[6:9], v[2:3], off
	s_waitcnt vmcnt(0)
	ds_write_b128 v0, v[6:9] offset:57344
.LBB222_15:
	s_or_b64 exec, exec, s[2:3]
	v_cmp_gt_u32_e32 vcc, s4, v4
	v_cmp_gt_u32_e64 s[2:3], s11, v66
	s_and_b64 s[2:3], vcc, s[2:3]
	s_waitcnt lgkmcnt(0)
	s_barrier
	s_and_saveexec_b64 s[6:7], s[2:3]
	s_cbranch_execz .LBB222_94
; %bb.16:
	s_load_dwordx4 s[12:15], s[0:1], 0x28
	s_load_dwordx2 s[20:21], s[0:1], 0x18
	s_cmp_lg_u32 s8, 0
	s_cselect_b64 s[2:3], -1, 0
	s_add_i32 s33, s8, -8
	s_add_i32 s36, s11, -1
	s_mul_i32 s4, s4, s5
	s_waitcnt lgkmcnt(0)
	s_cmp_lg_u64 s[12:13], 0
	s_cselect_b64 s[24:25], -1, 0
	s_lshl_b32 s37, s4, 1
	s_abs_i32 s4, s19
	v_cvt_f32_u32_e32 v0, s18
	v_cvt_f32_u32_e32 v1, s4
	s_sub_i32 s5, 0, s18
	s_add_i32 s19, s11, -2
	v_rcp_iflag_f32_e32 v0, v0
	v_rcp_iflag_f32_e32 v1, v1
	v_cmp_eq_u32_e64 s[0:1], 31, v5
	s_mov_b64 s[22:23], 0
	v_mul_f32_e32 v0, 0x4f7ffffe, v0
	v_mul_f32_e32 v1, 0x4f7ffffe, v1
	v_cvt_u32_f32_e32 v0, v0
	v_cvt_u32_f32_e32 v1, v1
	v_mov_b32_e32 v69, 0
	v_lshlrev_b32_e32 v82, 4, v5
	v_mul_lo_u32 v2, s5, v0
	s_sub_i32 s5, 0, s4
	v_readfirstlane_b32 s6, v1
	s_mul_i32 s5, s5, s6
	s_mul_hi_u32 s5, s6, s5
	s_add_i32 s6, s6, s5
	s_sub_i32 s5, 1, s4
	s_cmp_lt_u32 s4, 2
	s_cselect_b32 s5, s5, 1
	s_sub_i32 s7, s5, s4
	s_cmp_ge_u32 s5, s4
	s_cselect_b32 s38, s7, s5
	s_lshr_b32 s5, s6, 31
	s_mul_i32 s5, s5, s4
	s_sub_i32 s5, 2, s5
	s_sub_i32 s6, s5, s4
	s_cmp_ge_u32 s5, s4
	s_cselect_b32 s5, s6, s5
	s_sub_i32 s6, s5, s4
	v_mul_hi_u32 v2, v0, v2
	s_cmp_ge_u32 s5, s4
	v_add_u32_e32 v81, v0, v2
	s_cselect_b32 s39, s6, s5
	s_lshl_b32 s40, s10, 1
	v_cndmask_b32_e64 v0, 0, 1, s[2:3]
	s_mul_i32 s38, s38, s18
	s_mul_i32 s39, s39, s18
	s_lshl_b32 s41, s10, 2
	v_add_u32_e32 v83, s40, v80
	v_add_u32_e32 v84, s10, v80
	v_cmp_ne_u32_e64 s[2:3], 1, v0
	s_movk_i32 s10, 0x7fff
	s_mov_b32 s42, 0x7f800000
	s_mov_b32 s26, 0
	s_branch .LBB222_19
.LBB222_17:                             ;   in Loop: Header=BB222_19 Depth=1
	s_or_b64 exec, exec, s[28:29]
	v_mov_b32_e32 v66, s19
.LBB222_18:                             ;   in Loop: Header=BB222_19 Depth=1
	s_or_b64 exec, exec, s[6:7]
	v_cmp_le_u32_e32 vcc, s11, v66
	s_or_b64 s[22:23], vcc, s[22:23]
	s_andn2_b64 exec, exec, s[22:23]
	s_cbranch_execz .LBB222_94
.LBB222_19:                             ; =>This Loop Header: Depth=1
                                        ;     Child Loop BB222_24 Depth 2
                                        ;     Child Loop BB222_92 Depth 2
	s_and_b64 vcc, exec, s[2:3]
	v_add_u32_e32 v70, 1, v66
	s_waitcnt vmcnt(1)
	v_mov_b32_e32 v7, v69
	v_mov_b32_e32 v6, v69
	;; [unrolled: 1-line block ×3, first 2 shown]
	s_waitcnt vmcnt(0)
	v_mov_b32_e32 v4, v69
	v_mov_b32_e32 v3, v69
	;; [unrolled: 1-line block ×21, first 2 shown]
	s_cbranch_vccnz .LBB222_50
; %bb.20:                               ;   in Loop: Header=BB222_19 Depth=1
	v_min_u32_e32 v0, s36, v66
	v_mul_lo_u32 v68, v0, s9
	v_min_u32_e32 v0, s36, v70
	v_mul_lo_u32 v0, v0, s9
	v_mov_b32_e32 v1, v69
	v_mov_b32_e32 v16, 0
	s_mov_b32 s4, 0
	v_lshlrev_b64 v[72:73], 1, v[68:69]
	v_lshlrev_b64 v[74:75], 1, v[0:1]
	v_mov_b32_e32 v67, v82
	s_mov_b32 s34, 0
	v_mov_b32_e32 v17, v16
	v_mov_b32_e32 v18, v16
	;; [unrolled: 1-line block ×23, first 2 shown]
	s_branch .LBB222_24
.LBB222_21:                             ;   in Loop: Header=BB222_24 Depth=2
	s_or_b64 exec, exec, s[30:31]
.LBB222_22:                             ;   in Loop: Header=BB222_24 Depth=2
	s_or_b64 exec, exec, s[28:29]
.LBB222_23:                             ;   in Loop: Header=BB222_24 Depth=2
	s_or_b64 exec, exec, s[6:7]
	s_waitcnt vmcnt(0) lgkmcnt(0)
	v_mfma_f32_4x4x4_16b_bf16 v[20:23], v[40:41], v[32:33], v[20:23]
	s_addk_i32 s34, 0x200
	v_mfma_f32_4x4x4_16b_bf16 v[16:19], v[40:41], v[28:29], v[16:19]
	v_add_u32_e32 v67, 0x400, v67
	v_mfma_f32_4x4x4_16b_bf16 v[12:15], v[44:45], v[32:33], v[12:15]
	s_cmp_ge_u32 s34, s8
	v_mfma_f32_4x4x4_16b_bf16 v[8:11], v[44:45], v[28:29], v[8:11]
	v_mfma_f32_4x4x4_16b_bf16 v[0:3], v[48:49], v[32:33], v[0:3]
	;; [unrolled: 1-line block ×21, first 2 shown]
	s_cbranch_scc1 .LBB222_50
.LBB222_24:                             ;   Parent Loop BB222_19 Depth=1
                                        ; =>  This Inner Loop Header: Depth=2
	v_add_u32_e32 v78, s34, v80
	v_min_u32_e32 v68, s33, v78
	v_lshl_add_u64 v[24:25], v[68:69], 1, s[20:21]
	v_add_u32_e32 v76, 0x100, v78
	v_lshl_add_u64 v[26:27], v[24:25], 0, v[72:73]
	v_lshl_add_u64 v[24:25], v[24:25], 0, v[74:75]
	v_min_u32_e32 v68, s33, v76
	global_load_dwordx4 v[32:35], v[26:27], off nt
	global_load_dwordx4 v[28:31], v[24:25], off nt
	v_lshl_add_u64 v[24:25], v[68:69], 1, s[20:21]
	v_lshl_add_u64 v[40:41], v[24:25], 0, v[72:73]
	;; [unrolled: 1-line block ×3, first 2 shown]
	global_load_dwordx4 v[36:39], v[40:41], off nt
	global_load_dwordx4 v[24:27], v[42:43], off nt
	s_mov_b32 s5, s4
	v_cmp_gt_u32_e32 vcc, s8, v78
	v_mov_b64_e32 v[40:41], s[4:5]
	v_mov_b32_e32 v57, 0
	v_mov_b32_e32 v56, 0
	;; [unrolled: 1-line block ×4, first 2 shown]
	v_mov_b64_e32 v[42:43], s[4:5]
	v_mov_b64_e32 v[52:53], s[4:5]
	;; [unrolled: 1-line block ×9, first 2 shown]
	s_and_saveexec_b64 s[6:7], vcc
	s_cbranch_execz .LBB222_23
; %bb.25:                               ;   in Loop: Header=BB222_24 Depth=2
	v_cmp_lt_u32_e32 vcc, s10, v78
                                        ; implicit-def: $vgpr40_vgpr41
	s_and_saveexec_b64 s[28:29], vcc
	s_xor_b64 s[28:29], exec, s[28:29]
	s_cbranch_execz .LBB222_27
; %bb.26:                               ;   in Loop: Header=BB222_24 Depth=2
	v_mov_b32_e32 v79, v69
	v_lshl_add_u64 v[40:41], v[78:79], 1, s[16:17]
	global_load_dwordx4 v[40:43], v[40:41], off
.LBB222_27:                             ;   in Loop: Header=BB222_24 Depth=2
	s_andn2_saveexec_b64 s[28:29], s[28:29]
	s_cbranch_execz .LBB222_29
; %bb.28:                               ;   in Loop: Header=BB222_24 Depth=2
	s_waitcnt vmcnt(0)
	ds_read_b128 v[40:43], v67
.LBB222_29:                             ;   in Loop: Header=BB222_24 Depth=2
	s_or_b64 exec, exec, s[28:29]
	v_add_u32_e32 v68, s34, v84
	v_cmp_lt_u32_e32 vcc, s10, v68
                                        ; implicit-def: $vgpr44_vgpr45
	s_and_saveexec_b64 s[28:29], vcc
	s_xor_b64 s[28:29], exec, s[28:29]
	s_cbranch_execz .LBB222_31
; %bb.30:                               ;   in Loop: Header=BB222_24 Depth=2
	v_lshl_add_u64 v[44:45], v[68:69], 1, s[16:17]
	global_load_dwordx4 v[44:47], v[44:45], off
.LBB222_31:                             ;   in Loop: Header=BB222_24 Depth=2
	s_andn2_saveexec_b64 s[28:29], s[28:29]
	s_cbranch_execz .LBB222_33
; %bb.32:                               ;   in Loop: Header=BB222_24 Depth=2
	s_waitcnt vmcnt(0)
	v_add_u32_e32 v44, s40, v67
	ds_read_b128 v[44:47], v44
.LBB222_33:                             ;   in Loop: Header=BB222_24 Depth=2
	s_or_b64 exec, exec, s[28:29]
	v_add_u32_e32 v78, s34, v83
	v_cmp_lt_u32_e32 vcc, s10, v78
                                        ; implicit-def: $vgpr48_vgpr49
	s_and_saveexec_b64 s[28:29], vcc
	s_xor_b64 s[28:29], exec, s[28:29]
	s_cbranch_execz .LBB222_35
; %bb.34:                               ;   in Loop: Header=BB222_24 Depth=2
	v_mov_b32_e32 v79, v69
	v_lshl_add_u64 v[48:49], v[78:79], 1, s[16:17]
	global_load_dwordx4 v[48:51], v[48:49], off
.LBB222_35:                             ;   in Loop: Header=BB222_24 Depth=2
	s_andn2_saveexec_b64 s[28:29], s[28:29]
	s_cbranch_execz .LBB222_37
; %bb.36:                               ;   in Loop: Header=BB222_24 Depth=2
	s_waitcnt vmcnt(0)
	v_add_u32_e32 v50, s41, v67
	ds_read2_b32 v[48:49], v50 offset1:1
	ds_read2_b32 v[50:51], v50 offset0:2 offset1:3
.LBB222_37:                             ;   in Loop: Header=BB222_24 Depth=2
	s_or_b64 exec, exec, s[28:29]
	s_mov_b32 s27, s26
	v_cmp_gt_u32_e32 vcc, s8, v76
	v_mov_b32_e32 v57, 0
	v_mov_b64_e32 v[52:53], s[26:27]
	v_mov_b32_e32 v56, 0
	v_mov_b32_e32 v59, 0
	;; [unrolled: 1-line block ×3, first 2 shown]
	v_mov_b64_e32 v[54:55], s[26:27]
	v_mov_b64_e32 v[60:61], s[26:27]
	;; [unrolled: 1-line block ×3, first 2 shown]
	s_and_saveexec_b64 s[28:29], vcc
	s_cbranch_execz .LBB222_22
; %bb.38:                               ;   in Loop: Header=BB222_24 Depth=2
	v_cmp_lt_u32_e32 vcc, s10, v76
                                        ; implicit-def: $vgpr52_vgpr53
	s_and_saveexec_b64 s[30:31], vcc
	s_xor_b64 s[30:31], exec, s[30:31]
	s_cbranch_execz .LBB222_40
; %bb.39:                               ;   in Loop: Header=BB222_24 Depth=2
	v_mov_b32_e32 v77, v69
	v_lshl_add_u64 v[52:53], v[76:77], 1, s[16:17]
	global_load_dwordx4 v[52:55], v[52:53], off
.LBB222_40:                             ;   in Loop: Header=BB222_24 Depth=2
	s_andn2_saveexec_b64 s[30:31], s[30:31]
	s_cbranch_execz .LBB222_42
; %bb.41:                               ;   in Loop: Header=BB222_24 Depth=2
	s_waitcnt vmcnt(0)
	ds_read_b128 v[52:55], v67 offset:512
.LBB222_42:                             ;   in Loop: Header=BB222_24 Depth=2
	s_or_b64 exec, exec, s[30:31]
	v_add_u32_e32 v68, 0x100, v68
	v_cmp_lt_u32_e32 vcc, s10, v68
                                        ; implicit-def: $vgpr60_vgpr61
	s_and_saveexec_b64 s[30:31], vcc
	s_xor_b64 s[30:31], exec, s[30:31]
	s_cbranch_execz .LBB222_44
; %bb.43:                               ;   in Loop: Header=BB222_24 Depth=2
	v_lshl_add_u64 v[56:57], v[68:69], 1, s[16:17]
	global_load_dwordx4 v[60:63], v[56:57], off
.LBB222_44:                             ;   in Loop: Header=BB222_24 Depth=2
	s_andn2_saveexec_b64 s[30:31], s[30:31]
	s_cbranch_execz .LBB222_46
; %bb.45:                               ;   in Loop: Header=BB222_24 Depth=2
	v_add_u32_e32 v56, s40, v67
	s_waitcnt vmcnt(0)
	ds_read_b128 v[60:63], v56 offset:512
.LBB222_46:                             ;   in Loop: Header=BB222_24 Depth=2
	s_or_b64 exec, exec, s[30:31]
	v_add_u32_e32 v68, 0x100, v78
	v_cmp_lt_u32_e32 vcc, s10, v68
                                        ; implicit-def: $vgpr57
	s_and_saveexec_b64 s[30:31], vcc
	s_xor_b64 s[30:31], exec, s[30:31]
	s_cbranch_execz .LBB222_48
; %bb.47:                               ;   in Loop: Header=BB222_24 Depth=2
	v_lshl_add_u64 v[56:57], v[68:69], 1, s[16:17]
	global_load_dwordx4 v[56:59], v[56:57], off
.LBB222_48:                             ;   in Loop: Header=BB222_24 Depth=2
	s_andn2_saveexec_b64 s[30:31], s[30:31]
	s_cbranch_execz .LBB222_21
; %bb.49:                               ;   in Loop: Header=BB222_24 Depth=2
	s_waitcnt vmcnt(0)
	v_add_u32_e32 v58, s41, v67
	ds_read2_b32 v[56:57], v58 offset0:128 offset1:129
	ds_read2_b32 v[58:59], v58 offset0:130 offset1:131
	s_branch .LBB222_21
.LBB222_50:                             ;   in Loop: Header=BB222_19 Depth=1
	v_cvt_i32_f32_e32 v21, v21
	v_cvt_i32_f32_e32 v22, v22
	;; [unrolled: 1-line block ×4, first 2 shown]
	v_cvt_f32_i32_dpp v21, v21 row_shl:1 row_mask:0xf bank_mask:0xf bound_ctrl:1
	v_cvt_f32_i32_dpp v22, v22 row_shl:2 row_mask:0xf bank_mask:0xf bound_ctrl:1
	v_cvt_i32_f32_e32 v18, v18
	v_cvt_f32_i32_dpp v23, v23 row_shl:3 row_mask:0xf bank_mask:0xf bound_ctrl:1
	v_cvt_i32_f32_e32 v19, v19
	v_add_f32_e32 v20, v20, v21
	v_add_f32_e32 v20, v20, v22
	v_cvt_f32_i32_dpp v17, v17 row_shl:1 row_mask:0xf bank_mask:0xf bound_ctrl:1
	v_add_f32_e32 v20, v20, v23
	v_cvt_f32_i32_dpp v18, v18 row_shl:2 row_mask:0xf bank_mask:0xf bound_ctrl:1
	v_cvt_f32_i32_dpp v19, v19 row_shl:3 row_mask:0xf bank_mask:0xf bound_ctrl:1
	v_cvt_i32_f32_e32 v21, v20
	v_add_f32_e32 v16, v16, v17
	v_add_f32_e32 v16, v16, v18
	;; [unrolled: 1-line block ×3, first 2 shown]
	v_cvt_f32_i32_dpp v18, v21 row_shl:4 row_mask:0xf bank_mask:0xf bound_ctrl:1
	v_cvt_i32_f32_e32 v17, v16
	v_cvt_i32_f32_e32 v1, v1
	;; [unrolled: 1-line block ×3, first 2 shown]
	v_add_f32_e32 v18, v20, v18
	v_cvt_f32_i32_dpp v17, v17 row_shl:4 row_mask:0xf bank_mask:0xf bound_ctrl:1
	v_cvt_i32_f32_e32 v19, v18
	v_cvt_i32_f32_e32 v2, v2
	;; [unrolled: 1-line block ×3, first 2 shown]
	v_add_f32_e32 v16, v16, v17
	v_cvt_f32_i32_dpp v19, v19 row_shl:8 row_mask:0xf bank_mask:0xf bound_ctrl:1
	v_cvt_i32_f32_e32 v17, v16
	v_cvt_i32_f32_e32 v15, v15
	v_cvt_f32_i32_dpp v1, v1 row_shl:1 row_mask:0xf bank_mask:0xf bound_ctrl:1
	v_add_f32_e32 v18, v18, v19
	v_cvt_f32_i32_dpp v17, v17 row_shl:8 row_mask:0xf bank_mask:0xf bound_ctrl:1
	v_cvt_i32_f32_e32 v18, v18
	v_cvt_f32_i32_dpp v13, v13 row_shl:1 row_mask:0xf bank_mask:0xf bound_ctrl:1
	v_cvt_i32_f32_e32 v9, v9
	v_add_f32_e32 v16, v16, v17
	v_cvt_f32_i32_dpp v17, v18 row_shr:15 row_mask:0xf bank_mask:0xf bound_ctrl:1
	v_cvt_i32_f32_e32 v16, v16
	v_cvt_f32_i32_dpp v2, v2 row_shl:2 row_mask:0xf bank_mask:0xf bound_ctrl:1
	v_cvt_i32_f32_e32 v3, v3
	v_cvt_f32_i32_dpp v14, v14 row_shl:2 row_mask:0xf bank_mask:0xf bound_ctrl:1
	;; [unrolled: 2-line block ×3, first 2 shown]
	v_cvt_i32_f32_e32 v11, v11
	v_cvt_i32_f32_e32 v18, v17
	v_add_f32_e32 v0, v0, v1
	v_cvt_f32_i32_dpp v16, v16 row_shr:15 row_mask:0xf bank_mask:0xf bound_ctrl:1
	v_add_f32_e32 v12, v12, v13
	v_cvt_f32_i32_dpp v9, v9 row_shl:1 row_mask:0xf bank_mask:0xf bound_ctrl:1
	v_add_f32_e32 v0, v0, v2
	v_cvt_f32_i32_dpp v1, v3 row_shl:3 row_mask:0xf bank_mask:0xf bound_ctrl:1
	v_cvt_i32_f32_e32 v2, v5
	v_add_f32_e32 v12, v12, v14
	v_cvt_f32_i32_dpp v10, v10 row_shl:2 row_mask:0xf bank_mask:0xf bound_ctrl:1
	v_cvt_i32_f32_e32 v3, v6
	;; [unrolled: 3-line block ×3, first 2 shown]
	v_cvt_f32_i32_dpp v18, v18 row_bcast:15 row_mask:0xf bank_mask:0xf bound_ctrl:1
	v_cvt_i32_f32_e32 v12, v14
	v_cvt_i32_f32_e32 v19, v16
	v_add_f32_e32 v8, v8, v9
	v_add_f32_e32 v0, v0, v1
	v_cvt_f32_i32_dpp v1, v2 row_shl:1 row_mask:0xf bank_mask:0xf bound_ctrl:1
	v_add_f32_e32 v8, v8, v10
	v_cvt_f32_i32_dpp v2, v3 row_shl:2 row_mask:0xf bank_mask:0xf bound_ctrl:1
	;; [unrolled: 2-line block ×4, first 2 shown]
	v_cvt_i32_f32_e32 v10, v9
	v_cvt_f32_i32_dpp v15, v19 row_bcast:15 row_mask:0xf bank_mask:0xf bound_ctrl:1
	v_add_f32_e32 v1, v4, v1
	v_add_f32_e32 v1, v1, v2
	;; [unrolled: 1-line block ×4, first 2 shown]
	v_cvt_f32_i32_dpp v10, v10 row_shl:4 row_mask:0xf bank_mask:0xf bound_ctrl:1
	v_cvt_i32_f32_e32 v5, v0
	v_cvt_i32_f32_e32 v2, v1
	v_add_f32_e32 v12, v16, v15
	v_cvt_i32_f32_e32 v16, v14
	v_add_f32_e32 v9, v9, v10
	v_cvt_f32_i32_dpp v4, v5 row_shl:4 row_mask:0xf bank_mask:0xf bound_ctrl:1
	v_cvt_f32_i32_dpp v2, v2 row_shl:4 row_mask:0xf bank_mask:0xf bound_ctrl:1
	;; [unrolled: 1-line block ×3, first 2 shown]
	v_cvt_i32_f32_e32 v10, v9
	v_add_f32_e32 v0, v0, v4
	v_add_f32_e32 v1, v1, v2
	;; [unrolled: 1-line block ×3, first 2 shown]
	v_cvt_f32_i32_dpp v3, v10 row_shl:8 row_mask:0xf bank_mask:0xf bound_ctrl:1
	v_cvt_i32_f32_e32 v4, v0
	v_cvt_i32_f32_e32 v2, v1
	;; [unrolled: 1-line block ×3, first 2 shown]
	v_add_f32_e32 v3, v9, v3
	v_cvt_f32_i32_dpp v4, v4 row_shl:8 row_mask:0xf bank_mask:0xf bound_ctrl:1
	v_cvt_f32_i32_dpp v2, v2 row_shl:8 row_mask:0xf bank_mask:0xf bound_ctrl:1
	v_cvt_f32_i32_dpp v5, v14 row_shr:15 row_mask:0xf bank_mask:0xf bound_ctrl:1
	v_cvt_i32_f32_e32 v3, v3
	v_add_f32_e32 v0, v0, v4
	v_add_f32_e32 v1, v1, v2
	v_cvt_i32_f32_e32 v6, v5
	v_cvt_f32_i32_dpp v3, v3 row_shr:15 row_mask:0xf bank_mask:0xf bound_ctrl:1
	v_cvt_i32_f32_e32 v0, v0
	v_cvt_i32_f32_e32 v1, v1
	v_cvt_f32_i32_dpp v2, v6 row_bcast:15 row_mask:0xf bank_mask:0xf bound_ctrl:1
	v_cvt_i32_f32_e32 v4, v3
	v_cvt_f32_i32_dpp v0, v0 row_shr:15 row_mask:0xf bank_mask:0xf bound_ctrl:1
	v_cvt_f32_i32_dpp v1, v1 row_shr:15 row_mask:0xf bank_mask:0xf bound_ctrl:1
	v_add_f32_e32 v9, v5, v2
	v_cvt_f32_i32_dpp v4, v4 row_bcast:15 row_mask:0xf bank_mask:0xf bound_ctrl:1
	v_cvt_i32_f32_e32 v2, v0
	v_cvt_i32_f32_e32 v6, v1
	;; [unrolled: 1-line block ×3, first 2 shown]
	v_add_f32_e32 v5, v3, v4
	v_cvt_f32_i32_dpp v2, v2 row_bcast:15 row_mask:0xf bank_mask:0xf bound_ctrl:1
	v_cvt_f32_i32_dpp v3, v6 row_bcast:15 row_mask:0xf bank_mask:0xf bound_ctrl:1
	v_cvt_i32_f32_e32 v15, v12
	v_cvt_i32_f32_e32 v7, v9
	v_add_f32_e32 v2, v0, v2
	v_add_f32_e32 v0, v1, v3
	v_cvt_i32_f32_e32 v4, v5
	v_cvt_i32_f32_e32 v14, v2
	;; [unrolled: 1-line block ×3, first 2 shown]
	v_mov_b32_dpp v11, v18 row_bcast:31 row_mask:0xf bank_mask:0xf bound_ctrl:1
	v_mov_b32_dpp v8, v15 row_bcast:31 row_mask:0xf bank_mask:0xf bound_ctrl:1
	;; [unrolled: 1-line block ×6, first 2 shown]
	s_and_saveexec_b64 s[28:29], s[0:1]
	s_cbranch_execz .LBB222_89
; %bb.51:                               ;   in Loop: Header=BB222_19 Depth=1
	s_andn2_b64 vcc, exec, s[24:25]
	v_mov_b32_e32 v17, 0
	v_mov_b32_e32 v16, 0
	;; [unrolled: 1-line block ×6, first 2 shown]
	s_cbranch_vccnz .LBB222_53
; %bb.52:                               ;   in Loop: Header=BB222_19 Depth=1
	v_mul_hi_u32 v4, v66, v81
	v_mul_lo_u32 v4, v4, s18
	v_sub_u32_e32 v4, v66, v4
	v_subrev_u32_e32 v7, s18, v4
	v_cmp_le_u32_e32 vcc, s18, v4
	v_mov_b32_e32 v17, v69
	v_mov_b32_e32 v15, v69
	v_cndmask_b32_e32 v4, v4, v7, vcc
	v_subrev_u32_e32 v7, s18, v4
	v_cmp_le_u32_e32 vcc, s18, v4
	s_nop 1
	v_cndmask_b32_e32 v68, v4, v7, vcc
	v_mul_hi_u32 v4, v70, v81
	v_mul_lo_u32 v4, v4, s18
	v_sub_u32_e32 v4, v70, v4
	v_subrev_u32_e32 v7, s18, v4
	v_cmp_le_u32_e32 vcc, s18, v4
	v_lshl_add_u64 v[18:19], v[68:69], 1, s[12:13]
	v_add_u32_e32 v16, s38, v68
	v_cndmask_b32_e32 v4, v4, v7, vcc
	v_subrev_u32_e32 v7, s18, v4
	v_cmp_le_u32_e32 vcc, s18, v4
	v_add_u32_e32 v68, s39, v68
	v_lshl_add_u64 v[22:23], v[16:17], 1, s[12:13]
	v_cndmask_b32_e32 v14, v4, v7, vcc
	v_add_u32_e32 v16, s38, v14
	v_lshl_add_u64 v[26:27], v[68:69], 1, s[12:13]
	v_add_u32_e32 v68, s39, v14
	v_lshl_add_u64 v[20:21], v[14:15], 1, s[12:13]
	v_lshl_add_u64 v[24:25], v[16:17], 1, s[12:13]
	;; [unrolled: 1-line block ×3, first 2 shown]
	global_load_ushort v17, v[18:19], off
	global_load_ushort v16, v[20:21], off
	;; [unrolled: 1-line block ×6, first 2 shown]
.LBB222_53:                             ;   in Loop: Header=BB222_19 Depth=1
	v_cmp_ne_u32_e32 vcc, 0, v64
	s_and_saveexec_b64 s[6:7], vcc
	s_cbranch_execnz .LBB222_59
; %bb.54:                               ;   in Loop: Header=BB222_19 Depth=1
	s_or_b64 exec, exec, s[6:7]
	v_cmp_ne_u32_e64 s[4:5], 0, v65
	s_and_saveexec_b64 s[30:31], s[4:5]
	s_cbranch_execnz .LBB222_64
.LBB222_55:                             ;   in Loop: Header=BB222_19 Depth=1
	s_or_b64 exec, exec, s[30:31]
	v_add_u32_e32 v68, s11, v66
	s_and_saveexec_b64 s[30:31], vcc
	s_cbranch_execnz .LBB222_69
.LBB222_56:                             ;   in Loop: Header=BB222_19 Depth=1
	s_or_b64 exec, exec, s[30:31]
	s_and_saveexec_b64 s[30:31], s[4:5]
	s_cbranch_execnz .LBB222_74
.LBB222_57:                             ;   in Loop: Header=BB222_19 Depth=1
	s_or_b64 exec, exec, s[30:31]
	v_add_u32_e32 v68, s11, v68
	s_and_saveexec_b64 s[6:7], vcc
	s_cbranch_execnz .LBB222_79
.LBB222_58:                             ;   in Loop: Header=BB222_19 Depth=1
	s_or_b64 exec, exec, s[6:7]
	s_and_b64 exec, exec, s[4:5]
	s_cbranch_execnz .LBB222_84
	s_branch .LBB222_89
.LBB222_59:                             ;   in Loop: Header=BB222_19 Depth=1
	v_cvt_f32_i32_e32 v11, v11
	v_add_f32_e32 v11, v13, v11
	s_waitcnt vmcnt(5)
	v_lshlrev_b32_e32 v13, 16, v17
	v_add_f32_e32 v13, v11, v13
	v_and_b32_e32 v11, 0x7f800000, v13
	v_cmp_ne_u32_e64 s[4:5], s42, v11
                                        ; implicit-def: $vgpr11
	s_and_saveexec_b64 s[30:31], s[4:5]
	s_xor_b64 s[4:5], exec, s[30:31]
; %bb.60:                               ;   in Loop: Header=BB222_19 Depth=1
	v_bfe_u32 v11, v13, 16, 1
	v_add3_u32 v11, v13, v11, s10
                                        ; implicit-def: $vgpr13
; %bb.61:                               ;   in Loop: Header=BB222_19 Depth=1
	s_andn2_saveexec_b64 s[30:31], s[4:5]
; %bb.62:                               ;   in Loop: Header=BB222_19 Depth=1
	v_or_b32_e32 v11, 0x10000, v13
	v_cmp_eq_u32_sdwa s[4:5], v13, v69 src0_sel:WORD_0 src1_sel:DWORD
	s_nop 1
	v_cndmask_b32_e64 v11, v11, v13, s[4:5]
; %bb.63:                               ;   in Loop: Header=BB222_19 Depth=1
	s_or_b64 exec, exec, s[30:31]
	v_mov_b32_e32 v67, v69
	v_lshl_add_u64 v[18:19], v[66:67], 1, s[14:15]
	global_store_short_d16_hi v[18:19], v11, off
	s_or_b64 exec, exec, s[6:7]
	v_cmp_ne_u32_e64 s[4:5], 0, v65
	s_and_saveexec_b64 s[30:31], s[4:5]
	s_cbranch_execz .LBB222_55
.LBB222_64:                             ;   in Loop: Header=BB222_19 Depth=1
	v_cvt_f32_i32_e32 v8, v8
	s_waitcnt vmcnt(4)
	v_lshlrev_b32_e32 v11, 16, v16
	v_add_f32_e32 v8, v12, v8
	v_add_f32_e32 v11, v8, v11
	v_and_b32_e32 v8, 0x7f800000, v11
	v_cmp_ne_u32_e64 s[6:7], s42, v8
                                        ; implicit-def: $vgpr8
	s_and_saveexec_b64 s[34:35], s[6:7]
	s_xor_b64 s[6:7], exec, s[34:35]
; %bb.65:                               ;   in Loop: Header=BB222_19 Depth=1
	v_bfe_u32 v8, v11, 16, 1
	v_add3_u32 v8, v11, v8, s10
                                        ; implicit-def: $vgpr11
; %bb.66:                               ;   in Loop: Header=BB222_19 Depth=1
	s_andn2_saveexec_b64 s[34:35], s[6:7]
; %bb.67:                               ;   in Loop: Header=BB222_19 Depth=1
	v_or_b32_e32 v8, 0x10000, v11
	v_cmp_eq_u32_sdwa s[6:7], v11, v69 src0_sel:WORD_0 src1_sel:DWORD
	s_nop 1
	v_cndmask_b32_e64 v8, v8, v11, s[6:7]
; %bb.68:                               ;   in Loop: Header=BB222_19 Depth=1
	s_or_b64 exec, exec, s[34:35]
	v_mov_b32_e32 v71, v69
	v_lshl_add_u64 v[12:13], v[70:71], 1, s[14:15]
	global_store_short_d16_hi v[12:13], v8, off
	s_or_b64 exec, exec, s[30:31]
	v_add_u32_e32 v68, s11, v66
	s_and_saveexec_b64 s[30:31], vcc
	s_cbranch_execz .LBB222_56
.LBB222_69:                             ;   in Loop: Header=BB222_19 Depth=1
	v_cvt_f32_i32_e32 v8, v10
	v_add_f32_e32 v8, v9, v8
	s_waitcnt vmcnt(3)
	v_lshlrev_b32_e32 v9, 16, v15
	v_add_f32_e32 v9, v8, v9
	v_and_b32_e32 v8, 0x7f800000, v9
	v_cmp_ne_u32_e64 s[6:7], s42, v8
                                        ; implicit-def: $vgpr8
	s_and_saveexec_b64 s[34:35], s[6:7]
	s_xor_b64 s[6:7], exec, s[34:35]
; %bb.70:                               ;   in Loop: Header=BB222_19 Depth=1
	v_bfe_u32 v8, v9, 16, 1
	v_add3_u32 v8, v9, v8, s10
                                        ; implicit-def: $vgpr9
; %bb.71:                               ;   in Loop: Header=BB222_19 Depth=1
	s_andn2_saveexec_b64 s[34:35], s[6:7]
; %bb.72:                               ;   in Loop: Header=BB222_19 Depth=1
	v_or_b32_e32 v8, 0x10000, v9
	v_cmp_eq_u32_sdwa s[6:7], v9, v69 src0_sel:WORD_0 src1_sel:DWORD
	s_nop 1
	v_cndmask_b32_e64 v8, v8, v9, s[6:7]
; %bb.73:                               ;   in Loop: Header=BB222_19 Depth=1
	s_or_b64 exec, exec, s[34:35]
	v_lshl_add_u64 v[10:11], v[68:69], 1, s[14:15]
	global_store_short_d16_hi v[10:11], v8, off
	s_or_b64 exec, exec, s[30:31]
	s_and_saveexec_b64 s[30:31], s[4:5]
	s_cbranch_execz .LBB222_57
.LBB222_74:                             ;   in Loop: Header=BB222_19 Depth=1
	v_cvt_f32_i32_e32 v6, v6
	v_add_f32_e32 v5, v5, v6
	s_waitcnt vmcnt(2)
	v_lshlrev_b32_e32 v6, 16, v14
	v_add_f32_e32 v6, v5, v6
	v_and_b32_e32 v5, 0x7f800000, v6
	v_cmp_ne_u32_e64 s[6:7], s42, v5
                                        ; implicit-def: $vgpr5
	s_and_saveexec_b64 s[34:35], s[6:7]
	s_xor_b64 s[6:7], exec, s[34:35]
; %bb.75:                               ;   in Loop: Header=BB222_19 Depth=1
	v_bfe_u32 v5, v6, 16, 1
	v_add3_u32 v5, v6, v5, s10
                                        ; implicit-def: $vgpr6
; %bb.76:                               ;   in Loop: Header=BB222_19 Depth=1
	s_andn2_saveexec_b64 s[34:35], s[6:7]
; %bb.77:                               ;   in Loop: Header=BB222_19 Depth=1
	v_or_b32_e32 v5, 0x10000, v6
	v_cmp_eq_u32_sdwa s[6:7], v6, v69 src0_sel:WORD_0 src1_sel:DWORD
	s_nop 1
	v_cndmask_b32_e64 v5, v5, v6, s[6:7]
; %bb.78:                               ;   in Loop: Header=BB222_19 Depth=1
	s_or_b64 exec, exec, s[34:35]
	v_add_u32_e32 v8, 1, v68
	v_mov_b32_e32 v9, v69
	v_lshl_add_u64 v[8:9], v[8:9], 1, s[14:15]
	global_store_short_d16_hi v[8:9], v5, off
	s_or_b64 exec, exec, s[30:31]
	v_add_u32_e32 v68, s11, v68
	s_and_saveexec_b64 s[6:7], vcc
	s_cbranch_execz .LBB222_58
.LBB222_79:                             ;   in Loop: Header=BB222_19 Depth=1
	v_cvt_f32_i32_e32 v3, v3
	v_add_f32_e32 v2, v2, v3
	s_waitcnt vmcnt(1)
	v_lshlrev_b32_e32 v3, 16, v7
	v_add_f32_e32 v3, v2, v3
	v_and_b32_e32 v2, 0x7f800000, v3
	v_cmp_ne_u32_e32 vcc, s42, v2
                                        ; implicit-def: $vgpr2
	s_and_saveexec_b64 s[30:31], vcc
	s_xor_b64 s[30:31], exec, s[30:31]
; %bb.80:                               ;   in Loop: Header=BB222_19 Depth=1
	v_bfe_u32 v2, v3, 16, 1
	v_add3_u32 v2, v3, v2, s10
                                        ; implicit-def: $vgpr3
; %bb.81:                               ;   in Loop: Header=BB222_19 Depth=1
	s_andn2_saveexec_b64 s[30:31], s[30:31]
; %bb.82:                               ;   in Loop: Header=BB222_19 Depth=1
	v_or_b32_e32 v2, 0x10000, v3
	v_cmp_eq_u32_sdwa vcc, v3, v69 src0_sel:WORD_0 src1_sel:DWORD
	s_nop 1
	v_cndmask_b32_e32 v2, v2, v3, vcc
; %bb.83:                               ;   in Loop: Header=BB222_19 Depth=1
	s_or_b64 exec, exec, s[30:31]
	v_lshl_add_u64 v[6:7], v[68:69], 1, s[14:15]
	global_store_short_d16_hi v[6:7], v2, off
	s_or_b64 exec, exec, s[6:7]
	s_and_b64 exec, exec, s[4:5]
	s_cbranch_execz .LBB222_89
.LBB222_84:                             ;   in Loop: Header=BB222_19 Depth=1
	v_cvt_f32_i32_e32 v1, v1
	v_add_f32_e32 v0, v0, v1
	s_waitcnt vmcnt(0)
	v_lshlrev_b32_e32 v1, 16, v4
	v_add_f32_e32 v1, v0, v1
	v_and_b32_e32 v0, 0x7f800000, v1
	v_cmp_ne_u32_e32 vcc, s42, v0
                                        ; implicit-def: $vgpr0
	s_and_saveexec_b64 s[4:5], vcc
	s_xor_b64 s[4:5], exec, s[4:5]
; %bb.85:                               ;   in Loop: Header=BB222_19 Depth=1
	v_bfe_u32 v0, v1, 16, 1
	v_add3_u32 v0, v1, v0, s10
                                        ; implicit-def: $vgpr1
; %bb.86:                               ;   in Loop: Header=BB222_19 Depth=1
	s_andn2_saveexec_b64 s[4:5], s[4:5]
; %bb.87:                               ;   in Loop: Header=BB222_19 Depth=1
	v_or_b32_e32 v0, 0x10000, v1
	v_cmp_eq_u32_sdwa vcc, v1, v69 src0_sel:WORD_0 src1_sel:DWORD
	s_nop 1
	v_cndmask_b32_e32 v0, v0, v1, vcc
; %bb.88:                               ;   in Loop: Header=BB222_19 Depth=1
	s_or_b64 exec, exec, s[4:5]
	v_add_u32_e32 v68, 1, v68
	v_lshl_add_u64 v[2:3], v[68:69], 1, s[14:15]
	global_store_short_d16_hi v[2:3], v0, off
.LBB222_89:                             ;   in Loop: Header=BB222_19 Depth=1
	s_or_b64 exec, exec, s[28:29]
	v_add_u32_e32 v66, s37, v66
	v_add_u32_e32 v0, 2, v66
	v_cmp_gt_u32_e32 vcc, s11, v66
	v_cmp_le_u32_e64 s[4:5], s11, v0
	s_and_b64 s[4:5], vcc, s[4:5]
	s_and_saveexec_b64 s[6:7], s[4:5]
	s_cbranch_execz .LBB222_18
; %bb.90:                               ;   in Loop: Header=BB222_19 Depth=1
	v_cmp_ne_u32_e32 vcc, s19, v66
	s_and_saveexec_b64 s[28:29], vcc
	s_cbranch_execz .LBB222_17
; %bb.91:                               ;   in Loop: Header=BB222_19 Depth=1
	v_subrev_u32_e32 v0, s19, v66
	v_cmp_lt_u32_e32 vcc, 1, v0
	s_mov_b64 s[30:31], 0
	s_mov_b64 s[34:35], 0
	v_cndmask_b32_e32 v0, 1, v0, vcc
.LBB222_92:                             ;   Parent Loop BB222_19 Depth=1
                                        ; =>  This Inner Loop Header: Depth=2
	s_cmp_lg_u32 s34, 1
	s_cselect_b64 vcc, -1, 0
	s_cmp_lg_u32 s34, 0
	v_cndmask_b32_e32 v65, 0, v65, vcc
	s_cselect_b64 vcc, -1, 0
	s_add_u32 s34, s34, 1
	s_addc_u32 s35, s35, 0
	v_cmp_eq_u32_e64 s[4:5], s34, v0
	s_or_b64 s[30:31], s[4:5], s[30:31]
	v_cndmask_b32_e32 v64, 0, v64, vcc
	s_andn2_b64 exec, exec, s[30:31]
	s_cbranch_execnz .LBB222_92
; %bb.93:                               ;   in Loop: Header=BB222_19 Depth=1
	s_or_b64 exec, exec, s[30:31]
	s_branch .LBB222_17
.LBB222_94:
	s_endpgm
	.section	.rodata,"a",@progbits
	.p2align	6, 0x0
	.amdhsa_kernel _Z12wvSplitK_hf_I14__hip_bfloat16Li32ELi2ELi16ELi8ELi2ELi3EEviiiiiiPKT_S3_S3_PS1_ii
		.amdhsa_group_segment_fixed_size 65536
		.amdhsa_private_segment_fixed_size 0
		.amdhsa_kernarg_size 64
		.amdhsa_user_sgpr_count 2
		.amdhsa_user_sgpr_dispatch_ptr 0
		.amdhsa_user_sgpr_queue_ptr 0
		.amdhsa_user_sgpr_kernarg_segment_ptr 1
		.amdhsa_user_sgpr_dispatch_id 0
		.amdhsa_user_sgpr_kernarg_preload_length 0
		.amdhsa_user_sgpr_kernarg_preload_offset 0
		.amdhsa_user_sgpr_private_segment_size 0
		.amdhsa_uses_dynamic_stack 0
		.amdhsa_enable_private_segment 0
		.amdhsa_system_sgpr_workgroup_id_x 1
		.amdhsa_system_sgpr_workgroup_id_y 0
		.amdhsa_system_sgpr_workgroup_id_z 0
		.amdhsa_system_sgpr_workgroup_info 0
		.amdhsa_system_vgpr_workitem_id 1
		.amdhsa_next_free_vgpr 85
		.amdhsa_next_free_sgpr 43
		.amdhsa_accum_offset 88
		.amdhsa_reserve_vcc 1
		.amdhsa_float_round_mode_32 0
		.amdhsa_float_round_mode_16_64 0
		.amdhsa_float_denorm_mode_32 3
		.amdhsa_float_denorm_mode_16_64 3
		.amdhsa_dx10_clamp 1
		.amdhsa_ieee_mode 1
		.amdhsa_fp16_overflow 0
		.amdhsa_tg_split 0
		.amdhsa_exception_fp_ieee_invalid_op 0
		.amdhsa_exception_fp_denorm_src 0
		.amdhsa_exception_fp_ieee_div_zero 0
		.amdhsa_exception_fp_ieee_overflow 0
		.amdhsa_exception_fp_ieee_underflow 0
		.amdhsa_exception_fp_ieee_inexact 0
		.amdhsa_exception_int_div_zero 0
	.end_amdhsa_kernel
	.section	.text._Z12wvSplitK_hf_I14__hip_bfloat16Li32ELi2ELi16ELi8ELi2ELi3EEviiiiiiPKT_S3_S3_PS1_ii,"axG",@progbits,_Z12wvSplitK_hf_I14__hip_bfloat16Li32ELi2ELi16ELi8ELi2ELi3EEviiiiiiPKT_S3_S3_PS1_ii,comdat
.Lfunc_end222:
	.size	_Z12wvSplitK_hf_I14__hip_bfloat16Li32ELi2ELi16ELi8ELi2ELi3EEviiiiiiPKT_S3_S3_PS1_ii, .Lfunc_end222-_Z12wvSplitK_hf_I14__hip_bfloat16Li32ELi2ELi16ELi8ELi2ELi3EEviiiiiiPKT_S3_S3_PS1_ii
                                        ; -- End function
	.section	.AMDGPU.csdata,"",@progbits
; Kernel info:
; codeLenInByte = 4124
; NumSgprs: 49
; NumVgprs: 85
; NumAgprs: 0
; TotalNumVgprs: 85
; ScratchSize: 0
; MemoryBound: 1
; FloatMode: 240
; IeeeMode: 1
; LDSByteSize: 65536 bytes/workgroup (compile time only)
; SGPRBlocks: 6
; VGPRBlocks: 10
; NumSGPRsForWavesPerEU: 49
; NumVGPRsForWavesPerEU: 85
; AccumOffset: 88
; Occupancy: 2
; WaveLimiterHint : 0
; COMPUTE_PGM_RSRC2:SCRATCH_EN: 0
; COMPUTE_PGM_RSRC2:USER_SGPR: 2
; COMPUTE_PGM_RSRC2:TRAP_HANDLER: 0
; COMPUTE_PGM_RSRC2:TGID_X_EN: 1
; COMPUTE_PGM_RSRC2:TGID_Y_EN: 0
; COMPUTE_PGM_RSRC2:TGID_Z_EN: 0
; COMPUTE_PGM_RSRC2:TIDIG_COMP_CNT: 1
; COMPUTE_PGM_RSRC3_GFX90A:ACCUM_OFFSET: 21
; COMPUTE_PGM_RSRC3_GFX90A:TG_SPLIT: 0
	.section	.text._Z16wvSplitK_hf_big_I14__hip_bfloat16Li32ELi2ELi16ELi8ELi2ELi3EEviiiiiiPKT_S3_S3_PS1_ii,"axG",@progbits,_Z16wvSplitK_hf_big_I14__hip_bfloat16Li32ELi2ELi16ELi8ELi2ELi3EEviiiiiiPKT_S3_S3_PS1_ii,comdat
	.protected	_Z16wvSplitK_hf_big_I14__hip_bfloat16Li32ELi2ELi16ELi8ELi2ELi3EEviiiiiiPKT_S3_S3_PS1_ii ; -- Begin function _Z16wvSplitK_hf_big_I14__hip_bfloat16Li32ELi2ELi16ELi8ELi2ELi3EEviiiiiiPKT_S3_S3_PS1_ii
	.globl	_Z16wvSplitK_hf_big_I14__hip_bfloat16Li32ELi2ELi16ELi8ELi2ELi3EEviiiiiiPKT_S3_S3_PS1_ii
	.p2align	8
	.type	_Z16wvSplitK_hf_big_I14__hip_bfloat16Li32ELi2ELi16ELi8ELi2ELi3EEviiiiiiPKT_S3_S3_PS1_ii,@function
_Z16wvSplitK_hf_big_I14__hip_bfloat16Li32ELi2ELi16ELi8ELi2ELi3EEviiiiiiPKT_S3_S3_PS1_ii: ; @_Z16wvSplitK_hf_big_I14__hip_bfloat16Li32ELi2ELi16ELi8ELi2ELi3EEviiiiiiPKT_S3_S3_PS1_ii
; %bb.0:
	s_load_dwordx2 s[4:5], s[0:1], 0x38
	v_bfe_u32 v1, v0, 10, 10
	s_waitcnt lgkmcnt(0)
	v_cmp_gt_u32_e32 vcc, s4, v1
	s_and_saveexec_b64 s[6:7], vcc
	s_cbranch_execz .LBB223_76
; %bb.1:
	s_load_dwordx4 s[20:23], s[0:1], 0x0
	s_mul_i32 s2, s2, s4
	v_add_lshl_u32 v66, s2, v1, 1
	s_mov_b32 s6, 1
	v_add_u32_e32 v2, 2, v66
	s_waitcnt lgkmcnt(0)
	v_cmp_gt_u32_e32 vcc, s23, v66
	v_cmp_le_u32_e64 s[2:3], s23, v2
	s_mov_b32 s7, s6
	s_and_b64 s[8:9], vcc, s[2:3]
	v_mov_b64_e32 v[64:65], s[6:7]
	s_and_saveexec_b64 s[2:3], s[8:9]
	s_cbranch_execz .LBB223_7
; %bb.2:
	s_add_i32 s14, s23, -2
	v_cmp_ne_u32_e32 vcc, s14, v66
	v_mov_b64_e32 v[64:65], s[6:7]
	s_and_saveexec_b64 s[6:7], vcc
	s_cbranch_execz .LBB223_6
; %bb.3:
	v_subrev_u32_e32 v2, s14, v66
	s_mov_b32 s8, 1
	v_cmp_lt_u32_e32 vcc, 1, v2
	s_mov_b64 s[10:11], 0
	s_mov_b64 s[12:13], 0
	v_cndmask_b32_e32 v2, 1, v2, vcc
	s_mov_b32 s9, s8
.LBB223_4:                              ; =>This Inner Loop Header: Depth=1
	s_cmp_lg_u32 s12, 1
	s_cselect_b32 s9, s9, 0
	s_cmp_lg_u32 s12, 0
	s_cselect_b32 s8, s8, 0
	s_add_u32 s12, s12, 1
	s_addc_u32 s13, s13, 0
	v_cmp_eq_u32_e32 vcc, s12, v2
	s_or_b64 s[10:11], vcc, s[10:11]
	v_mov_b64_e32 v[64:65], s[8:9]
	s_andn2_b64 exec, exec, s[10:11]
	s_cbranch_execnz .LBB223_4
; %bb.5:
	s_or_b64 exec, exec, s[10:11]
	v_mov_b32_e32 v66, s14
.LBB223_6:
	s_or_b64 exec, exec, s[6:7]
.LBB223_7:
	s_or_b64 exec, exec, s[2:3]
	s_lshl_b32 s2, s4, 1
	s_abs_i32 s3, s2
	v_cvt_f32_u32_e32 v2, s3
	s_sub_i32 s8, 0, s3
	s_abs_i32 s7, s23
	s_ashr_i32 s6, s23, 31
	v_rcp_iflag_f32_e32 v2, v2
	s_nop 0
	v_mul_f32_e32 v2, 0x4f7ffffe, v2
	v_cvt_u32_f32_e32 v2, v2
	s_nop 0
	v_readfirstlane_b32 s9, v2
	s_mul_i32 s8, s8, s9
	s_mul_hi_u32 s8, s9, s8
	s_add_i32 s9, s9, s8
	s_mul_hi_u32 s8, s7, s9
	s_mul_i32 s8, s8, s3
	s_sub_i32 s7, s7, s8
	s_sub_i32 s8, s7, s3
	s_cmp_ge_u32 s7, s3
	s_cselect_b32 s7, s8, s7
	s_sub_i32 s8, s7, s3
	s_cmp_ge_u32 s7, s3
	s_cselect_b32 s3, s8, s7
	s_xor_b32 s3, s3, s6
	s_sub_i32 s3, s3, s6
	s_add_i32 s2, s2, s23
	s_sub_i32 s2, s2, s3
	s_cmp_eq_u32 s3, 0
	s_cselect_b32 s33, s23, s2
	v_cmp_gt_u32_e32 vcc, s33, v66
	s_and_b64 exec, exec, vcc
	s_cbranch_execz .LBB223_76
; %bb.8:
	s_load_dwordx8 s[12:19], s[0:1], 0x10
	s_min_u32 s40, s22, 0x2a00
	s_cmp_lg_u32 s20, 0
	s_load_dwordx2 s[10:11], s[0:1], 0x30
	s_cselect_b64 s[2:3], -1, 0
	s_cmp_lg_u32 s22, 0
	s_mul_i32 s0, s5, s4
	s_cselect_b64 s[6:7], -1, 0
	s_lshl_b32 s41, s4, 8
	s_add_i32 s42, s20, -8
	s_add_i32 s43, s23, -1
	s_lshl_b32 s44, s0, 1
	s_waitcnt lgkmcnt(0)
	s_cmp_lg_u64 s[18:19], 0
	s_cselect_b64 s[26:27], -1, 0
	s_abs_i32 s5, s13
	v_cvt_f32_u32_e32 v2, s12
	v_cvt_f32_u32_e32 v3, s5
	s_sub_i32 s8, 0, s12
	s_add_i32 s13, s23, -2
	v_rcp_iflag_f32_e32 v2, v2
	v_rcp_iflag_f32_e32 v3, v3
	v_and_b32_e32 v0, 0x3ff, v0
	v_lshlrev_b32_e32 v74, 3, v0
	v_mul_f32_e32 v2, 0x4f7ffffe, v2
	v_mul_f32_e32 v3, 0x4f7ffffe, v3
	v_cvt_u32_f32_e32 v2, v2
	v_cvt_u32_f32_e32 v3, v3
	v_cmp_eq_u32_e64 s[0:1], 31, v0
	v_lshlrev_b32_e32 v0, 4, v0
	v_mul_lo_u32 v4, s8, v2
	s_sub_i32 s8, 0, s5
	v_readfirstlane_b32 s9, v3
	s_mul_i32 s8, s8, s9
	s_mul_hi_u32 s8, s9, s8
	s_add_i32 s9, s9, s8
	s_sub_i32 s8, 1, s5
	s_cmp_lt_u32 s5, 2
	s_cselect_b32 s8, s8, 1
	s_sub_i32 s28, s8, s5
	s_cmp_ge_u32 s8, s5
	s_cselect_b32 s45, s28, s8
	s_lshr_b32 s8, s9, 31
	s_mul_i32 s8, s8, s5
	s_sub_i32 s8, 2, s8
	s_sub_i32 s9, s8, s5
	s_cmp_ge_u32 s8, s5
	s_cselect_b32 s8, s9, s8
	s_sub_i32 s9, s8, s5
	s_cmp_ge_u32 s8, s5
	v_lshl_add_u32 v76, v1, 9, v0
	v_cndmask_b32_e64 v0, 0, 1, s[2:3]
	v_mul_hi_u32 v4, v2, v4
	s_cselect_b32 s46, s9, s8
	s_add_u32 s28, s10, 2
	v_lshl_add_u32 v77, v1, 8, v74
	v_cmp_ne_u32_e64 s[2:3], 1, v0
	v_cndmask_b32_e64 v0, 0, 1, s[6:7]
	s_mov_b64 s[24:25], 0
	v_add_u32_e32 v75, v2, v4
	v_mov_b32_e32 v69, 0
	s_mul_i32 s45, s45, s12
	s_mul_i32 s46, s46, s12
	s_addc_u32 s29, s11, 0
	s_lshl_b32 s47, s40, 2
	s_lshl_b32 s48, s4, 9
	s_lshl_b32 s49, s40, 1
	v_lshl_add_u32 v78, s22, 1, v77
	v_add_u32_e32 v79, s22, v77
	v_cmp_ne_u32_e64 s[4:5], 1, v0
	s_mov_b32 s50, 0x7f800000
	s_movk_i32 s51, 0x7fff
	s_branch .LBB223_12
.LBB223_9:                              ;   in Loop: Header=BB223_12 Depth=1
	s_or_b64 exec, exec, s[34:35]
	v_mov_b32_e32 v66, s13
.LBB223_10:                             ;   in Loop: Header=BB223_12 Depth=1
	s_or_b64 exec, exec, s[8:9]
.LBB223_11:                             ;   in Loop: Header=BB223_12 Depth=1
	s_or_b64 exec, exec, s[30:31]
	v_cmp_le_u32_e32 vcc, s33, v66
	s_or_b64 s[24:25], vcc, s[24:25]
	s_andn2_b64 exec, exec, s[24:25]
	s_cbranch_execz .LBB223_76
.LBB223_12:                             ; =>This Loop Header: Depth=1
                                        ;     Child Loop BB223_17 Depth 2
                                        ;       Child Loop BB223_22 Depth 3
                                        ;     Child Loop BB223_74 Depth 2
	s_and_b64 vcc, exec, s[2:3]
	v_mov_b32_e32 v3, v69
	v_mov_b32_e32 v2, v69
	;; [unrolled: 1-line block ×4, first 2 shown]
	s_waitcnt vmcnt(1)
	v_mov_b32_e32 v7, v69
	v_mov_b32_e32 v6, v69
	;; [unrolled: 1-line block ×3, first 2 shown]
	s_waitcnt vmcnt(0)
	v_mov_b32_e32 v4, v69
	v_mov_b32_e32 v11, v69
	;; [unrolled: 1-line block ×17, first 2 shown]
	s_cbranch_vccnz .LBB223_29
; %bb.13:                               ;   in Loop: Header=BB223_12 Depth=1
	v_min_u32_e32 v0, s43, v66
	v_mul_lo_u32 v68, v0, s21
	v_add_u32_e32 v0, 1, v66
	v_min_u32_e32 v0, s43, v0
	v_mul_lo_u32 v0, v0, s21
	v_mov_b32_e32 v1, v69
	v_mov_b32_e32 v16, 0
	v_cmp_gt_u32_e64 s[6:7], s23, v66
	s_mov_b32 s36, 0
	v_lshlrev_b64 v[70:71], 1, v[68:69]
	v_lshlrev_b64 v[72:73], 1, v[0:1]
	s_mov_b32 s37, 0
	v_mov_b32_e32 v17, v16
	v_mov_b32_e32 v18, v16
	;; [unrolled: 1-line block ×23, first 2 shown]
	s_branch .LBB223_17
.LBB223_14:                             ;   in Loop: Header=BB223_17 Depth=2
	s_or_b64 exec, exec, s[34:35]
.LBB223_15:                             ;   in Loop: Header=BB223_17 Depth=2
	s_or_b64 exec, exec, s[30:31]
	s_waitcnt vmcnt(3) lgkmcnt(2)
	v_mfma_f32_4x4x4_16b_bf16 v[20:23], v[60:61], v[36:37], v[20:23]
	s_waitcnt vmcnt(2)
	v_mfma_f32_4x4x4_16b_bf16 v[16:19], v[60:61], v[32:33], v[16:19]
	s_waitcnt lgkmcnt(1)
	v_mfma_f32_4x4x4_16b_bf16 v[12:15], v[56:57], v[36:37], v[12:15]
	v_mfma_f32_4x4x4_16b_bf16 v[8:11], v[56:57], v[32:33], v[8:11]
	s_waitcnt lgkmcnt(0)
	v_mfma_f32_4x4x4_16b_bf16 v[4:7], v[52:53], v[36:37], v[4:7]
	v_mfma_f32_4x4x4_16b_bf16 v[0:3], v[52:53], v[32:33], v[0:3]
	;; [unrolled: 1-line block ×8, first 2 shown]
	s_waitcnt vmcnt(1)
	v_mfma_f32_4x4x4_16b_bf16 v[20:23], v[48:49], v[28:29], v[20:23]
	s_waitcnt vmcnt(0)
	v_mfma_f32_4x4x4_16b_bf16 v[16:19], v[48:49], v[24:25], v[16:19]
	v_mfma_f32_4x4x4_16b_bf16 v[12:15], v[44:45], v[28:29], v[12:15]
	;; [unrolled: 1-line block ×11, first 2 shown]
.LBB223_16:                             ;   in Loop: Header=BB223_17 Depth=2
	s_or_b64 exec, exec, s[8:9]
	s_addk_i32 s37, 0x200
	s_cmp_ge_u32 s37, s20
	s_cbranch_scc1 .LBB223_29
.LBB223_17:                             ;   Parent Loop BB223_12 Depth=1
                                        ; =>  This Loop Header: Depth=2
                                        ;       Child Loop BB223_22 Depth 3
	s_cmp_eq_u32 s37, 0
	s_cselect_b64 s[8:9], -1, 0
	s_add_i32 s30, s36, s40
	s_cmp_eq_u32 s37, s30
	s_cselect_b64 s[34:35], -1, 0
	s_or_b64 s[34:35], s[8:9], s[34:35]
	s_andn2_b64 vcc, exec, s[34:35]
	s_cbranch_vccz .LBB223_19
; %bb.18:                               ;   in Loop: Header=BB223_17 Depth=2
	s_and_saveexec_b64 s[8:9], s[6:7]
	s_cbranch_execz .LBB223_16
	s_branch .LBB223_26
.LBB223_19:                             ;   in Loop: Header=BB223_17 Depth=2
	s_and_b64 s[8:9], s[8:9], exec
	s_cselect_b32 s36, s36, s30
	s_and_b64 vcc, exec, s[4:5]
	s_barrier
	s_cbranch_vccnz .LBB223_25
; %bb.20:                               ;   in Loop: Header=BB223_17 Depth=2
	v_add_u32_e32 v24, s36, v78
	v_add_u32_e32 v25, s36, v79
	;; [unrolled: 1-line block ×3, first 2 shown]
	s_mov_b32 s38, 0
	s_mov_b64 s[30:31], 0
	v_mov_b32_e32 v27, v76
                                        ; implicit-def: $sgpr34_sgpr35
	s_branch .LBB223_22
.LBB223_21:                             ;   in Loop: Header=BB223_22 Depth=3
	s_or_b64 exec, exec, s[8:9]
	s_and_b64 s[8:9], exec, s[34:35]
	s_or_b64 s[30:31], s[8:9], s[30:31]
	s_andn2_b64 exec, exec, s[30:31]
	s_cbranch_execz .LBB223_24
.LBB223_22:                             ;   Parent Loop BB223_12 Depth=1
                                        ;     Parent Loop BB223_17 Depth=2
                                        ; =>    This Inner Loop Header: Depth=3
	v_add_u32_e32 v28, s38, v77
	v_add_u32_e32 v68, s38, v26
	v_cmp_gt_u32_e32 vcc, s22, v68
	v_cmp_gt_u32_e64 s[8:9], s40, v28
	s_and_b64 s[52:53], s[8:9], vcc
	s_or_b64 s[34:35], s[34:35], exec
	s_and_saveexec_b64 s[8:9], s[52:53]
	s_cbranch_execz .LBB223_21
; %bb.23:                               ;   in Loop: Header=BB223_22 Depth=3
	v_lshl_add_u64 v[28:29], v[68:69], 1, s[16:17]
	v_add_u32_e32 v68, s38, v25
	v_lshl_add_u64 v[32:33], v[68:69], 1, s[16:17]
	v_add_u32_e32 v68, s38, v24
	global_load_dwordx4 v[28:31], v[28:29], off
	s_nop 0
	global_load_dwordx4 v[32:35], v[32:33], off
	v_lshl_add_u64 v[36:37], v[68:69], 1, s[16:17]
	global_load_dwordx4 v[36:39], v[36:37], off
	s_add_i32 s38, s38, s41
	s_cmp_ge_u32 s38, s40
	s_cselect_b64 s[52:53], -1, 0
	s_andn2_b64 s[34:35], s[34:35], exec
	s_and_b64 s[52:53], s[52:53], exec
	v_add_u32_e32 v40, s49, v27
	v_add_u32_e32 v41, s47, v27
	s_or_b64 s[34:35], s[34:35], s[52:53]
	s_waitcnt vmcnt(2)
	ds_write_b128 v27, v[28:31]
	v_add_u32_e32 v27, s48, v27
	s_waitcnt vmcnt(1)
	ds_write2_b64 v40, v[32:33], v[34:35] offset1:1
	s_waitcnt vmcnt(0)
	ds_write2_b32 v41, v36, v37 offset1:1
	ds_write2_b32 v41, v38, v39 offset0:2 offset1:3
	s_branch .LBB223_21
.LBB223_24:                             ;   in Loop: Header=BB223_17 Depth=2
	s_or_b64 exec, exec, s[30:31]
.LBB223_25:                             ;   in Loop: Header=BB223_17 Depth=2
	s_waitcnt lgkmcnt(0)
	s_barrier
	s_and_saveexec_b64 s[8:9], s[6:7]
	s_cbranch_execz .LBB223_16
.LBB223_26:                             ;   in Loop: Header=BB223_17 Depth=2
	v_add_u32_e32 v67, s37, v74
	v_min_u32_e32 v68, s42, v67
	v_lshl_add_u64 v[24:25], v[68:69], 1, s[14:15]
	v_add_u32_e32 v80, 0x100, v67
	v_lshl_add_u64 v[26:27], v[24:25], 0, v[70:71]
	v_lshl_add_u64 v[24:25], v[24:25], 0, v[72:73]
	v_min_u32_e32 v68, s42, v80
	global_load_dwordx4 v[36:39], v[26:27], off nt
	global_load_dwordx4 v[32:35], v[24:25], off nt
	v_lshl_add_u64 v[24:25], v[68:69], 1, s[14:15]
	v_lshl_add_u64 v[40:41], v[24:25], 0, v[70:71]
	v_lshl_add_u64 v[42:43], v[24:25], 0, v[72:73]
	global_load_dwordx4 v[28:31], v[40:41], off nt
	global_load_dwordx4 v[24:27], v[42:43], off nt
	v_cmp_gt_u32_e32 vcc, s20, v67
	v_mov_b32_e32 v42, 0
	v_mov_b32_e32 v43, 0
	;; [unrolled: 1-line block ×24, first 2 shown]
	s_and_saveexec_b64 s[30:31], vcc
	s_cbranch_execz .LBB223_15
; %bb.27:                               ;   in Loop: Header=BB223_17 Depth=2
	v_subrev_u32_e32 v40, s36, v67
	v_lshlrev_b32_e32 v81, 1, v40
	v_add_u32_e32 v68, s49, v81
	v_add_u32_e32 v67, s49, v68
	ds_read_b128 v[60:63], v81
	ds_read_b128 v[56:59], v68
	;; [unrolled: 1-line block ×3, first 2 shown]
	v_cmp_gt_u32_e32 vcc, s20, v80
	v_mov_b32_e32 v49, 0
	v_mov_b32_e32 v48, 0
	;; [unrolled: 1-line block ×12, first 2 shown]
	s_and_saveexec_b64 s[34:35], vcc
	s_cbranch_execz .LBB223_14
; %bb.28:                               ;   in Loop: Header=BB223_17 Depth=2
	ds_read_b128 v[48:51], v81 offset:512
	ds_read_b128 v[44:47], v68 offset:512
	;; [unrolled: 1-line block ×3, first 2 shown]
	s_branch .LBB223_14
.LBB223_29:                             ;   in Loop: Header=BB223_12 Depth=1
	v_cmp_le_u32_e32 vcc, s23, v66
	s_and_saveexec_b64 s[6:7], vcc
	s_xor_b64 s[6:7], exec, s[6:7]
; %bb.30:                               ;   in Loop: Header=BB223_12 Depth=1
	v_add_u32_e32 v66, s44, v66
                                        ; implicit-def: $vgpr3
                                        ; implicit-def: $vgpr7
                                        ; implicit-def: $vgpr11
                                        ; implicit-def: $vgpr15
                                        ; implicit-def: $vgpr23
                                        ; implicit-def: $vgpr19
; %bb.31:                               ;   in Loop: Header=BB223_12 Depth=1
	s_andn2_saveexec_b64 s[30:31], s[6:7]
	s_cbranch_execz .LBB223_11
; %bb.32:                               ;   in Loop: Header=BB223_12 Depth=1
	v_cvt_i32_f32_e32 v21, v21
	v_cvt_i32_f32_e32 v22, v22
	;; [unrolled: 1-line block ×4, first 2 shown]
	v_cvt_f32_i32_dpp v21, v21 row_shl:1 row_mask:0xf bank_mask:0xf bound_ctrl:1
	v_cvt_f32_i32_dpp v22, v22 row_shl:2 row_mask:0xf bank_mask:0xf bound_ctrl:1
	v_cvt_i32_f32_e32 v18, v18
	v_cvt_f32_i32_dpp v23, v23 row_shl:3 row_mask:0xf bank_mask:0xf bound_ctrl:1
	v_cvt_i32_f32_e32 v19, v19
	v_add_f32_e32 v20, v20, v21
	v_add_f32_e32 v20, v20, v22
	v_cvt_f32_i32_dpp v17, v17 row_shl:1 row_mask:0xf bank_mask:0xf bound_ctrl:1
	v_add_f32_e32 v20, v20, v23
	v_cvt_f32_i32_dpp v18, v18 row_shl:2 row_mask:0xf bank_mask:0xf bound_ctrl:1
	v_cvt_f32_i32_dpp v19, v19 row_shl:3 row_mask:0xf bank_mask:0xf bound_ctrl:1
	v_cvt_i32_f32_e32 v21, v20
	v_add_f32_e32 v16, v16, v17
	v_add_f32_e32 v16, v16, v18
	;; [unrolled: 1-line block ×3, first 2 shown]
	v_cvt_f32_i32_dpp v18, v21 row_shl:4 row_mask:0xf bank_mask:0xf bound_ctrl:1
	v_cvt_i32_f32_e32 v17, v16
	v_cvt_i32_f32_e32 v13, v13
	;; [unrolled: 1-line block ×3, first 2 shown]
	v_add_f32_e32 v18, v20, v18
	v_cvt_f32_i32_dpp v17, v17 row_shl:4 row_mask:0xf bank_mask:0xf bound_ctrl:1
	v_cvt_i32_f32_e32 v19, v18
	v_cvt_i32_f32_e32 v15, v15
	v_cvt_f32_i32_dpp v13, v13 row_shl:1 row_mask:0xf bank_mask:0xf bound_ctrl:1
	v_add_f32_e32 v16, v16, v17
	v_cvt_f32_i32_dpp v19, v19 row_shl:8 row_mask:0xf bank_mask:0xf bound_ctrl:1
	v_cvt_i32_f32_e32 v17, v16
	v_cvt_i32_f32_e32 v9, v9
	v_cvt_f32_i32_dpp v14, v14 row_shl:2 row_mask:0xf bank_mask:0xf bound_ctrl:1
	;; [unrolled: 5-line block ×3, first 2 shown]
	v_add_f32_e32 v16, v16, v17
	v_cvt_f32_i32_dpp v17, v18 row_shr:15 row_mask:0xf bank_mask:0xf bound_ctrl:1
	v_cvt_i32_f32_e32 v16, v16
	v_cvt_i32_f32_e32 v11, v11
	;; [unrolled: 1-line block ×4, first 2 shown]
	v_cvt_f32_i32_dpp v16, v16 row_shr:15 row_mask:0xf bank_mask:0xf bound_ctrl:1
	v_add_f32_e32 v12, v12, v13
	v_cvt_f32_i32_dpp v9, v9 row_shl:1 row_mask:0xf bank_mask:0xf bound_ctrl:1
	v_cvt_i32_f32_e32 v1, v1
	v_add_f32_e32 v12, v12, v14
	v_cvt_f32_i32_dpp v10, v10 row_shl:2 row_mask:0xf bank_mask:0xf bound_ctrl:1
	v_cvt_i32_f32_e32 v6, v6
	v_cvt_i32_f32_e32 v2, v2
	v_add_f32_e32 v14, v12, v15
	v_cvt_f32_i32_dpp v11, v11 row_shl:3 row_mask:0xf bank_mask:0xf bound_ctrl:1
	v_cvt_f32_i32_dpp v5, v5 row_shl:1 row_mask:0xf bank_mask:0xf bound_ctrl:1
	v_cvt_i32_f32_e32 v7, v7
	v_cvt_i32_f32_e32 v3, v3
	v_cvt_f32_i32_dpp v18, v18 row_bcast:15 row_mask:0xf bank_mask:0xf bound_ctrl:1
	v_cvt_i32_f32_e32 v12, v14
	v_cvt_i32_f32_e32 v19, v16
	v_add_f32_e32 v8, v8, v9
	v_cvt_f32_i32_dpp v1, v1 row_shl:1 row_mask:0xf bank_mask:0xf bound_ctrl:1
	v_add_f32_e32 v8, v8, v10
	v_cvt_f32_i32_dpp v6, v6 row_shl:2 row_mask:0xf bank_mask:0xf bound_ctrl:1
	v_cvt_f32_i32_dpp v2, v2 row_shl:2 row_mask:0xf bank_mask:0xf bound_ctrl:1
	v_add_f32_e32 v9, v8, v11
	v_add_f32_e32 v4, v4, v5
	v_cvt_f32_i32_dpp v5, v7 row_shl:3 row_mask:0xf bank_mask:0xf bound_ctrl:1
	v_cvt_f32_i32_dpp v3, v3 row_shl:3 row_mask:0xf bank_mask:0xf bound_ctrl:1
	v_add_f32_e32 v13, v17, v18
	v_cvt_f32_i32_dpp v17, v12 row_shl:4 row_mask:0xf bank_mask:0xf bound_ctrl:1
	v_cvt_i32_f32_e32 v10, v9
	v_cvt_f32_i32_dpp v15, v19 row_bcast:15 row_mask:0xf bank_mask:0xf bound_ctrl:1
	v_add_f32_e32 v0, v0, v1
	v_add_f32_e32 v4, v4, v6
	v_add_f32_e32 v0, v0, v2
	v_add_f32_e32 v4, v4, v5
	v_add_f32_e32 v0, v0, v3
	v_add_f32_e32 v14, v14, v17
	v_cvt_f32_i32_dpp v10, v10 row_shl:4 row_mask:0xf bank_mask:0xf bound_ctrl:1
	v_cvt_i32_f32_e32 v5, v4
	v_cvt_i32_f32_e32 v1, v0
	v_add_f32_e32 v12, v16, v15
	v_cvt_i32_f32_e32 v16, v14
	v_add_f32_e32 v9, v9, v10
	v_cvt_f32_i32_dpp v3, v5 row_shl:4 row_mask:0xf bank_mask:0xf bound_ctrl:1
	v_cvt_f32_i32_dpp v1, v1 row_shl:4 row_mask:0xf bank_mask:0xf bound_ctrl:1
	;; [unrolled: 1-line block ×3, first 2 shown]
	v_cvt_i32_f32_e32 v10, v9
	v_add_f32_e32 v3, v4, v3
	v_add_f32_e32 v0, v0, v1
	;; [unrolled: 1-line block ×3, first 2 shown]
	v_cvt_f32_i32_dpp v2, v10 row_shl:8 row_mask:0xf bank_mask:0xf bound_ctrl:1
	v_cvt_i32_f32_e32 v4, v3
	v_cvt_i32_f32_e32 v1, v0
	;; [unrolled: 1-line block ×3, first 2 shown]
	v_add_f32_e32 v2, v9, v2
	v_cvt_f32_i32_dpp v4, v4 row_shl:8 row_mask:0xf bank_mask:0xf bound_ctrl:1
	v_cvt_f32_i32_dpp v1, v1 row_shl:8 row_mask:0xf bank_mask:0xf bound_ctrl:1
	v_cvt_f32_i32_dpp v5, v14 row_shr:15 row_mask:0xf bank_mask:0xf bound_ctrl:1
	v_cvt_i32_f32_e32 v2, v2
	v_add_f32_e32 v3, v3, v4
	v_add_f32_e32 v0, v0, v1
	v_cvt_i32_f32_e32 v6, v5
	v_cvt_f32_i32_dpp v2, v2 row_shr:15 row_mask:0xf bank_mask:0xf bound_ctrl:1
	v_cvt_i32_f32_e32 v3, v3
	v_cvt_i32_f32_e32 v0, v0
	v_cvt_f32_i32_dpp v1, v6 row_bcast:15 row_mask:0xf bank_mask:0xf bound_ctrl:1
	v_cvt_i32_f32_e32 v4, v2
	v_cvt_f32_i32_dpp v3, v3 row_shr:15 row_mask:0xf bank_mask:0xf bound_ctrl:1
	v_cvt_f32_i32_dpp v0, v0 row_shr:15 row_mask:0xf bank_mask:0xf bound_ctrl:1
	v_add_f32_e32 v9, v5, v1
	v_cvt_f32_i32_dpp v4, v4 row_bcast:15 row_mask:0xf bank_mask:0xf bound_ctrl:1
	v_cvt_i32_f32_e32 v1, v3
	v_cvt_i32_f32_e32 v6, v0
	v_cvt_i32_f32_e32 v18, v13
	v_add_f32_e32 v5, v2, v4
	v_cvt_f32_i32_dpp v1, v1 row_bcast:15 row_mask:0xf bank_mask:0xf bound_ctrl:1
	v_cvt_f32_i32_dpp v4, v6 row_bcast:15 row_mask:0xf bank_mask:0xf bound_ctrl:1
	v_cvt_i32_f32_e32 v15, v12
	v_cvt_i32_f32_e32 v7, v9
	v_add_f32_e32 v2, v3, v1
	v_add_f32_e32 v0, v0, v4
	v_cvt_i32_f32_e32 v6, v5
	v_cvt_i32_f32_e32 v1, v2
	;; [unrolled: 1-line block ×3, first 2 shown]
	v_mov_b32_dpp v11, v18 row_bcast:31 row_mask:0xf bank_mask:0xf bound_ctrl:1
	v_mov_b32_dpp v8, v15 row_bcast:31 row_mask:0xf bank_mask:0xf bound_ctrl:1
	;; [unrolled: 1-line block ×6, first 2 shown]
	s_and_saveexec_b64 s[34:35], s[0:1]
	s_cbranch_execz .LBB223_71
; %bb.33:                               ;   in Loop: Header=BB223_12 Depth=1
	s_andn2_b64 vcc, exec, s[26:27]
	v_mov_b32_e32 v17, 0
	v_mov_b32_e32 v16, 0
	;; [unrolled: 1-line block ×6, first 2 shown]
	s_cbranch_vccnz .LBB223_35
; %bb.34:                               ;   in Loop: Header=BB223_12 Depth=1
	v_mul_hi_u32 v4, v66, v75
	v_mul_lo_u32 v4, v4, s12
	v_sub_u32_e32 v4, v66, v4
	v_subrev_u32_e32 v7, s12, v4
	v_cmp_le_u32_e32 vcc, s12, v4
	v_mov_b32_e32 v17, v69
	v_mov_b32_e32 v15, v69
	v_cndmask_b32_e32 v4, v4, v7, vcc
	v_subrev_u32_e32 v7, s12, v4
	v_cmp_le_u32_e32 vcc, s12, v4
	s_nop 1
	v_cndmask_b32_e32 v68, v4, v7, vcc
	v_add_u32_e32 v4, 1, v66
	v_mul_hi_u32 v7, v4, v75
	v_mul_lo_u32 v7, v7, s12
	v_sub_u32_e32 v4, v4, v7
	v_subrev_u32_e32 v7, s12, v4
	v_cmp_le_u32_e32 vcc, s12, v4
	v_lshl_add_u64 v[18:19], v[68:69], 1, s[18:19]
	v_add_u32_e32 v16, s45, v68
	v_cndmask_b32_e32 v4, v4, v7, vcc
	v_subrev_u32_e32 v7, s12, v4
	v_cmp_le_u32_e32 vcc, s12, v4
	v_add_u32_e32 v68, s46, v68
	v_lshl_add_u64 v[22:23], v[16:17], 1, s[18:19]
	v_cndmask_b32_e32 v14, v4, v7, vcc
	v_add_u32_e32 v16, s45, v14
	v_lshl_add_u64 v[26:27], v[68:69], 1, s[18:19]
	v_add_u32_e32 v68, s46, v14
	v_lshl_add_u64 v[20:21], v[14:15], 1, s[18:19]
	v_lshl_add_u64 v[24:25], v[16:17], 1, s[18:19]
	;; [unrolled: 1-line block ×3, first 2 shown]
	global_load_ushort v17, v[18:19], off
	global_load_ushort v16, v[20:21], off
	;; [unrolled: 1-line block ×6, first 2 shown]
.LBB223_35:                             ;   in Loop: Header=BB223_12 Depth=1
	v_cmp_ne_u32_e32 vcc, 0, v64
	s_and_saveexec_b64 s[8:9], vcc
	s_cbranch_execnz .LBB223_41
; %bb.36:                               ;   in Loop: Header=BB223_12 Depth=1
	s_or_b64 exec, exec, s[8:9]
	v_cmp_ne_u32_e64 s[6:7], 0, v65
	s_and_saveexec_b64 s[36:37], s[6:7]
	s_cbranch_execnz .LBB223_46
.LBB223_37:                             ;   in Loop: Header=BB223_12 Depth=1
	s_or_b64 exec, exec, s[36:37]
	v_add_u32_e32 v68, s23, v66
	s_and_saveexec_b64 s[36:37], vcc
	s_cbranch_execnz .LBB223_51
.LBB223_38:                             ;   in Loop: Header=BB223_12 Depth=1
	s_or_b64 exec, exec, s[36:37]
	s_and_saveexec_b64 s[36:37], s[6:7]
	s_cbranch_execnz .LBB223_56
.LBB223_39:                             ;   in Loop: Header=BB223_12 Depth=1
	s_or_b64 exec, exec, s[36:37]
	v_add_u32_e32 v68, s23, v68
	s_and_saveexec_b64 s[8:9], vcc
	s_cbranch_execnz .LBB223_61
.LBB223_40:                             ;   in Loop: Header=BB223_12 Depth=1
	s_or_b64 exec, exec, s[8:9]
	s_and_b64 exec, exec, s[6:7]
	s_cbranch_execnz .LBB223_66
	s_branch .LBB223_71
.LBB223_41:                             ;   in Loop: Header=BB223_12 Depth=1
	v_cvt_f32_i32_e32 v11, v11
	v_add_f32_e32 v11, v13, v11
	s_waitcnt vmcnt(5)
	v_lshlrev_b32_e32 v13, 16, v17
	v_add_f32_e32 v13, v11, v13
	v_and_b32_e32 v11, 0x7f800000, v13
	v_cmp_ne_u32_e64 s[6:7], s50, v11
                                        ; implicit-def: $vgpr11
	s_and_saveexec_b64 s[36:37], s[6:7]
	s_xor_b64 s[6:7], exec, s[36:37]
; %bb.42:                               ;   in Loop: Header=BB223_12 Depth=1
	v_bfe_u32 v11, v13, 16, 1
	v_add3_u32 v11, v13, v11, s51
                                        ; implicit-def: $vgpr13
; %bb.43:                               ;   in Loop: Header=BB223_12 Depth=1
	s_andn2_saveexec_b64 s[36:37], s[6:7]
; %bb.44:                               ;   in Loop: Header=BB223_12 Depth=1
	v_or_b32_e32 v11, 0x10000, v13
	v_cmp_eq_u32_sdwa s[6:7], v13, v69 src0_sel:WORD_0 src1_sel:DWORD
	s_nop 1
	v_cndmask_b32_e64 v11, v11, v13, s[6:7]
; %bb.45:                               ;   in Loop: Header=BB223_12 Depth=1
	s_or_b64 exec, exec, s[36:37]
	v_mov_b32_e32 v67, v69
	v_lshl_add_u64 v[18:19], v[66:67], 1, s[10:11]
	global_store_short_d16_hi v[18:19], v11, off
	s_or_b64 exec, exec, s[8:9]
	v_cmp_ne_u32_e64 s[6:7], 0, v65
	s_and_saveexec_b64 s[36:37], s[6:7]
	s_cbranch_execz .LBB223_37
.LBB223_46:                             ;   in Loop: Header=BB223_12 Depth=1
	v_cvt_f32_i32_e32 v8, v8
	s_waitcnt vmcnt(4)
	v_lshlrev_b32_e32 v11, 16, v16
	v_add_f32_e32 v8, v12, v8
	v_add_f32_e32 v11, v8, v11
	v_and_b32_e32 v8, 0x7f800000, v11
	v_cmp_ne_u32_e64 s[8:9], s50, v8
                                        ; implicit-def: $vgpr8
	s_and_saveexec_b64 s[38:39], s[8:9]
	s_xor_b64 s[8:9], exec, s[38:39]
; %bb.47:                               ;   in Loop: Header=BB223_12 Depth=1
	v_bfe_u32 v8, v11, 16, 1
	v_add3_u32 v8, v11, v8, s51
                                        ; implicit-def: $vgpr11
; %bb.48:                               ;   in Loop: Header=BB223_12 Depth=1
	s_andn2_saveexec_b64 s[38:39], s[8:9]
; %bb.49:                               ;   in Loop: Header=BB223_12 Depth=1
	v_or_b32_e32 v8, 0x10000, v11
	v_cmp_eq_u32_sdwa s[8:9], v11, v69 src0_sel:WORD_0 src1_sel:DWORD
	s_nop 1
	v_cndmask_b32_e64 v8, v8, v11, s[8:9]
; %bb.50:                               ;   in Loop: Header=BB223_12 Depth=1
	s_or_b64 exec, exec, s[38:39]
	v_mov_b32_e32 v67, v69
	v_lshl_add_u64 v[12:13], v[66:67], 1, s[28:29]
	global_store_short_d16_hi v[12:13], v8, off
	s_or_b64 exec, exec, s[36:37]
	v_add_u32_e32 v68, s23, v66
	s_and_saveexec_b64 s[36:37], vcc
	s_cbranch_execz .LBB223_38
.LBB223_51:                             ;   in Loop: Header=BB223_12 Depth=1
	v_cvt_f32_i32_e32 v8, v10
	v_add_f32_e32 v8, v9, v8
	s_waitcnt vmcnt(3)
	v_lshlrev_b32_e32 v9, 16, v15
	v_add_f32_e32 v9, v8, v9
	v_and_b32_e32 v8, 0x7f800000, v9
	v_cmp_ne_u32_e64 s[8:9], s50, v8
                                        ; implicit-def: $vgpr8
	s_and_saveexec_b64 s[38:39], s[8:9]
	s_xor_b64 s[8:9], exec, s[38:39]
; %bb.52:                               ;   in Loop: Header=BB223_12 Depth=1
	v_bfe_u32 v8, v9, 16, 1
	v_add3_u32 v8, v9, v8, s51
                                        ; implicit-def: $vgpr9
; %bb.53:                               ;   in Loop: Header=BB223_12 Depth=1
	s_andn2_saveexec_b64 s[38:39], s[8:9]
; %bb.54:                               ;   in Loop: Header=BB223_12 Depth=1
	v_or_b32_e32 v8, 0x10000, v9
	v_cmp_eq_u32_sdwa s[8:9], v9, v69 src0_sel:WORD_0 src1_sel:DWORD
	s_nop 1
	v_cndmask_b32_e64 v8, v8, v9, s[8:9]
; %bb.55:                               ;   in Loop: Header=BB223_12 Depth=1
	s_or_b64 exec, exec, s[38:39]
	v_lshl_add_u64 v[10:11], v[68:69], 1, s[10:11]
	global_store_short_d16_hi v[10:11], v8, off
	s_or_b64 exec, exec, s[36:37]
	s_and_saveexec_b64 s[36:37], s[6:7]
	s_cbranch_execz .LBB223_39
.LBB223_56:                             ;   in Loop: Header=BB223_12 Depth=1
	v_cvt_f32_i32_e32 v6, v6
	v_add_f32_e32 v5, v5, v6
	s_waitcnt vmcnt(2)
	v_lshlrev_b32_e32 v6, 16, v14
	v_add_f32_e32 v6, v5, v6
	v_and_b32_e32 v5, 0x7f800000, v6
	v_cmp_ne_u32_e64 s[8:9], s50, v5
                                        ; implicit-def: $vgpr5
	s_and_saveexec_b64 s[38:39], s[8:9]
	s_xor_b64 s[8:9], exec, s[38:39]
; %bb.57:                               ;   in Loop: Header=BB223_12 Depth=1
	v_bfe_u32 v5, v6, 16, 1
	v_add3_u32 v5, v6, v5, s51
                                        ; implicit-def: $vgpr6
; %bb.58:                               ;   in Loop: Header=BB223_12 Depth=1
	s_andn2_saveexec_b64 s[38:39], s[8:9]
; %bb.59:                               ;   in Loop: Header=BB223_12 Depth=1
	v_or_b32_e32 v5, 0x10000, v6
	v_cmp_eq_u32_sdwa s[8:9], v6, v69 src0_sel:WORD_0 src1_sel:DWORD
	s_nop 1
	v_cndmask_b32_e64 v5, v5, v6, s[8:9]
; %bb.60:                               ;   in Loop: Header=BB223_12 Depth=1
	s_or_b64 exec, exec, s[38:39]
	v_add_u32_e32 v8, 1, v68
	v_mov_b32_e32 v9, v69
	v_lshl_add_u64 v[8:9], v[8:9], 1, s[10:11]
	global_store_short_d16_hi v[8:9], v5, off
	s_or_b64 exec, exec, s[36:37]
	v_add_u32_e32 v68, s23, v68
	s_and_saveexec_b64 s[8:9], vcc
	s_cbranch_execz .LBB223_40
.LBB223_61:                             ;   in Loop: Header=BB223_12 Depth=1
	v_cvt_f32_i32_e32 v3, v3
	v_add_f32_e32 v2, v2, v3
	s_waitcnt vmcnt(1)
	v_lshlrev_b32_e32 v3, 16, v7
	v_add_f32_e32 v3, v2, v3
	v_and_b32_e32 v2, 0x7f800000, v3
	v_cmp_ne_u32_e32 vcc, s50, v2
                                        ; implicit-def: $vgpr2
	s_and_saveexec_b64 s[36:37], vcc
	s_xor_b64 s[36:37], exec, s[36:37]
; %bb.62:                               ;   in Loop: Header=BB223_12 Depth=1
	v_bfe_u32 v2, v3, 16, 1
	v_add3_u32 v2, v3, v2, s51
                                        ; implicit-def: $vgpr3
; %bb.63:                               ;   in Loop: Header=BB223_12 Depth=1
	s_andn2_saveexec_b64 s[36:37], s[36:37]
; %bb.64:                               ;   in Loop: Header=BB223_12 Depth=1
	v_or_b32_e32 v2, 0x10000, v3
	v_cmp_eq_u32_sdwa vcc, v3, v69 src0_sel:WORD_0 src1_sel:DWORD
	s_nop 1
	v_cndmask_b32_e32 v2, v2, v3, vcc
; %bb.65:                               ;   in Loop: Header=BB223_12 Depth=1
	s_or_b64 exec, exec, s[36:37]
	v_lshl_add_u64 v[6:7], v[68:69], 1, s[10:11]
	global_store_short_d16_hi v[6:7], v2, off
	s_or_b64 exec, exec, s[8:9]
	s_and_b64 exec, exec, s[6:7]
	s_cbranch_execz .LBB223_71
.LBB223_66:                             ;   in Loop: Header=BB223_12 Depth=1
	v_cvt_f32_i32_e32 v1, v1
	v_add_f32_e32 v0, v0, v1
	s_waitcnt vmcnt(0)
	v_lshlrev_b32_e32 v1, 16, v4
	v_add_f32_e32 v1, v0, v1
	v_and_b32_e32 v0, 0x7f800000, v1
	v_cmp_ne_u32_e32 vcc, s50, v0
                                        ; implicit-def: $vgpr0
	s_and_saveexec_b64 s[6:7], vcc
	s_xor_b64 s[6:7], exec, s[6:7]
; %bb.67:                               ;   in Loop: Header=BB223_12 Depth=1
	v_bfe_u32 v0, v1, 16, 1
	v_add3_u32 v0, v1, v0, s51
                                        ; implicit-def: $vgpr1
; %bb.68:                               ;   in Loop: Header=BB223_12 Depth=1
	s_andn2_saveexec_b64 s[6:7], s[6:7]
; %bb.69:                               ;   in Loop: Header=BB223_12 Depth=1
	v_or_b32_e32 v0, 0x10000, v1
	v_cmp_eq_u32_sdwa vcc, v1, v69 src0_sel:WORD_0 src1_sel:DWORD
	s_nop 1
	v_cndmask_b32_e32 v0, v0, v1, vcc
; %bb.70:                               ;   in Loop: Header=BB223_12 Depth=1
	s_or_b64 exec, exec, s[6:7]
	v_add_u32_e32 v68, 1, v68
	v_lshl_add_u64 v[2:3], v[68:69], 1, s[10:11]
	global_store_short_d16_hi v[2:3], v0, off
.LBB223_71:                             ;   in Loop: Header=BB223_12 Depth=1
	s_or_b64 exec, exec, s[34:35]
	v_add_u32_e32 v66, s44, v66
	v_add_u32_e32 v0, 2, v66
	v_cmp_gt_u32_e32 vcc, s23, v66
	v_cmp_le_u32_e64 s[6:7], s23, v0
	s_and_b64 s[6:7], vcc, s[6:7]
	s_and_saveexec_b64 s[8:9], s[6:7]
	s_cbranch_execz .LBB223_10
; %bb.72:                               ;   in Loop: Header=BB223_12 Depth=1
	v_cmp_ne_u32_e32 vcc, s13, v66
	s_and_saveexec_b64 s[34:35], vcc
	s_cbranch_execz .LBB223_9
; %bb.73:                               ;   in Loop: Header=BB223_12 Depth=1
	v_subrev_u32_e32 v0, s13, v66
	v_cmp_lt_u32_e32 vcc, 1, v0
	s_mov_b64 s[36:37], 0
	s_mov_b64 s[38:39], 0
	v_cndmask_b32_e32 v0, 1, v0, vcc
.LBB223_74:                             ;   Parent Loop BB223_12 Depth=1
                                        ; =>  This Inner Loop Header: Depth=2
	s_cmp_lg_u32 s38, 1
	s_cselect_b64 vcc, -1, 0
	s_cmp_lg_u32 s38, 0
	v_cndmask_b32_e32 v65, 0, v65, vcc
	s_cselect_b64 vcc, -1, 0
	s_add_u32 s38, s38, 1
	s_addc_u32 s39, s39, 0
	v_cmp_eq_u32_e64 s[6:7], s38, v0
	s_or_b64 s[36:37], s[6:7], s[36:37]
	v_cndmask_b32_e32 v64, 0, v64, vcc
	s_andn2_b64 exec, exec, s[36:37]
	s_cbranch_execnz .LBB223_74
; %bb.75:                               ;   in Loop: Header=BB223_12 Depth=1
	s_or_b64 exec, exec, s[36:37]
	s_branch .LBB223_9
.LBB223_76:
	s_endpgm
	.section	.rodata,"a",@progbits
	.p2align	6, 0x0
	.amdhsa_kernel _Z16wvSplitK_hf_big_I14__hip_bfloat16Li32ELi2ELi16ELi8ELi2ELi3EEviiiiiiPKT_S3_S3_PS1_ii
		.amdhsa_group_segment_fixed_size 65536
		.amdhsa_private_segment_fixed_size 0
		.amdhsa_kernarg_size 64
		.amdhsa_user_sgpr_count 2
		.amdhsa_user_sgpr_dispatch_ptr 0
		.amdhsa_user_sgpr_queue_ptr 0
		.amdhsa_user_sgpr_kernarg_segment_ptr 1
		.amdhsa_user_sgpr_dispatch_id 0
		.amdhsa_user_sgpr_kernarg_preload_length 0
		.amdhsa_user_sgpr_kernarg_preload_offset 0
		.amdhsa_user_sgpr_private_segment_size 0
		.amdhsa_uses_dynamic_stack 0
		.amdhsa_enable_private_segment 0
		.amdhsa_system_sgpr_workgroup_id_x 1
		.amdhsa_system_sgpr_workgroup_id_y 0
		.amdhsa_system_sgpr_workgroup_id_z 0
		.amdhsa_system_sgpr_workgroup_info 0
		.amdhsa_system_vgpr_workitem_id 1
		.amdhsa_next_free_vgpr 82
		.amdhsa_next_free_sgpr 54
		.amdhsa_accum_offset 84
		.amdhsa_reserve_vcc 1
		.amdhsa_float_round_mode_32 0
		.amdhsa_float_round_mode_16_64 0
		.amdhsa_float_denorm_mode_32 3
		.amdhsa_float_denorm_mode_16_64 3
		.amdhsa_dx10_clamp 1
		.amdhsa_ieee_mode 1
		.amdhsa_fp16_overflow 0
		.amdhsa_tg_split 0
		.amdhsa_exception_fp_ieee_invalid_op 0
		.amdhsa_exception_fp_denorm_src 0
		.amdhsa_exception_fp_ieee_div_zero 0
		.amdhsa_exception_fp_ieee_overflow 0
		.amdhsa_exception_fp_ieee_underflow 0
		.amdhsa_exception_fp_ieee_inexact 0
		.amdhsa_exception_int_div_zero 0
	.end_amdhsa_kernel
	.section	.text._Z16wvSplitK_hf_big_I14__hip_bfloat16Li32ELi2ELi16ELi8ELi2ELi3EEviiiiiiPKT_S3_S3_PS1_ii,"axG",@progbits,_Z16wvSplitK_hf_big_I14__hip_bfloat16Li32ELi2ELi16ELi8ELi2ELi3EEviiiiiiPKT_S3_S3_PS1_ii,comdat
.Lfunc_end223:
	.size	_Z16wvSplitK_hf_big_I14__hip_bfloat16Li32ELi2ELi16ELi8ELi2ELi3EEviiiiiiPKT_S3_S3_PS1_ii, .Lfunc_end223-_Z16wvSplitK_hf_big_I14__hip_bfloat16Li32ELi2ELi16ELi8ELi2ELi3EEviiiiiiPKT_S3_S3_PS1_ii
                                        ; -- End function
	.section	.AMDGPU.csdata,"",@progbits
; Kernel info:
; codeLenInByte = 3872
; NumSgprs: 60
; NumVgprs: 82
; NumAgprs: 0
; TotalNumVgprs: 82
; ScratchSize: 0
; MemoryBound: 0
; FloatMode: 240
; IeeeMode: 1
; LDSByteSize: 65536 bytes/workgroup (compile time only)
; SGPRBlocks: 7
; VGPRBlocks: 10
; NumSGPRsForWavesPerEU: 60
; NumVGPRsForWavesPerEU: 82
; AccumOffset: 84
; Occupancy: 2
; WaveLimiterHint : 0
; COMPUTE_PGM_RSRC2:SCRATCH_EN: 0
; COMPUTE_PGM_RSRC2:USER_SGPR: 2
; COMPUTE_PGM_RSRC2:TRAP_HANDLER: 0
; COMPUTE_PGM_RSRC2:TGID_X_EN: 1
; COMPUTE_PGM_RSRC2:TGID_Y_EN: 0
; COMPUTE_PGM_RSRC2:TGID_Z_EN: 0
; COMPUTE_PGM_RSRC2:TIDIG_COMP_CNT: 1
; COMPUTE_PGM_RSRC3_GFX90A:ACCUM_OFFSET: 20
; COMPUTE_PGM_RSRC3_GFX90A:TG_SPLIT: 0
	.section	.text._Z16wvSplitK_hf_sml_I14__hip_bfloat16Li32ELi3ELi16ELi8ELi2ELi3EEviiiiiiPKT_S3_S3_PS1_ii,"axG",@progbits,_Z16wvSplitK_hf_sml_I14__hip_bfloat16Li32ELi3ELi16ELi8ELi2ELi3EEviiiiiiPKT_S3_S3_PS1_ii,comdat
	.protected	_Z16wvSplitK_hf_sml_I14__hip_bfloat16Li32ELi3ELi16ELi8ELi2ELi3EEviiiiiiPKT_S3_S3_PS1_ii ; -- Begin function _Z16wvSplitK_hf_sml_I14__hip_bfloat16Li32ELi3ELi16ELi8ELi2ELi3EEviiiiiiPKT_S3_S3_PS1_ii
	.globl	_Z16wvSplitK_hf_sml_I14__hip_bfloat16Li32ELi3ELi16ELi8ELi2ELi3EEviiiiiiPKT_S3_S3_PS1_ii
	.p2align	8
	.type	_Z16wvSplitK_hf_sml_I14__hip_bfloat16Li32ELi3ELi16ELi8ELi2ELi3EEviiiiiiPKT_S3_S3_PS1_ii,@function
_Z16wvSplitK_hf_sml_I14__hip_bfloat16Li32ELi3ELi16ELi8ELi2ELi3EEviiiiiiPKT_S3_S3_PS1_ii: ; @_Z16wvSplitK_hf_sml_I14__hip_bfloat16Li32ELi3ELi16ELi8ELi2ELi3EEviiiiiiPKT_S3_S3_PS1_ii
; %bb.0:
	s_load_dwordx4 s[4:7], s[0:1], 0x0
	v_and_b32_e32 v4, 0x3ff, v0
	v_bfe_u32 v5, v0, 10, 10
	v_lshlrev_b32_e32 v96, 3, v4
	v_lshl_add_u32 v6, v5, 8, v96
	s_waitcnt lgkmcnt(0)
	s_mul_i32 s3, s6, 3
	s_min_u32 s3, s3, 0x8000
	v_cmp_gt_u32_e32 vcc, s3, v6
	s_and_saveexec_b64 s[8:9], vcc
	s_cbranch_execz .LBB224_9
; %bb.1:
	s_load_dwordx2 s[10:11], s[0:1], 0x20
	v_lshlrev_b32_e32 v0, 1, v6
	v_add_u32_e32 v1, 0x1000, v6
	v_cmp_gt_u32_e32 vcc, s3, v1
	s_waitcnt lgkmcnt(0)
	global_load_dwordx4 v[8:11], v0, s[10:11]
	s_waitcnt vmcnt(0)
	ds_write_b128 v0, v[8:11]
	s_and_saveexec_b64 s[12:13], vcc
	s_xor_b64 s[12:13], exec, s[12:13]
	s_cbranch_execz .LBB224_9
; %bb.2:
	v_mov_b32_e32 v1, 0
	v_lshl_add_u64 v[2:3], s[10:11], 0, v[0:1]
	v_add_co_u32_e32 v8, vcc, 0x2000, v2
	v_add_u32_e32 v1, 0x2000, v6
	s_nop 0
	v_addc_co_u32_e32 v9, vcc, 0, v3, vcc
	global_load_dwordx4 v[8:11], v[8:9], off
	v_cmp_gt_u32_e32 vcc, s3, v1
	s_waitcnt vmcnt(0)
	ds_write_b128 v0, v[8:11] offset:8192
	s_and_saveexec_b64 s[10:11], vcc
	s_xor_b64 s[10:11], exec, s[10:11]
	s_cbranch_execz .LBB224_9
; %bb.3:
	v_add_co_u32_e32 v8, vcc, 0x4000, v2
	v_add_u32_e32 v1, 0x3000, v6
	s_nop 0
	v_addc_co_u32_e32 v9, vcc, 0, v3, vcc
	global_load_dwordx4 v[8:11], v[8:9], off
	v_cmp_gt_u32_e32 vcc, s3, v1
	s_waitcnt vmcnt(0)
	ds_write_b128 v0, v[8:11] offset:16384
	s_and_saveexec_b64 s[10:11], vcc
	s_xor_b64 s[10:11], exec, s[10:11]
	s_cbranch_execz .LBB224_9
; %bb.4:
	v_add_co_u32_e32 v8, vcc, 0x6000, v2
	v_add_u32_e32 v1, 0x4000, v6
	s_nop 0
	v_addc_co_u32_e32 v9, vcc, 0, v3, vcc
	global_load_dwordx4 v[8:11], v[8:9], off
	v_cmp_gt_u32_e32 vcc, s3, v1
	s_waitcnt vmcnt(0)
	ds_write_b128 v0, v[8:11] offset:24576
	s_and_saveexec_b64 s[10:11], vcc
	s_xor_b64 s[10:11], exec, s[10:11]
	s_cbranch_execz .LBB224_9
; %bb.5:
	v_add_co_u32_e32 v8, vcc, 0x8000, v2
	v_add_u32_e32 v1, 0x5000, v6
	s_nop 0
	v_addc_co_u32_e32 v9, vcc, 0, v3, vcc
	global_load_dwordx4 v[8:11], v[8:9], off
	v_cmp_gt_u32_e32 vcc, s3, v1
	s_waitcnt vmcnt(0)
	ds_write_b128 v0, v[8:11] offset:32768
	s_and_saveexec_b64 s[10:11], vcc
	s_xor_b64 s[10:11], exec, s[10:11]
	s_cbranch_execz .LBB224_9
; %bb.6:
	v_add_co_u32_e32 v8, vcc, 0xa000, v2
	v_add_u32_e32 v1, 0x6000, v6
	s_nop 0
	v_addc_co_u32_e32 v9, vcc, 0, v3, vcc
	global_load_dwordx4 v[8:11], v[8:9], off
	v_cmp_gt_u32_e32 vcc, s3, v1
	s_waitcnt vmcnt(0)
	ds_write_b128 v0, v[8:11] offset:40960
	s_and_saveexec_b64 s[10:11], vcc
	s_xor_b64 s[10:11], exec, s[10:11]
	s_cbranch_execz .LBB224_9
; %bb.7:
	v_add_co_u32_e32 v8, vcc, 0xc000, v2
	v_add_u32_e32 v1, 0x7000, v6
	s_nop 0
	v_addc_co_u32_e32 v9, vcc, 0, v3, vcc
	global_load_dwordx4 v[8:11], v[8:9], off
	v_cmp_gt_u32_e32 vcc, s3, v1
	s_waitcnt vmcnt(0)
	ds_write_b128 v0, v[8:11] offset:49152
	s_and_saveexec_b64 s[10:11], vcc
	s_xor_b64 s[10:11], exec, s[10:11]
	s_cbranch_execz .LBB224_9
; %bb.8:
	v_add_co_u32_e32 v2, vcc, 0xe000, v2
	s_nop 1
	v_addc_co_u32_e32 v3, vcc, 0, v3, vcc
	global_load_dwordx4 v[6:9], v[2:3], off
	s_waitcnt vmcnt(0)
	ds_write_b128 v0, v[6:9] offset:57344
.LBB224_9:
	s_or_b64 exec, exec, s[8:9]
	s_load_dwordx2 s[16:17], s[0:1], 0x38
	s_waitcnt lgkmcnt(0)
	s_barrier
	v_cmp_gt_u32_e32 vcc, s16, v5
	s_and_saveexec_b64 s[8:9], vcc
	s_cbranch_execz .LBB224_60
; %bb.10:
	s_load_dwordx2 s[12:13], s[0:1], 0x10
	s_mul_i32 s2, s2, s16
	v_add_u32_e32 v0, s2, v5
	v_lshl_add_u32 v76, v0, 1, v0
	v_cmp_gt_u32_e32 vcc, s7, v76
	s_and_b64 exec, exec, vcc
	s_cbranch_execz .LBB224_60
; %bb.11:
	s_load_dwordx4 s[8:11], s[0:1], 0x28
	s_load_dwordx2 s[14:15], s[0:1], 0x18
	s_cmp_lg_u32 s4, 0
	s_cselect_b64 s[2:3], -1, 0
	s_add_i32 s24, s4, -8
	s_add_i32 s25, s7, -1
	s_waitcnt lgkmcnt(0)
	s_cmp_lg_u64 s[8:9], 0
	s_cselect_b64 s[18:19], -1, 0
	s_abs_i32 s21, s13
	v_cvt_f32_u32_e32 v0, s12
	v_cvt_f32_u32_e32 v1, s21
	s_mul_i32 s20, s16, s17
	s_mul_i32 s13, s20, 3
	v_rcp_iflag_f32_e32 v0, v0
	v_rcp_iflag_f32_e32 v1, v1
	s_sub_i32 s20, 0, s12
	v_cmp_eq_u32_e64 s[0:1], 31, v4
	v_mul_f32_e32 v0, 0x4f7ffffe, v0
	v_mul_f32_e32 v1, 0x4f7ffffe, v1
	v_cvt_u32_f32_e32 v0, v0
	v_cvt_u32_f32_e32 v1, v1
	s_mov_b64 s[16:17], 0
	v_mov_b32_e32 v79, 0
	v_mul_lo_u32 v2, s20, v0
	s_sub_i32 s20, 0, s21
	v_readfirstlane_b32 s22, v1
	s_mul_i32 s20, s20, s22
	s_mul_hi_u32 s20, s22, s20
	s_add_i32 s22, s22, s20
	s_sub_i32 s20, 1, s21
	s_cmp_lt_u32 s21, 2
	s_cselect_b32 s20, s20, 1
	s_sub_i32 s23, s20, s21
	s_cmp_ge_u32 s20, s21
	s_cselect_b32 s26, s23, s20
	s_lshr_b32 s20, s22, 31
	s_mul_i32 s20, s20, s21
	s_sub_i32 s20, 2, s20
	s_sub_i32 s22, s20, s21
	s_cmp_ge_u32 s20, s21
	s_cselect_b32 s20, s22, s20
	s_sub_i32 s22, s20, s21
	v_mul_hi_u32 v2, v0, v2
	s_cmp_ge_u32 s20, s21
	v_add_u32_e32 v97, v0, v2
	s_cselect_b32 s27, s22, s20
	v_cndmask_b32_e64 v0, 0, 1, s[2:3]
	s_mul_i32 s26, s26, s12
	s_mul_i32 s27, s27, s12
	s_lshl_b32 s28, s6, 2
	v_lshlrev_b32_e32 v98, 4, v4
	s_lshl_b32 s6, s6, 1
	v_cmp_ne_u32_e64 s[2:3], 1, v0
	s_mov_b32 s29, 0x7f800000
	s_movk_i32 s30, 0x7fff
	s_branch .LBB224_14
.LBB224_12:                             ;   in Loop: Header=BB224_14 Depth=1
	s_or_b64 exec, exec, s[22:23]
	v_add_u32_e32 v78, 2, v78
	v_lshl_add_u64 v[2:3], v[78:79], 1, s[10:11]
	global_store_short_d16_hi v[2:3], v0, off
.LBB224_13:                             ;   in Loop: Header=BB224_14 Depth=1
	s_or_b64 exec, exec, s[20:21]
	v_add_u32_e32 v76, s13, v76
	v_cmp_le_u32_e32 vcc, s7, v76
	s_or_b64 s[16:17], vcc, s[16:17]
	s_andn2_b64 exec, exec, s[16:17]
	s_cbranch_execz .LBB224_60
.LBB224_14:                             ; =>This Loop Header: Depth=1
                                        ;     Child Loop BB224_18 Depth 2
	s_and_b64 vcc, exec, s[2:3]
	v_add_u32_e32 v80, 2, v76
	v_mov_b32_e32 v7, v79
	v_mov_b32_e32 v6, v79
	;; [unrolled: 1-line block ×36, first 2 shown]
	s_cbranch_vccnz .LBB224_21
; %bb.15:                               ;   in Loop: Header=BB224_14 Depth=1
	v_min_u32_e32 v0, s25, v76
	v_mul_lo_u32 v78, v0, s5
	v_add_u32_e32 v0, 1, v76
	v_min_u32_e32 v0, s25, v0
	v_min_u32_e32 v2, s25, v80
	v_mul_lo_u32 v0, v0, s5
	v_mov_b32_e32 v1, v79
	v_mul_lo_u32 v2, v2, s5
	v_mov_b32_e32 v3, v79
	v_mov_b32_e32 v24, 0
	s_mov_b32 s31, 0
	v_lshlrev_b64 v[82:83], 1, v[78:79]
	v_lshlrev_b64 v[84:85], 1, v[0:1]
	;; [unrolled: 1-line block ×3, first 2 shown]
	v_mov_b32_e32 v77, v98
	v_mov_b32_e32 v25, v24
	;; [unrolled: 1-line block ×36, first 2 shown]
	s_branch .LBB224_18
.LBB224_16:                             ;   in Loop: Header=BB224_18 Depth=2
	s_or_b64 exec, exec, s[22:23]
.LBB224_17:                             ;   in Loop: Header=BB224_18 Depth=2
	s_or_b64 exec, exec, s[20:21]
	s_waitcnt vmcnt(5) lgkmcnt(1)
	v_mfma_f32_4x4x4_16b_bf16 v[32:35], v[72:73], v[52:53], v[32:35]
	s_addk_i32 s31, 0x200
	s_waitcnt vmcnt(4)
	v_mfma_f32_4x4x4_16b_bf16 v[28:31], v[72:73], v[48:49], v[28:31]
	v_add_u32_e32 v77, 0x400, v77
	s_waitcnt vmcnt(3)
	v_mfma_f32_4x4x4_16b_bf16 v[24:27], v[72:73], v[56:57], v[24:27]
	s_cmp_ge_u32 s31, s4
	v_mfma_f32_4x4x4_16b_bf16 v[20:23], v[68:69], v[52:53], v[20:23]
	v_mfma_f32_4x4x4_16b_bf16 v[16:19], v[68:69], v[48:49], v[16:19]
	;; [unrolled: 1-line block ×12, first 2 shown]
	s_waitcnt lgkmcnt(0)
	v_mfma_f32_4x4x4_16b_bf16 v[8:11], v[92:93], v[54:55], v[8:11]
	v_mfma_f32_4x4x4_16b_bf16 v[0:3], v[92:93], v[50:51], v[0:3]
	;; [unrolled: 1-line block ×3, first 2 shown]
	s_waitcnt vmcnt(2)
	v_mfma_f32_4x4x4_16b_bf16 v[32:35], v[64:65], v[40:41], v[32:35]
	s_waitcnt vmcnt(1)
	v_mfma_f32_4x4x4_16b_bf16 v[28:31], v[64:65], v[44:45], v[28:31]
	;; [unrolled: 2-line block ×3, first 2 shown]
	v_mfma_f32_4x4x4_16b_bf16 v[20:23], v[60:61], v[40:41], v[20:23]
	v_mfma_f32_4x4x4_16b_bf16 v[16:19], v[60:61], v[44:45], v[16:19]
	;; [unrolled: 1-line block ×15, first 2 shown]
	s_cbranch_scc1 .LBB224_21
.LBB224_18:                             ;   Parent Loop BB224_14 Depth=1
                                        ; =>  This Inner Loop Header: Depth=2
	v_add_u32_e32 v64, s31, v96
	v_min_u32_e32 v78, s24, v64
	v_lshl_add_u64 v[36:37], v[78:79], 1, s[14:15]
	v_add_u32_e32 v81, 0x100, v64
	v_lshl_add_u64 v[38:39], v[36:37], 0, v[82:83]
	v_min_u32_e32 v78, s24, v81
	v_lshl_add_u64 v[40:41], v[36:37], 0, v[84:85]
	global_load_dwordx4 v[52:55], v[38:39], off nt
	global_load_dwordx4 v[48:51], v[40:41], off nt
	v_lshl_add_u64 v[38:39], v[78:79], 1, s[14:15]
	v_lshl_add_u64 v[36:37], v[36:37], 0, v[86:87]
	;; [unrolled: 1-line block ×4, first 2 shown]
	global_load_dwordx4 v[56:59], v[36:37], off nt
	global_load_dwordx4 v[40:43], v[44:45], off nt
	v_lshl_add_u64 v[62:63], v[38:39], 0, v[86:87]
	global_load_dwordx4 v[44:47], v[60:61], off nt
	global_load_dwordx4 v[36:39], v[62:63], off nt
	v_cmp_gt_u32_e32 vcc, s4, v64
	v_mov_b32_e32 v88, 0
	v_mov_b32_e32 v89, 0
	;; [unrolled: 1-line block ×24, first 2 shown]
	s_and_saveexec_b64 s[20:21], vcc
	s_cbranch_execz .LBB224_17
; %bb.19:                               ;   in Loop: Header=BB224_18 Depth=2
	v_add_u32_e32 v99, s6, v77
	v_add_u32_e32 v78, s28, v77
	ds_read_b128 v[68:71], v99
	ds_read2_b32 v[94:95], v78 offset1:1
	ds_read_b128 v[72:75], v77
	ds_read2_b32 v[92:93], v78 offset0:2 offset1:3
	v_cmp_gt_u32_e32 vcc, s4, v81
	v_mov_b32_e32 v65, 0
	v_mov_b32_e32 v64, 0
	;; [unrolled: 1-line block ×12, first 2 shown]
	s_and_saveexec_b64 s[22:23], vcc
	s_cbranch_execz .LBB224_16
; %bb.20:                               ;   in Loop: Header=BB224_18 Depth=2
	ds_read_b128 v[60:63], v99 offset:512
	ds_read2_b32 v[90:91], v78 offset0:128 offset1:129
	ds_read_b128 v[64:67], v77 offset:512
	ds_read2_b32 v[88:89], v78 offset0:130 offset1:131
	s_branch .LBB224_16
.LBB224_21:                             ;   in Loop: Header=BB224_14 Depth=1
	; sched_barrier mask(0x00000000)
	v_cvt_i32_f32_e32 v33, v33
	v_cvt_i32_f32_e32 v34, v34
	;; [unrolled: 1-line block ×4, first 2 shown]
	v_cvt_f32_i32_dpp v33, v33 row_shl:1 row_mask:0xf bank_mask:0xf bound_ctrl:1
	v_cvt_f32_i32_dpp v34, v34 row_shl:2 row_mask:0xf bank_mask:0xf bound_ctrl:1
	;; [unrolled: 1-line block ×3, first 2 shown]
	v_cvt_i32_f32_e32 v30, v30
	v_add_f32_e32 v32, v32, v33
	v_add_f32_e32 v32, v32, v34
	;; [unrolled: 1-line block ×3, first 2 shown]
	v_cvt_i32_f32_e32 v31, v31
	v_cvt_i32_f32_e32 v33, v32
	v_cvt_f32_i32_dpp v29, v29 row_shl:1 row_mask:0xf bank_mask:0xf bound_ctrl:1
	v_cvt_f32_i32_dpp v30, v30 row_shl:2 row_mask:0xf bank_mask:0xf bound_ctrl:1
	;; [unrolled: 1-line block ×4, first 2 shown]
	v_add_f32_e32 v28, v28, v29
	v_add_f32_e32 v28, v28, v30
	;; [unrolled: 1-line block ×4, first 2 shown]
	v_cvt_i32_f32_e32 v29, v28
	v_cvt_i32_f32_e32 v31, v30
	;; [unrolled: 1-line block ×4, first 2 shown]
	v_cvt_f32_i32_dpp v29, v29 row_shl:4 row_mask:0xf bank_mask:0xf bound_ctrl:1
	v_cvt_f32_i32_dpp v31, v31 row_shl:8 row_mask:0xf bank_mask:0xf bound_ctrl:1
	v_cvt_i32_f32_e32 v27, v27
	v_cvt_f32_i32_dpp v25, v25 row_shl:1 row_mask:0xf bank_mask:0xf bound_ctrl:1
	v_add_f32_e32 v28, v28, v29
	v_add_f32_e32 v30, v30, v31
	v_cvt_i32_f32_e32 v29, v28
	v_cvt_i32_f32_e32 v30, v30
	v_cvt_f32_i32_dpp v26, v26 row_shl:2 row_mask:0xf bank_mask:0xf bound_ctrl:1
	v_cvt_f32_i32_dpp v27, v27 row_shl:3 row_mask:0xf bank_mask:0xf bound_ctrl:1
	;; [unrolled: 1-line block ×3, first 2 shown]
	v_cvt_f32_i32_dpp v30, v30 row_shr:15 row_mask:0xf bank_mask:0xf bound_ctrl:1
	v_add_f32_e32 v24, v24, v25
	v_cvt_i32_f32_e32 v21, v21
	v_add_f32_e32 v24, v24, v26
	v_cvt_i32_f32_e32 v22, v22
	;; [unrolled: 2-line block ×4, first 2 shown]
	v_cvt_i32_f32_e32 v26, v25
	v_cvt_i32_f32_e32 v28, v28
	v_cvt_f32_i32_dpp v21, v21 row_shl:1 row_mask:0xf bank_mask:0xf bound_ctrl:1
	v_cvt_f32_i32_dpp v22, v22 row_shl:2 row_mask:0xf bank_mask:0xf bound_ctrl:1
	v_cvt_i32_f32_e32 v17, v17
	v_cvt_f32_i32_dpp v29, v29 row_bcast:15 row_mask:0xf bank_mask:0xf bound_ctrl:1
	v_cvt_f32_i32_dpp v23, v23 row_shl:3 row_mask:0xf bank_mask:0xf bound_ctrl:1
	v_cvt_i32_f32_e32 v18, v18
	v_cvt_f32_i32_dpp v26, v26 row_shl:4 row_mask:0xf bank_mask:0xf bound_ctrl:1
	v_cvt_i32_f32_e32 v19, v19
	v_cvt_f32_i32_dpp v28, v28 row_shr:15 row_mask:0xf bank_mask:0xf bound_ctrl:1
	v_add_f32_e32 v20, v20, v21
	v_add_f32_e32 v20, v20, v22
	v_cvt_f32_i32_dpp v17, v17 row_shl:1 row_mask:0xf bank_mask:0xf bound_ctrl:1
	v_add_f32_e32 v24, v30, v29
	v_add_f32_e32 v22, v20, v23
	v_cvt_f32_i32_dpp v18, v18 row_shl:2 row_mask:0xf bank_mask:0xf bound_ctrl:1
	v_cvt_i32_f32_e32 v27, v24
	v_add_f32_e32 v25, v25, v26
	v_cvt_i32_f32_e32 v20, v22
	v_cvt_f32_i32_dpp v19, v19 row_shl:3 row_mask:0xf bank_mask:0xf bound_ctrl:1
	v_cvt_i32_f32_e32 v29, v28
	v_cvt_i32_f32_e32 v26, v25
	v_add_f32_e32 v16, v16, v17
	v_add_f32_e32 v16, v16, v18
	v_mov_b32_dpp v21, v27 row_bcast:31 row_mask:0xf bank_mask:0xf bound_ctrl:1
	v_cvt_f32_i32_dpp v27, v20 row_shl:4 row_mask:0xf bank_mask:0xf bound_ctrl:1
	v_add_f32_e32 v16, v16, v19
	v_cvt_f32_i32_dpp v23, v29 row_bcast:15 row_mask:0xf bank_mask:0xf bound_ctrl:1
	v_cvt_f32_i32_dpp v26, v26 row_shl:8 row_mask:0xf bank_mask:0xf bound_ctrl:1
	v_cvt_i32_f32_e32 v17, v16
	v_add_f32_e32 v22, v22, v27
	v_add_f32_e32 v20, v28, v23
	;; [unrolled: 1-line block ×3, first 2 shown]
	v_cvt_i32_f32_e32 v25, v22
	v_cvt_f32_i32_dpp v17, v17 row_shl:4 row_mask:0xf bank_mask:0xf bound_ctrl:1
	v_cvt_i32_f32_e32 v23, v23
	v_cvt_i32_f32_e32 v1, v1
	v_cvt_f32_i32_dpp v25, v25 row_shl:8 row_mask:0xf bank_mask:0xf bound_ctrl:1
	v_add_f32_e32 v17, v16, v17
	v_cvt_i32_f32_e32 v16, v17
	v_cvt_f32_i32_dpp v19, v23 row_shr:15 row_mask:0xf bank_mask:0xf bound_ctrl:1
	v_add_f32_e32 v18, v22, v25
	v_cvt_i32_f32_e32 v18, v18
	v_cvt_f32_i32_dpp v26, v16 row_shl:8 row_mask:0xf bank_mask:0xf bound_ctrl:1
	v_cvt_i32_f32_e32 v13, v13
	v_cvt_i32_f32_e32 v2, v2
	v_cvt_i32_f32_e32 v14, v14
	v_cvt_i32_f32_e32 v15, v15
	v_cvt_i32_f32_e32 v22, v20
	v_cvt_i32_f32_e32 v23, v19
	v_cvt_f32_i32_dpp v25, v18 row_shr:15 row_mask:0xf bank_mask:0xf bound_ctrl:1
	v_add_f32_e32 v17, v17, v26
	v_cvt_f32_i32_dpp v1, v1 row_shl:1 row_mask:0xf bank_mask:0xf bound_ctrl:1
	v_cvt_i32_f32_e32 v17, v17
	v_cvt_f32_i32_dpp v13, v13 row_shl:1 row_mask:0xf bank_mask:0xf bound_ctrl:1
	v_cvt_i32_f32_e32 v9, v9
	;; [unrolled: 2-line block ×5, first 2 shown]
	v_cvt_f32_i32_dpp v23, v23 row_bcast:15 row_mask:0xf bank_mask:0xf bound_ctrl:1
	v_mov_b32_dpp v18, v22 row_bcast:31 row_mask:0xf bank_mask:0xf bound_ctrl:1
	v_cvt_i32_f32_e32 v22, v25
	v_add_f32_e32 v0, v0, v1
	v_cvt_f32_i32_dpp v17, v17 row_shr:15 row_mask:0xf bank_mask:0xf bound_ctrl:1
	v_add_f32_e32 v12, v12, v13
	v_cvt_f32_i32_dpp v9, v9 row_shl:1 row_mask:0xf bank_mask:0xf bound_ctrl:1
	v_add_f32_e32 v0, v0, v2
	v_cvt_f32_i32_dpp v1, v3 row_shl:3 row_mask:0xf bank_mask:0xf bound_ctrl:1
	v_cvt_i32_f32_e32 v2, v5
	v_add_f32_e32 v12, v12, v14
	v_cvt_f32_i32_dpp v10, v10 row_shl:2 row_mask:0xf bank_mask:0xf bound_ctrl:1
	v_cvt_i32_f32_e32 v3, v6
	;; [unrolled: 3-line block ×3, first 2 shown]
	v_add_f32_e32 v16, v19, v23
	v_cvt_f32_i32_dpp v22, v22 row_bcast:15 row_mask:0xf bank_mask:0xf bound_ctrl:1
	v_cvt_i32_f32_e32 v12, v15
	v_cvt_i32_f32_e32 v19, v16
	;; [unrolled: 1-line block ×3, first 2 shown]
	v_add_f32_e32 v8, v8, v9
	v_add_f32_e32 v0, v0, v1
	v_cvt_f32_i32_dpp v1, v2 row_shl:1 row_mask:0xf bank_mask:0xf bound_ctrl:1
	v_add_f32_e32 v8, v8, v10
	v_cvt_f32_i32_dpp v2, v3 row_shl:2 row_mask:0xf bank_mask:0xf bound_ctrl:1
	v_add_f32_e32 v9, v8, v11
	v_cvt_f32_i32_dpp v3, v5 row_shl:3 row_mask:0xf bank_mask:0xf bound_ctrl:1
	v_add_f32_e32 v13, v25, v22
	v_cvt_f32_i32_dpp v22, v12 row_shl:4 row_mask:0xf bank_mask:0xf bound_ctrl:1
	v_cvt_i32_f32_e32 v10, v9
	v_mov_b32_dpp v14, v19 row_bcast:31 row_mask:0xf bank_mask:0xf bound_ctrl:1
	v_cvt_f32_i32_dpp v19, v23 row_bcast:15 row_mask:0xf bank_mask:0xf bound_ctrl:1
	v_add_f32_e32 v1, v4, v1
	v_add_f32_e32 v1, v1, v2
	;; [unrolled: 1-line block ×4, first 2 shown]
	v_cvt_f32_i32_dpp v10, v10 row_shl:4 row_mask:0xf bank_mask:0xf bound_ctrl:1
	v_cvt_i32_f32_e32 v5, v0
	v_cvt_i32_f32_e32 v2, v1
	v_add_f32_e32 v12, v17, v19
	v_cvt_i32_f32_e32 v19, v15
	v_add_f32_e32 v9, v9, v10
	v_cvt_f32_i32_dpp v4, v5 row_shl:4 row_mask:0xf bank_mask:0xf bound_ctrl:1
	v_cvt_f32_i32_dpp v2, v2 row_shl:4 row_mask:0xf bank_mask:0xf bound_ctrl:1
	;; [unrolled: 1-line block ×3, first 2 shown]
	v_cvt_i32_f32_e32 v10, v9
	v_add_f32_e32 v0, v0, v4
	v_add_f32_e32 v1, v1, v2
	;; [unrolled: 1-line block ×3, first 2 shown]
	v_cvt_f32_i32_dpp v3, v10 row_shl:8 row_mask:0xf bank_mask:0xf bound_ctrl:1
	v_cvt_i32_f32_e32 v4, v0
	v_cvt_i32_f32_e32 v2, v1
	;; [unrolled: 1-line block ×3, first 2 shown]
	v_add_f32_e32 v3, v9, v3
	v_cvt_f32_i32_dpp v4, v4 row_shl:8 row_mask:0xf bank_mask:0xf bound_ctrl:1
	v_cvt_f32_i32_dpp v2, v2 row_shl:8 row_mask:0xf bank_mask:0xf bound_ctrl:1
	v_cvt_f32_i32_dpp v5, v15 row_shr:15 row_mask:0xf bank_mask:0xf bound_ctrl:1
	v_cvt_i32_f32_e32 v3, v3
	v_add_f32_e32 v0, v0, v4
	v_add_f32_e32 v1, v1, v2
	v_cvt_i32_f32_e32 v6, v5
	v_cvt_f32_i32_dpp v3, v3 row_shr:15 row_mask:0xf bank_mask:0xf bound_ctrl:1
	v_cvt_i32_f32_e32 v0, v0
	v_cvt_i32_f32_e32 v1, v1
	v_cvt_f32_i32_dpp v2, v6 row_bcast:15 row_mask:0xf bank_mask:0xf bound_ctrl:1
	v_cvt_i32_f32_e32 v4, v3
	v_cvt_f32_i32_dpp v0, v0 row_shr:15 row_mask:0xf bank_mask:0xf bound_ctrl:1
	v_cvt_f32_i32_dpp v1, v1 row_shr:15 row_mask:0xf bank_mask:0xf bound_ctrl:1
	v_add_f32_e32 v10, v5, v2
	v_cvt_f32_i32_dpp v4, v4 row_bcast:15 row_mask:0xf bank_mask:0xf bound_ctrl:1
	v_cvt_i32_f32_e32 v2, v0
	v_cvt_i32_f32_e32 v5, v1
	v_cvt_i32_f32_e32 v23, v13
	v_add_f32_e32 v6, v3, v4
	v_cvt_f32_i32_dpp v2, v2 row_bcast:15 row_mask:0xf bank_mask:0xf bound_ctrl:1
	v_cvt_f32_i32_dpp v3, v5 row_bcast:15 row_mask:0xf bank_mask:0xf bound_ctrl:1
	v_cvt_i32_f32_e32 v17, v12
	v_cvt_i32_f32_e32 v7, v10
	v_add_f32_e32 v4, v0, v2
	v_add_f32_e32 v2, v1, v3
	v_cvt_i32_f32_e32 v5, v6
	v_cvt_i32_f32_e32 v0, v4
	;; [unrolled: 1-line block ×3, first 2 shown]
	v_mov_b32_dpp v11, v23 row_bcast:31 row_mask:0xf bank_mask:0xf bound_ctrl:1
	v_mov_b32_dpp v8, v17 row_bcast:31 row_mask:0xf bank_mask:0xf bound_ctrl:1
	v_mov_b32_dpp v15, v7 row_bcast:31 row_mask:0xf bank_mask:0xf bound_ctrl:1
	v_mov_b32_dpp v7, v5 row_bcast:31 row_mask:0xf bank_mask:0xf bound_ctrl:1
	v_mov_b32_dpp v5, v0 row_bcast:31 row_mask:0xf bank_mask:0xf bound_ctrl:1
	v_mov_b32_dpp v3, v1 row_bcast:31 row_mask:0xf bank_mask:0xf bound_ctrl:1
	s_and_saveexec_b64 s[20:21], s[0:1]
	s_cbranch_execz .LBB224_13
; %bb.22:                               ;   in Loop: Header=BB224_14 Depth=1
	s_andn2_b64 vcc, exec, s[18:19]
	v_mov_b32_e32 v0, 0
	v_mov_b32_e32 v27, 0
	;; [unrolled: 1-line block ×9, first 2 shown]
	s_cbranch_vccnz .LBB224_24
; %bb.23:                               ;   in Loop: Header=BB224_14 Depth=1
	v_mul_hi_u32 v0, v76, v97
	v_mul_lo_u32 v0, v0, s12
	v_sub_u32_e32 v0, v76, v0
	v_subrev_u32_e32 v1, s12, v0
	v_cmp_le_u32_e32 vcc, s12, v0
	v_mov_b32_e32 v23, v79
	v_mov_b32_e32 v33, v79
	v_cndmask_b32_e32 v0, v0, v1, vcc
	v_subrev_u32_e32 v1, s12, v0
	v_cmp_le_u32_e32 vcc, s12, v0
	s_nop 1
	v_cndmask_b32_e32 v78, v0, v1, vcc
	v_add_u32_e32 v0, 1, v76
	v_mul_hi_u32 v1, v0, v97
	v_mul_lo_u32 v1, v1, s12
	v_sub_u32_e32 v0, v0, v1
	v_subrev_u32_e32 v1, s12, v0
	v_cmp_le_u32_e32 vcc, s12, v0
	v_add_u32_e32 v22, s26, v78
	v_lshl_add_u64 v[28:29], v[78:79], 1, s[8:9]
	v_cndmask_b32_e32 v0, v0, v1, vcc
	v_subrev_u32_e32 v1, s12, v0
	v_cmp_le_u32_e32 vcc, s12, v0
	v_lshl_add_u64 v[36:37], v[22:23], 1, s[8:9]
	v_add_u32_e32 v78, s27, v78
	v_cndmask_b32_e32 v0, v0, v1, vcc
	v_mov_b32_e32 v1, v79
	v_lshl_add_u64 v[30:31], v[0:1], 1, s[8:9]
	v_mul_hi_u32 v1, v80, v97
	v_mul_lo_u32 v1, v1, s12
	v_sub_u32_e32 v1, v80, v1
	v_subrev_u32_e32 v9, s12, v1
	v_cmp_le_u32_e32 vcc, s12, v1
	v_add_u32_e32 v22, s26, v0
	v_lshl_add_u64 v[38:39], v[22:23], 1, s[8:9]
	v_cndmask_b32_e32 v1, v1, v9, vcc
	v_subrev_u32_e32 v9, s12, v1
	v_cmp_le_u32_e32 vcc, s12, v1
	v_lshl_add_u64 v[42:43], v[78:79], 1, s[8:9]
	v_add_u32_e32 v78, s27, v0
	v_cndmask_b32_e32 v32, v1, v9, vcc
	v_add_u32_e32 v22, s26, v32
	v_lshl_add_u64 v[34:35], v[32:33], 1, s[8:9]
	v_lshl_add_u64 v[40:41], v[22:23], 1, s[8:9]
	;; [unrolled: 1-line block ×3, first 2 shown]
	global_load_ushort v0, v[28:29], off
	global_load_ushort v27, v[30:31], off
	global_load_ushort v26, v[34:35], off
	global_load_ushort v25, v[36:37], off
	global_load_ushort v23, v[38:39], off
	global_load_ushort v22, v[40:41], off
	global_load_ushort v19, v[42:43], off
	global_load_ushort v17, v[44:45], off
	v_add_u32_e32 v78, s27, v32
	v_lshl_add_u64 v[28:29], v[78:79], 1, s[8:9]
	global_load_ushort v9, v[28:29], off
.LBB224_24:                             ;   in Loop: Header=BB224_14 Depth=1
	v_cvt_f32_i32_e32 v1, v21
	s_waitcnt vmcnt(8)
	v_lshlrev_b32_e32 v0, 16, v0
                                        ; implicit-def: $vgpr21
	v_add_f32_e32 v1, v24, v1
	v_add_f32_e32 v0, v1, v0
	v_and_b32_e32 v1, 0x7f800000, v0
	v_cmp_ne_u32_e32 vcc, s29, v1
	s_and_saveexec_b64 s[22:23], vcc
	s_xor_b64 s[22:23], exec, s[22:23]
; %bb.25:                               ;   in Loop: Header=BB224_14 Depth=1
	v_bfe_u32 v1, v0, 16, 1
	v_add3_u32 v21, v0, v1, s30
                                        ; implicit-def: $vgpr0
; %bb.26:                               ;   in Loop: Header=BB224_14 Depth=1
	s_andn2_saveexec_b64 s[22:23], s[22:23]
; %bb.27:                               ;   in Loop: Header=BB224_14 Depth=1
	v_or_b32_e32 v1, 0x10000, v0
	v_cmp_eq_u32_sdwa vcc, v0, v79 src0_sel:WORD_0 src1_sel:DWORD
	s_nop 1
	v_cndmask_b32_e32 v21, v1, v0, vcc
; %bb.28:                               ;   in Loop: Header=BB224_14 Depth=1
	s_or_b64 exec, exec, s[22:23]
	v_cvt_f32_i32_e32 v18, v18
	v_mov_b32_e32 v77, v79
	v_lshl_add_u64 v[0:1], v[76:77], 1, s[10:11]
	global_store_short_d16_hi v[0:1], v21, off
	v_add_f32_e32 v18, v20, v18
	s_waitcnt vmcnt(8)
	v_lshlrev_b32_e32 v20, 16, v27
	v_add_f32_e32 v18, v18, v20
	v_and_b32_e32 v20, 0x7f800000, v18
	v_cmp_ne_u32_e32 vcc, s29, v20
                                        ; implicit-def: $vgpr20
	s_and_saveexec_b64 s[22:23], vcc
	s_xor_b64 s[22:23], exec, s[22:23]
; %bb.29:                               ;   in Loop: Header=BB224_14 Depth=1
	v_bfe_u32 v20, v18, 16, 1
	v_add3_u32 v20, v18, v20, s30
                                        ; implicit-def: $vgpr18
; %bb.30:                               ;   in Loop: Header=BB224_14 Depth=1
	s_andn2_saveexec_b64 s[22:23], s[22:23]
; %bb.31:                               ;   in Loop: Header=BB224_14 Depth=1
	v_or_b32_e32 v20, 0x10000, v18
	v_cmp_eq_u32_sdwa vcc, v18, v79 src0_sel:WORD_0 src1_sel:DWORD
	s_nop 1
	v_cndmask_b32_e32 v20, v20, v18, vcc
; %bb.32:                               ;   in Loop: Header=BB224_14 Depth=1
	s_or_b64 exec, exec, s[22:23]
	v_cvt_f32_i32_e32 v14, v14
	global_store_short_d16_hi v[0:1], v20, off offset:2
	s_waitcnt vmcnt(8)
	v_lshlrev_b32_e32 v1, 16, v26
	v_add_f32_e32 v0, v16, v14
	v_add_f32_e32 v1, v0, v1
	v_and_b32_e32 v0, 0x7f800000, v1
	v_cmp_ne_u32_e32 vcc, s29, v0
                                        ; implicit-def: $vgpr0
	s_and_saveexec_b64 s[22:23], vcc
	s_xor_b64 s[22:23], exec, s[22:23]
; %bb.33:                               ;   in Loop: Header=BB224_14 Depth=1
	v_bfe_u32 v0, v1, 16, 1
	v_add3_u32 v0, v1, v0, s30
                                        ; implicit-def: $vgpr1
; %bb.34:                               ;   in Loop: Header=BB224_14 Depth=1
	s_andn2_saveexec_b64 s[22:23], s[22:23]
; %bb.35:                               ;   in Loop: Header=BB224_14 Depth=1
	v_or_b32_e32 v0, 0x10000, v1
	v_cmp_eq_u32_sdwa vcc, v1, v79 src0_sel:WORD_0 src1_sel:DWORD
	s_nop 1
	v_cndmask_b32_e32 v0, v0, v1, vcc
; %bb.36:                               ;   in Loop: Header=BB224_14 Depth=1
	s_or_b64 exec, exec, s[22:23]
	v_cvt_f32_i32_e32 v1, v11
	v_mov_b32_e32 v81, v79
	v_lshl_add_u64 v[20:21], v[80:81], 1, s[10:11]
	global_store_short_d16_hi v[20:21], v0, off
	v_add_f32_e32 v0, v13, v1
	s_waitcnt vmcnt(8)
	v_lshlrev_b32_e32 v1, 16, v25
	v_add_f32_e32 v1, v0, v1
	v_and_b32_e32 v0, 0x7f800000, v1
	v_cmp_ne_u32_e32 vcc, s29, v0
                                        ; implicit-def: $vgpr0
	s_and_saveexec_b64 s[22:23], vcc
	s_xor_b64 s[22:23], exec, s[22:23]
; %bb.37:                               ;   in Loop: Header=BB224_14 Depth=1
	v_bfe_u32 v0, v1, 16, 1
	v_add3_u32 v0, v1, v0, s30
                                        ; implicit-def: $vgpr1
; %bb.38:                               ;   in Loop: Header=BB224_14 Depth=1
	s_andn2_saveexec_b64 s[22:23], s[22:23]
; %bb.39:                               ;   in Loop: Header=BB224_14 Depth=1
	v_or_b32_e32 v0, 0x10000, v1
	v_cmp_eq_u32_sdwa vcc, v1, v79 src0_sel:WORD_0 src1_sel:DWORD
	s_nop 1
	v_cndmask_b32_e32 v0, v0, v1, vcc
; %bb.40:                               ;   in Loop: Header=BB224_14 Depth=1
	s_or_b64 exec, exec, s[22:23]
	v_cvt_f32_i32_e32 v1, v8
	v_add_u32_e32 v78, s7, v76
	v_lshl_add_u64 v[20:21], v[78:79], 1, s[10:11]
	global_store_short_d16_hi v[20:21], v0, off
	v_add_f32_e32 v0, v12, v1
	s_waitcnt vmcnt(8)
	v_lshlrev_b32_e32 v1, 16, v23
	v_add_f32_e32 v1, v0, v1
	v_and_b32_e32 v0, 0x7f800000, v1
	v_cmp_ne_u32_e32 vcc, s29, v0
                                        ; implicit-def: $vgpr0
	s_and_saveexec_b64 s[22:23], vcc
	s_xor_b64 s[22:23], exec, s[22:23]
; %bb.41:                               ;   in Loop: Header=BB224_14 Depth=1
	v_bfe_u32 v0, v1, 16, 1
	v_add3_u32 v0, v1, v0, s30
                                        ; implicit-def: $vgpr1
; %bb.42:                               ;   in Loop: Header=BB224_14 Depth=1
	s_andn2_saveexec_b64 s[22:23], s[22:23]
; %bb.43:                               ;   in Loop: Header=BB224_14 Depth=1
	v_or_b32_e32 v0, 0x10000, v1
	v_cmp_eq_u32_sdwa vcc, v1, v79 src0_sel:WORD_0 src1_sel:DWORD
	s_nop 1
	v_cndmask_b32_e32 v0, v0, v1, vcc
; %bb.44:                               ;   in Loop: Header=BB224_14 Depth=1
	s_or_b64 exec, exec, s[22:23]
	v_cvt_f32_i32_e32 v1, v15
	v_add_u32_e32 v12, 1, v78
	v_mov_b32_e32 v13, v79
	v_lshl_add_u64 v[12:13], v[12:13], 1, s[10:11]
	v_add_f32_e32 v1, v10, v1
	global_store_short_d16_hi v[12:13], v0, off
	s_waitcnt vmcnt(8)
	v_lshlrev_b32_e32 v0, 16, v22
	v_add_f32_e32 v1, v1, v0
	v_and_b32_e32 v0, 0x7f800000, v1
	v_cmp_ne_u32_e32 vcc, s29, v0
                                        ; implicit-def: $vgpr0
	s_and_saveexec_b64 s[22:23], vcc
	s_xor_b64 s[22:23], exec, s[22:23]
; %bb.45:                               ;   in Loop: Header=BB224_14 Depth=1
	v_bfe_u32 v0, v1, 16, 1
	v_add3_u32 v0, v1, v0, s30
                                        ; implicit-def: $vgpr1
; %bb.46:                               ;   in Loop: Header=BB224_14 Depth=1
	s_andn2_saveexec_b64 s[22:23], s[22:23]
; %bb.47:                               ;   in Loop: Header=BB224_14 Depth=1
	v_or_b32_e32 v0, 0x10000, v1
	v_cmp_eq_u32_sdwa vcc, v1, v79 src0_sel:WORD_0 src1_sel:DWORD
	s_nop 1
	v_cndmask_b32_e32 v0, v0, v1, vcc
; %bb.48:                               ;   in Loop: Header=BB224_14 Depth=1
	s_or_b64 exec, exec, s[22:23]
	v_cvt_f32_i32_e32 v1, v7
	v_add_u32_e32 v10, 2, v78
	v_mov_b32_e32 v11, v79
	v_lshl_add_u64 v[10:11], v[10:11], 1, s[10:11]
	v_add_f32_e32 v1, v6, v1
	global_store_short_d16_hi v[10:11], v0, off
	s_waitcnt vmcnt(8)
	v_lshlrev_b32_e32 v0, 16, v19
	v_add_f32_e32 v1, v1, v0
	v_and_b32_e32 v0, 0x7f800000, v1
	v_cmp_ne_u32_e32 vcc, s29, v0
                                        ; implicit-def: $vgpr0
	s_and_saveexec_b64 s[22:23], vcc
	s_xor_b64 s[22:23], exec, s[22:23]
; %bb.49:                               ;   in Loop: Header=BB224_14 Depth=1
	v_bfe_u32 v0, v1, 16, 1
	v_add3_u32 v0, v1, v0, s30
                                        ; implicit-def: $vgpr1
; %bb.50:                               ;   in Loop: Header=BB224_14 Depth=1
	s_andn2_saveexec_b64 s[22:23], s[22:23]
; %bb.51:                               ;   in Loop: Header=BB224_14 Depth=1
	v_or_b32_e32 v0, 0x10000, v1
	v_cmp_eq_u32_sdwa vcc, v1, v79 src0_sel:WORD_0 src1_sel:DWORD
	s_nop 1
	v_cndmask_b32_e32 v0, v0, v1, vcc
; %bb.52:                               ;   in Loop: Header=BB224_14 Depth=1
	s_or_b64 exec, exec, s[22:23]
	v_cvt_f32_i32_e32 v1, v5
	v_add_u32_e32 v78, s7, v78
	v_lshl_add_u64 v[6:7], v[78:79], 1, s[10:11]
	global_store_short_d16_hi v[6:7], v0, off
	v_add_f32_e32 v0, v4, v1
	s_waitcnt vmcnt(8)
	v_lshlrev_b32_e32 v1, 16, v17
	v_add_f32_e32 v1, v0, v1
	v_and_b32_e32 v0, 0x7f800000, v1
	v_cmp_ne_u32_e32 vcc, s29, v0
                                        ; implicit-def: $vgpr0
	s_and_saveexec_b64 s[22:23], vcc
	s_xor_b64 s[22:23], exec, s[22:23]
; %bb.53:                               ;   in Loop: Header=BB224_14 Depth=1
	v_bfe_u32 v0, v1, 16, 1
	v_add3_u32 v0, v1, v0, s30
                                        ; implicit-def: $vgpr1
; %bb.54:                               ;   in Loop: Header=BB224_14 Depth=1
	s_andn2_saveexec_b64 s[22:23], s[22:23]
; %bb.55:                               ;   in Loop: Header=BB224_14 Depth=1
	v_or_b32_e32 v0, 0x10000, v1
	v_cmp_eq_u32_sdwa vcc, v1, v79 src0_sel:WORD_0 src1_sel:DWORD
	s_nop 1
	v_cndmask_b32_e32 v0, v0, v1, vcc
; %bb.56:                               ;   in Loop: Header=BB224_14 Depth=1
	s_or_b64 exec, exec, s[22:23]
	v_cvt_f32_i32_e32 v1, v3
	v_add_u32_e32 v4, 1, v78
	v_mov_b32_e32 v5, v79
	v_lshl_add_u64 v[4:5], v[4:5], 1, s[10:11]
	v_add_f32_e32 v1, v2, v1
	global_store_short_d16_hi v[4:5], v0, off
	s_waitcnt vmcnt(8)
	v_lshlrev_b32_e32 v0, 16, v9
	v_add_f32_e32 v1, v1, v0
	v_and_b32_e32 v0, 0x7f800000, v1
	v_cmp_ne_u32_e32 vcc, s29, v0
                                        ; implicit-def: $vgpr0
	s_and_saveexec_b64 s[22:23], vcc
	s_xor_b64 s[22:23], exec, s[22:23]
; %bb.57:                               ;   in Loop: Header=BB224_14 Depth=1
	v_bfe_u32 v0, v1, 16, 1
	v_add3_u32 v0, v1, v0, s30
                                        ; implicit-def: $vgpr1
; %bb.58:                               ;   in Loop: Header=BB224_14 Depth=1
	s_andn2_saveexec_b64 s[22:23], s[22:23]
	s_cbranch_execz .LBB224_12
; %bb.59:                               ;   in Loop: Header=BB224_14 Depth=1
	v_or_b32_e32 v0, 0x10000, v1
	v_cmp_eq_u32_sdwa vcc, v1, v79 src0_sel:WORD_0 src1_sel:DWORD
	s_nop 1
	v_cndmask_b32_e32 v0, v0, v1, vcc
	s_branch .LBB224_12
.LBB224_60:
	s_endpgm
	.section	.rodata,"a",@progbits
	.p2align	6, 0x0
	.amdhsa_kernel _Z16wvSplitK_hf_sml_I14__hip_bfloat16Li32ELi3ELi16ELi8ELi2ELi3EEviiiiiiPKT_S3_S3_PS1_ii
		.amdhsa_group_segment_fixed_size 65536
		.amdhsa_private_segment_fixed_size 0
		.amdhsa_kernarg_size 64
		.amdhsa_user_sgpr_count 2
		.amdhsa_user_sgpr_dispatch_ptr 0
		.amdhsa_user_sgpr_queue_ptr 0
		.amdhsa_user_sgpr_kernarg_segment_ptr 1
		.amdhsa_user_sgpr_dispatch_id 0
		.amdhsa_user_sgpr_kernarg_preload_length 0
		.amdhsa_user_sgpr_kernarg_preload_offset 0
		.amdhsa_user_sgpr_private_segment_size 0
		.amdhsa_uses_dynamic_stack 0
		.amdhsa_enable_private_segment 0
		.amdhsa_system_sgpr_workgroup_id_x 1
		.amdhsa_system_sgpr_workgroup_id_y 0
		.amdhsa_system_sgpr_workgroup_id_z 0
		.amdhsa_system_sgpr_workgroup_info 0
		.amdhsa_system_vgpr_workitem_id 1
		.amdhsa_next_free_vgpr 100
		.amdhsa_next_free_sgpr 32
		.amdhsa_accum_offset 100
		.amdhsa_reserve_vcc 1
		.amdhsa_float_round_mode_32 0
		.amdhsa_float_round_mode_16_64 0
		.amdhsa_float_denorm_mode_32 3
		.amdhsa_float_denorm_mode_16_64 3
		.amdhsa_dx10_clamp 1
		.amdhsa_ieee_mode 1
		.amdhsa_fp16_overflow 0
		.amdhsa_tg_split 0
		.amdhsa_exception_fp_ieee_invalid_op 0
		.amdhsa_exception_fp_denorm_src 0
		.amdhsa_exception_fp_ieee_div_zero 0
		.amdhsa_exception_fp_ieee_overflow 0
		.amdhsa_exception_fp_ieee_underflow 0
		.amdhsa_exception_fp_ieee_inexact 0
		.amdhsa_exception_int_div_zero 0
	.end_amdhsa_kernel
	.section	.text._Z16wvSplitK_hf_sml_I14__hip_bfloat16Li32ELi3ELi16ELi8ELi2ELi3EEviiiiiiPKT_S3_S3_PS1_ii,"axG",@progbits,_Z16wvSplitK_hf_sml_I14__hip_bfloat16Li32ELi3ELi16ELi8ELi2ELi3EEviiiiiiPKT_S3_S3_PS1_ii,comdat
.Lfunc_end224:
	.size	_Z16wvSplitK_hf_sml_I14__hip_bfloat16Li32ELi3ELi16ELi8ELi2ELi3EEviiiiiiPKT_S3_S3_PS1_ii, .Lfunc_end224-_Z16wvSplitK_hf_sml_I14__hip_bfloat16Li32ELi3ELi16ELi8ELi2ELi3EEviiiiiiPKT_S3_S3_PS1_ii
                                        ; -- End function
	.section	.AMDGPU.csdata,"",@progbits
; Kernel info:
; codeLenInByte = 4432
; NumSgprs: 38
; NumVgprs: 100
; NumAgprs: 0
; TotalNumVgprs: 100
; ScratchSize: 0
; MemoryBound: 0
; FloatMode: 240
; IeeeMode: 1
; LDSByteSize: 65536 bytes/workgroup (compile time only)
; SGPRBlocks: 4
; VGPRBlocks: 12
; NumSGPRsForWavesPerEU: 38
; NumVGPRsForWavesPerEU: 100
; AccumOffset: 100
; Occupancy: 2
; WaveLimiterHint : 0
; COMPUTE_PGM_RSRC2:SCRATCH_EN: 0
; COMPUTE_PGM_RSRC2:USER_SGPR: 2
; COMPUTE_PGM_RSRC2:TRAP_HANDLER: 0
; COMPUTE_PGM_RSRC2:TGID_X_EN: 1
; COMPUTE_PGM_RSRC2:TGID_Y_EN: 0
; COMPUTE_PGM_RSRC2:TGID_Z_EN: 0
; COMPUTE_PGM_RSRC2:TIDIG_COMP_CNT: 1
; COMPUTE_PGM_RSRC3_GFX90A:ACCUM_OFFSET: 24
; COMPUTE_PGM_RSRC3_GFX90A:TG_SPLIT: 0
	.section	.text._Z12wvSplitK_hf_I14__hip_bfloat16Li32ELi3ELi16ELi8ELi2ELi3EEviiiiiiPKT_S3_S3_PS1_ii,"axG",@progbits,_Z12wvSplitK_hf_I14__hip_bfloat16Li32ELi3ELi16ELi8ELi2ELi3EEviiiiiiPKT_S3_S3_PS1_ii,comdat
	.protected	_Z12wvSplitK_hf_I14__hip_bfloat16Li32ELi3ELi16ELi8ELi2ELi3EEviiiiiiPKT_S3_S3_PS1_ii ; -- Begin function _Z12wvSplitK_hf_I14__hip_bfloat16Li32ELi3ELi16ELi8ELi2ELi3EEviiiiiiPKT_S3_S3_PS1_ii
	.globl	_Z12wvSplitK_hf_I14__hip_bfloat16Li32ELi3ELi16ELi8ELi2ELi3EEviiiiiiPKT_S3_S3_PS1_ii
	.p2align	8
	.type	_Z12wvSplitK_hf_I14__hip_bfloat16Li32ELi3ELi16ELi8ELi2ELi3EEviiiiiiPKT_S3_S3_PS1_ii,@function
_Z12wvSplitK_hf_I14__hip_bfloat16Li32ELi3ELi16ELi8ELi2ELi3EEviiiiiiPKT_S3_S3_PS1_ii: ; @_Z12wvSplitK_hf_I14__hip_bfloat16Li32ELi3ELi16ELi8ELi2ELi3EEviiiiiiPKT_S3_S3_PS1_ii
; %bb.0:
	s_load_dwordx2 s[8:9], s[0:1], 0x38
	s_load_dwordx2 s[10:11], s[0:1], 0x20
	s_load_dwordx4 s[12:15], s[0:1], 0x0
	s_load_dwordx2 s[20:21], s[0:1], 0x10
	v_bfe_u32 v4, v0, 10, 10
	s_waitcnt lgkmcnt(0)
	s_mul_i32 s2, s2, s8
	v_add_u32_e32 v1, s2, v4
	v_lshl_add_u32 v88, v1, 1, v1
	s_mov_b32 s4, 1
	v_add_u32_e32 v1, 3, v88
	s_mov_b32 s6, s4
	v_cmp_gt_u32_e32 vcc, s15, v88
	v_cmp_le_u32_e64 s[2:3], s15, v1
	s_mov_b32 s5, s4
	v_mov_b32_e32 v86, s6
	s_and_b64 s[16:17], vcc, s[2:3]
	v_mov_b32_e32 v85, s5
	v_mov_b32_e32 v84, s4
	s_and_saveexec_b64 s[2:3], s[16:17]
	s_cbranch_execz .LBB225_6
; %bb.1:
	s_add_i32 s7, s15, -3
	v_mov_b32_e32 v86, s6
	v_cmp_ne_u32_e32 vcc, s7, v88
	v_mov_b32_e32 v85, s5
	v_mov_b32_e32 v84, s4
	s_and_saveexec_b64 s[16:17], vcc
	s_cbranch_execz .LBB225_5
; %bb.2:
	v_subrev_u32_e32 v1, s7, v88
	v_cmp_lt_u32_e32 vcc, 1, v1
	s_mov_b64 s[18:19], 0
	s_mov_b64 s[22:23], 0
	v_cndmask_b32_e32 v2, 1, v1, vcc
	s_mov_b32 s5, s4
	s_mov_b32 s6, s4
.LBB225_3:                              ; =>This Inner Loop Header: Depth=1
	s_cmp_lg_u32 s22, 2
	s_cselect_b32 s6, s6, 0
	s_cmp_lg_u32 s22, 1
	s_cselect_b32 s5, s5, 0
	;; [unrolled: 2-line block ×3, first 2 shown]
	s_add_u32 s22, s22, 1
	s_addc_u32 s23, s23, 0
	v_cmp_eq_u32_e32 vcc, s22, v2
	v_mov_b32_e32 v86, s6
	s_or_b64 s[18:19], vcc, s[18:19]
	v_mov_b32_e32 v85, s5
	v_mov_b32_e32 v84, s4
	s_andn2_b64 exec, exec, s[18:19]
	s_cbranch_execnz .LBB225_3
; %bb.4:
	s_or_b64 exec, exec, s[18:19]
	v_mov_b32_e32 v88, s7
.LBB225_5:
	s_or_b64 exec, exec, s[16:17]
.LBB225_6:
	s_or_b64 exec, exec, s[2:3]
	v_and_b32_e32 v5, 0x3ff, v0
	v_lshlrev_b32_e32 v87, 3, v5
	s_mul_i32 s2, s14, 3
	v_lshl_add_u32 v6, v4, 8, v87
	s_min_u32 s4, s2, 0x8000
	v_cmp_gt_u32_e32 vcc, s4, v6
	s_and_saveexec_b64 s[2:3], vcc
	s_cbranch_execz .LBB225_15
; %bb.7:
	v_lshlrev_b32_e32 v0, 1, v6
	global_load_dwordx4 v[8:11], v0, s[10:11]
	v_add_u32_e32 v1, 0x1000, v6
	v_cmp_gt_u32_e32 vcc, s4, v1
	s_waitcnt vmcnt(0)
	ds_write_b128 v0, v[8:11]
	s_and_saveexec_b64 s[6:7], vcc
	s_xor_b64 s[6:7], exec, s[6:7]
	s_cbranch_execz .LBB225_15
; %bb.8:
	v_mov_b32_e32 v1, 0
	v_lshl_add_u64 v[2:3], s[10:11], 0, v[0:1]
	v_add_co_u32_e32 v8, vcc, 0x2000, v2
	v_add_u32_e32 v1, 0x2000, v6
	s_nop 0
	v_addc_co_u32_e32 v9, vcc, 0, v3, vcc
	global_load_dwordx4 v[8:11], v[8:9], off
	v_cmp_gt_u32_e32 vcc, s4, v1
	s_waitcnt vmcnt(0)
	ds_write_b128 v0, v[8:11] offset:8192
	s_and_saveexec_b64 s[6:7], vcc
	s_xor_b64 s[6:7], exec, s[6:7]
	s_cbranch_execz .LBB225_15
; %bb.9:
	v_add_co_u32_e32 v8, vcc, 0x4000, v2
	v_add_u32_e32 v1, 0x3000, v6
	s_nop 0
	v_addc_co_u32_e32 v9, vcc, 0, v3, vcc
	global_load_dwordx4 v[8:11], v[8:9], off
	v_cmp_gt_u32_e32 vcc, s4, v1
	s_waitcnt vmcnt(0)
	ds_write_b128 v0, v[8:11] offset:16384
	s_and_saveexec_b64 s[6:7], vcc
	s_xor_b64 s[6:7], exec, s[6:7]
	s_cbranch_execz .LBB225_15
; %bb.10:
	;; [unrolled: 12-line block ×6, first 2 shown]
	v_add_co_u32_e32 v2, vcc, 0xe000, v2
	s_nop 1
	v_addc_co_u32_e32 v3, vcc, 0, v3, vcc
	global_load_dwordx4 v[6:9], v[2:3], off
	s_waitcnt vmcnt(0)
	ds_write_b128 v0, v[6:9] offset:57344
.LBB225_15:
	s_or_b64 exec, exec, s[2:3]
	v_cmp_gt_u32_e32 vcc, s8, v4
	v_cmp_gt_u32_e64 s[2:3], s15, v88
	s_and_b64 s[2:3], vcc, s[2:3]
	s_waitcnt lgkmcnt(0)
	s_barrier
	s_and_saveexec_b64 s[4:5], s[2:3]
	s_cbranch_execz .LBB225_112
; %bb.16:
	s_load_dwordx4 s[16:19], s[0:1], 0x28
	s_load_dwordx2 s[22:23], s[0:1], 0x18
	s_cmp_lg_u32 s12, 0
	s_cselect_b64 s[2:3], -1, 0
	s_add_i32 s33, s12, -8
	s_add_i32 s38, s15, -1
	s_waitcnt lgkmcnt(0)
	s_cmp_lg_u64 s[16:17], 0
	s_cselect_b64 s[26:27], -1, 0
	s_abs_i32 s4, s21
	v_cvt_f32_u32_e32 v0, s20
	v_cvt_f32_u32_e32 v1, s4
	s_sub_i32 s5, 0, s20
	s_add_i32 s21, s15, -3
	v_rcp_iflag_f32_e32 v0, v0
	v_rcp_iflag_f32_e32 v1, v1
	s_mul_i32 s39, s8, s9
	v_cmp_eq_u32_e64 s[0:1], 31, v5
	v_mul_f32_e32 v0, 0x4f7ffffe, v0
	v_mul_f32_e32 v1, 0x4f7ffffe, v1
	v_cvt_u32_f32_e32 v0, v0
	v_cvt_u32_f32_e32 v1, v1
	s_mov_b64 s[24:25], 0
	s_mul_i32 s39, s39, 3
	v_mul_lo_u32 v2, s5, v0
	s_sub_i32 s5, 0, s4
	v_readfirstlane_b32 s6, v1
	s_mul_i32 s5, s5, s6
	s_mul_hi_u32 s5, s6, s5
	s_add_i32 s6, s6, s5
	s_sub_i32 s5, 1, s4
	s_cmp_lt_u32 s4, 2
	s_cselect_b32 s5, s5, 1
	s_sub_i32 s7, s5, s4
	s_cmp_ge_u32 s5, s4
	s_cselect_b32 s40, s7, s5
	s_lshr_b32 s5, s6, 31
	s_mul_i32 s5, s5, s4
	s_sub_i32 s5, 2, s5
	s_sub_i32 s6, s5, s4
	s_cmp_ge_u32 s5, s4
	s_cselect_b32 s5, s6, s5
	s_sub_i32 s6, s5, s4
	v_mul_hi_u32 v2, v0, v2
	s_cmp_ge_u32 s5, s4
	v_add_u32_e32 v106, v0, v2
	s_cselect_b32 s41, s6, s5
	s_lshl_b32 s42, s14, 1
	v_cndmask_b32_e64 v0, 0, 1, s[2:3]
	v_mov_b32_e32 v91, 0
	s_mul_i32 s40, s40, s20
	s_mul_i32 s41, s41, s20
	v_lshlrev_b32_e32 v107, 4, v5
	s_lshl_b32 s43, s14, 2
	v_add_u32_e32 v108, s42, v87
	v_add_u32_e32 v109, s14, v87
	v_cmp_ne_u32_e64 s[2:3], 1, v0
	s_movk_i32 s14, 0x7fff
	s_mov_b32 s44, 0x7f800000
	s_mov_b32 s28, 0
	s_branch .LBB225_19
.LBB225_17:                             ;   in Loop: Header=BB225_19 Depth=1
	s_or_b64 exec, exec, s[8:9]
	v_mov_b32_e32 v88, s21
.LBB225_18:                             ;   in Loop: Header=BB225_19 Depth=1
	s_or_b64 exec, exec, s[6:7]
	v_cmp_le_u32_e32 vcc, s15, v88
	s_or_b64 s[24:25], vcc, s[24:25]
	s_andn2_b64 exec, exec, s[24:25]
	s_cbranch_execz .LBB225_112
.LBB225_19:                             ; =>This Loop Header: Depth=1
                                        ;     Child Loop BB225_24 Depth 2
                                        ;     Child Loop BB225_110 Depth 2
	s_and_b64 vcc, exec, s[2:3]
	v_add_u32_e32 v94, 1, v88
	v_add_u32_e32 v92, 2, v88
	v_mov_b32_e32 v7, v91
	s_waitcnt vmcnt(0)
	v_mov_b32_e32 v6, v91
	v_mov_b32_e32 v5, v91
	;; [unrolled: 1-line block ×35, first 2 shown]
	s_cbranch_vccnz .LBB225_50
; %bb.20:                               ;   in Loop: Header=BB225_19 Depth=1
	v_min_u32_e32 v0, s38, v88
	v_mul_lo_u32 v90, v0, s13
	v_min_u32_e32 v0, s38, v94
	v_min_u32_e32 v2, s38, v92
	v_mul_lo_u32 v0, v0, s13
	v_mov_b32_e32 v1, v91
	v_mul_lo_u32 v2, v2, s13
	v_mov_b32_e32 v3, v91
	v_mov_b32_e32 v24, 0
	s_mov_b32 s4, 0
	v_lshlrev_b64 v[96:97], 1, v[90:91]
	v_lshlrev_b64 v[98:99], 1, v[0:1]
	;; [unrolled: 1-line block ×3, first 2 shown]
	v_mov_b32_e32 v89, v107
	s_mov_b32 s34, 0
	v_mov_b32_e32 v25, v24
	v_mov_b32_e32 v26, v24
	;; [unrolled: 1-line block ×35, first 2 shown]
	s_branch .LBB225_24
.LBB225_21:                             ;   in Loop: Header=BB225_24 Depth=2
	s_or_b64 exec, exec, s[30:31]
.LBB225_22:                             ;   in Loop: Header=BB225_24 Depth=2
	s_or_b64 exec, exec, s[8:9]
.LBB225_23:                             ;   in Loop: Header=BB225_24 Depth=2
	s_or_b64 exec, exec, s[6:7]
	s_waitcnt vmcnt(0) lgkmcnt(0)
	v_mfma_f32_4x4x4_16b_bf16 v[32:35], v[60:61], v[44:45], v[32:35]
	s_addk_i32 s34, 0x200
	v_mfma_f32_4x4x4_16b_bf16 v[28:31], v[60:61], v[40:41], v[28:31]
	v_add_u32_e32 v89, 0x400, v89
	v_mfma_f32_4x4x4_16b_bf16 v[24:27], v[60:61], v[52:53], v[24:27]
	s_cmp_ge_u32 s34, s12
	v_mfma_f32_4x4x4_16b_bf16 v[20:23], v[64:65], v[44:45], v[20:23]
	v_mfma_f32_4x4x4_16b_bf16 v[16:19], v[64:65], v[40:41], v[16:19]
	v_mfma_f32_4x4x4_16b_bf16 v[12:15], v[64:65], v[52:53], v[12:15]
	v_mfma_f32_4x4x4_16b_bf16 v[8:11], v[68:69], v[44:45], v[8:11]
	v_mfma_f32_4x4x4_16b_bf16 v[0:3], v[68:69], v[40:41], v[0:3]
	v_mfma_f32_4x4x4_16b_bf16 v[4:7], v[68:69], v[52:53], v[4:7]
	v_mfma_f32_4x4x4_16b_bf16 v[32:35], v[62:63], v[46:47], v[32:35]
	v_mfma_f32_4x4x4_16b_bf16 v[28:31], v[62:63], v[42:43], v[28:31]
	v_mfma_f32_4x4x4_16b_bf16 v[24:27], v[62:63], v[54:55], v[24:27]
	v_mfma_f32_4x4x4_16b_bf16 v[20:23], v[66:67], v[46:47], v[20:23]
	v_mfma_f32_4x4x4_16b_bf16 v[16:19], v[66:67], v[42:43], v[16:19]
	v_mfma_f32_4x4x4_16b_bf16 v[12:15], v[66:67], v[54:55], v[12:15]
	v_mfma_f32_4x4x4_16b_bf16 v[8:11], v[70:71], v[46:47], v[8:11]
	v_mfma_f32_4x4x4_16b_bf16 v[0:3], v[70:71], v[42:43], v[0:3]
	v_mfma_f32_4x4x4_16b_bf16 v[4:7], v[70:71], v[54:55], v[4:7]
	v_mfma_f32_4x4x4_16b_bf16 v[32:35], v[72:73], v[48:49], v[32:35]
	v_mfma_f32_4x4x4_16b_bf16 v[28:31], v[72:73], v[56:57], v[28:31]
	v_mfma_f32_4x4x4_16b_bf16 v[24:27], v[72:73], v[36:37], v[24:27]
	v_mfma_f32_4x4x4_16b_bf16 v[20:23], v[80:81], v[48:49], v[20:23]
	v_mfma_f32_4x4x4_16b_bf16 v[16:19], v[80:81], v[56:57], v[16:19]
	v_mfma_f32_4x4x4_16b_bf16 v[12:15], v[80:81], v[36:37], v[12:15]
	v_mfma_f32_4x4x4_16b_bf16 v[8:11], v[76:77], v[48:49], v[8:11]
	v_mfma_f32_4x4x4_16b_bf16 v[0:3], v[76:77], v[56:57], v[0:3]
	v_mfma_f32_4x4x4_16b_bf16 v[4:7], v[76:77], v[36:37], v[4:7]
	v_mfma_f32_4x4x4_16b_bf16 v[32:35], v[74:75], v[50:51], v[32:35]
	v_mfma_f32_4x4x4_16b_bf16 v[28:31], v[74:75], v[58:59], v[28:31]
	v_mfma_f32_4x4x4_16b_bf16 v[24:27], v[74:75], v[38:39], v[24:27]
	v_mfma_f32_4x4x4_16b_bf16 v[20:23], v[82:83], v[50:51], v[20:23]
	v_mfma_f32_4x4x4_16b_bf16 v[16:19], v[82:83], v[58:59], v[16:19]
	v_mfma_f32_4x4x4_16b_bf16 v[12:15], v[82:83], v[38:39], v[12:15]
	v_mfma_f32_4x4x4_16b_bf16 v[8:11], v[78:79], v[50:51], v[8:11]
	v_mfma_f32_4x4x4_16b_bf16 v[0:3], v[78:79], v[58:59], v[0:3]
	v_mfma_f32_4x4x4_16b_bf16 v[4:7], v[78:79], v[38:39], v[4:7]
	s_cbranch_scc1 .LBB225_50
.LBB225_24:                             ;   Parent Loop BB225_19 Depth=1
                                        ; =>  This Inner Loop Header: Depth=2
	v_add_u32_e32 v104, s34, v87
	v_min_u32_e32 v90, s33, v104
	v_lshl_add_u64 v[36:37], v[90:91], 1, s[22:23]
	v_add_u32_e32 v102, 0x100, v104
	v_lshl_add_u64 v[38:39], v[36:37], 0, v[96:97]
	v_min_u32_e32 v90, s33, v102
	v_lshl_add_u64 v[48:49], v[36:37], 0, v[98:99]
	global_load_dwordx4 v[44:47], v[38:39], off nt
	global_load_dwordx4 v[40:43], v[48:49], off nt
	v_lshl_add_u64 v[38:39], v[90:91], 1, s[22:23]
	v_lshl_add_u64 v[36:37], v[36:37], 0, v[100:101]
	;; [unrolled: 1-line block ×4, first 2 shown]
	global_load_dwordx4 v[52:55], v[36:37], off nt
	global_load_dwordx4 v[48:51], v[56:57], off nt
	v_lshl_add_u64 v[62:63], v[38:39], 0, v[100:101]
	global_load_dwordx4 v[56:59], v[60:61], off nt
	global_load_dwordx4 v[36:39], v[62:63], off nt
	s_mov_b32 s5, s4
	v_cmp_gt_u32_e32 vcc, s12, v104
	v_mov_b64_e32 v[60:61], s[4:5]
	v_mov_b32_e32 v77, 0
	v_mov_b32_e32 v76, 0
	;; [unrolled: 1-line block ×4, first 2 shown]
	v_mov_b64_e32 v[62:63], s[4:5]
	v_mov_b64_e32 v[72:73], s[4:5]
	;; [unrolled: 1-line block ×9, first 2 shown]
	s_and_saveexec_b64 s[6:7], vcc
	s_cbranch_execz .LBB225_23
; %bb.25:                               ;   in Loop: Header=BB225_24 Depth=2
	v_cmp_lt_u32_e32 vcc, s14, v104
                                        ; implicit-def: $vgpr60_vgpr61
	s_and_saveexec_b64 s[8:9], vcc
	s_xor_b64 s[8:9], exec, s[8:9]
	s_cbranch_execz .LBB225_27
; %bb.26:                               ;   in Loop: Header=BB225_24 Depth=2
	v_mov_b32_e32 v105, v91
	v_lshl_add_u64 v[60:61], v[104:105], 1, s[10:11]
	global_load_dwordx4 v[60:63], v[60:61], off
.LBB225_27:                             ;   in Loop: Header=BB225_24 Depth=2
	s_andn2_saveexec_b64 s[8:9], s[8:9]
	s_cbranch_execz .LBB225_29
; %bb.28:                               ;   in Loop: Header=BB225_24 Depth=2
	s_waitcnt vmcnt(0)
	ds_read_b128 v[60:63], v89
.LBB225_29:                             ;   in Loop: Header=BB225_24 Depth=2
	s_or_b64 exec, exec, s[8:9]
	v_add_u32_e32 v90, s34, v109
	v_cmp_lt_u32_e32 vcc, s14, v90
                                        ; implicit-def: $vgpr64_vgpr65
	s_and_saveexec_b64 s[8:9], vcc
	s_xor_b64 s[8:9], exec, s[8:9]
	s_cbranch_execz .LBB225_31
; %bb.30:                               ;   in Loop: Header=BB225_24 Depth=2
	v_lshl_add_u64 v[64:65], v[90:91], 1, s[10:11]
	global_load_dwordx4 v[64:67], v[64:65], off
.LBB225_31:                             ;   in Loop: Header=BB225_24 Depth=2
	s_andn2_saveexec_b64 s[8:9], s[8:9]
	s_cbranch_execz .LBB225_33
; %bb.32:                               ;   in Loop: Header=BB225_24 Depth=2
	s_waitcnt vmcnt(0)
	v_add_u32_e32 v64, s42, v89
	ds_read_b128 v[64:67], v64
.LBB225_33:                             ;   in Loop: Header=BB225_24 Depth=2
	s_or_b64 exec, exec, s[8:9]
	v_add_u32_e32 v104, s34, v108
	v_cmp_lt_u32_e32 vcc, s14, v104
                                        ; implicit-def: $vgpr68_vgpr69
	s_and_saveexec_b64 s[8:9], vcc
	s_xor_b64 s[8:9], exec, s[8:9]
	s_cbranch_execz .LBB225_35
; %bb.34:                               ;   in Loop: Header=BB225_24 Depth=2
	v_mov_b32_e32 v105, v91
	v_lshl_add_u64 v[68:69], v[104:105], 1, s[10:11]
	global_load_dwordx4 v[68:71], v[68:69], off
.LBB225_35:                             ;   in Loop: Header=BB225_24 Depth=2
	s_andn2_saveexec_b64 s[8:9], s[8:9]
	s_cbranch_execz .LBB225_37
; %bb.36:                               ;   in Loop: Header=BB225_24 Depth=2
	s_waitcnt vmcnt(0)
	v_add_u32_e32 v70, s43, v89
	ds_read2_b32 v[68:69], v70 offset1:1
	ds_read2_b32 v[70:71], v70 offset0:2 offset1:3
.LBB225_37:                             ;   in Loop: Header=BB225_24 Depth=2
	s_or_b64 exec, exec, s[8:9]
	s_mov_b32 s29, s28
	v_cmp_gt_u32_e32 vcc, s12, v102
	v_mov_b32_e32 v77, 0
	v_mov_b64_e32 v[72:73], s[28:29]
	v_mov_b32_e32 v76, 0
	v_mov_b32_e32 v79, 0
	;; [unrolled: 1-line block ×3, first 2 shown]
	v_mov_b64_e32 v[74:75], s[28:29]
	v_mov_b64_e32 v[80:81], s[28:29]
	;; [unrolled: 1-line block ×3, first 2 shown]
	s_and_saveexec_b64 s[8:9], vcc
	s_cbranch_execz .LBB225_22
; %bb.38:                               ;   in Loop: Header=BB225_24 Depth=2
	v_cmp_lt_u32_e32 vcc, s14, v102
                                        ; implicit-def: $vgpr72_vgpr73
	s_and_saveexec_b64 s[30:31], vcc
	s_xor_b64 s[30:31], exec, s[30:31]
	s_cbranch_execz .LBB225_40
; %bb.39:                               ;   in Loop: Header=BB225_24 Depth=2
	v_mov_b32_e32 v103, v91
	v_lshl_add_u64 v[72:73], v[102:103], 1, s[10:11]
	global_load_dwordx4 v[72:75], v[72:73], off
.LBB225_40:                             ;   in Loop: Header=BB225_24 Depth=2
	s_andn2_saveexec_b64 s[30:31], s[30:31]
	s_cbranch_execz .LBB225_42
; %bb.41:                               ;   in Loop: Header=BB225_24 Depth=2
	s_waitcnt vmcnt(0)
	ds_read_b128 v[72:75], v89 offset:512
.LBB225_42:                             ;   in Loop: Header=BB225_24 Depth=2
	s_or_b64 exec, exec, s[30:31]
	v_add_u32_e32 v90, 0x100, v90
	v_cmp_lt_u32_e32 vcc, s14, v90
                                        ; implicit-def: $vgpr80_vgpr81
	s_and_saveexec_b64 s[30:31], vcc
	s_xor_b64 s[30:31], exec, s[30:31]
	s_cbranch_execz .LBB225_44
; %bb.43:                               ;   in Loop: Header=BB225_24 Depth=2
	v_lshl_add_u64 v[76:77], v[90:91], 1, s[10:11]
	global_load_dwordx4 v[80:83], v[76:77], off
.LBB225_44:                             ;   in Loop: Header=BB225_24 Depth=2
	s_andn2_saveexec_b64 s[30:31], s[30:31]
	s_cbranch_execz .LBB225_46
; %bb.45:                               ;   in Loop: Header=BB225_24 Depth=2
	v_add_u32_e32 v76, s42, v89
	s_waitcnt vmcnt(0)
	ds_read_b128 v[80:83], v76 offset:512
.LBB225_46:                             ;   in Loop: Header=BB225_24 Depth=2
	s_or_b64 exec, exec, s[30:31]
	v_add_u32_e32 v90, 0x100, v104
	v_cmp_lt_u32_e32 vcc, s14, v90
                                        ; implicit-def: $vgpr77
	s_and_saveexec_b64 s[30:31], vcc
	s_xor_b64 s[30:31], exec, s[30:31]
	s_cbranch_execz .LBB225_48
; %bb.47:                               ;   in Loop: Header=BB225_24 Depth=2
	v_lshl_add_u64 v[76:77], v[90:91], 1, s[10:11]
	global_load_dwordx4 v[76:79], v[76:77], off
.LBB225_48:                             ;   in Loop: Header=BB225_24 Depth=2
	s_andn2_saveexec_b64 s[30:31], s[30:31]
	s_cbranch_execz .LBB225_21
; %bb.49:                               ;   in Loop: Header=BB225_24 Depth=2
	s_waitcnt vmcnt(0)
	v_add_u32_e32 v78, s43, v89
	ds_read2_b32 v[76:77], v78 offset0:128 offset1:129
	ds_read2_b32 v[78:79], v78 offset0:130 offset1:131
	s_branch .LBB225_21
.LBB225_50:                             ;   in Loop: Header=BB225_19 Depth=1
	v_cvt_i32_f32_e32 v33, v33
	v_cvt_i32_f32_e32 v34, v34
	;; [unrolled: 1-line block ×4, first 2 shown]
	v_cvt_f32_i32_dpp v33, v33 row_shl:1 row_mask:0xf bank_mask:0xf bound_ctrl:1
	v_cvt_f32_i32_dpp v34, v34 row_shl:2 row_mask:0xf bank_mask:0xf bound_ctrl:1
	;; [unrolled: 1-line block ×3, first 2 shown]
	v_cvt_i32_f32_e32 v30, v30
	v_add_f32_e32 v32, v32, v33
	v_add_f32_e32 v32, v32, v34
	;; [unrolled: 1-line block ×3, first 2 shown]
	v_cvt_i32_f32_e32 v31, v31
	v_cvt_i32_f32_e32 v33, v32
	v_cvt_f32_i32_dpp v29, v29 row_shl:1 row_mask:0xf bank_mask:0xf bound_ctrl:1
	v_cvt_f32_i32_dpp v30, v30 row_shl:2 row_mask:0xf bank_mask:0xf bound_ctrl:1
	;; [unrolled: 1-line block ×4, first 2 shown]
	v_add_f32_e32 v28, v28, v29
	v_add_f32_e32 v28, v28, v30
	;; [unrolled: 1-line block ×4, first 2 shown]
	v_cvt_i32_f32_e32 v29, v28
	v_cvt_i32_f32_e32 v31, v30
	;; [unrolled: 1-line block ×4, first 2 shown]
	v_cvt_f32_i32_dpp v29, v29 row_shl:4 row_mask:0xf bank_mask:0xf bound_ctrl:1
	v_cvt_f32_i32_dpp v31, v31 row_shl:8 row_mask:0xf bank_mask:0xf bound_ctrl:1
	v_cvt_i32_f32_e32 v27, v27
	v_cvt_f32_i32_dpp v25, v25 row_shl:1 row_mask:0xf bank_mask:0xf bound_ctrl:1
	v_add_f32_e32 v28, v28, v29
	v_add_f32_e32 v30, v30, v31
	v_cvt_i32_f32_e32 v29, v28
	v_cvt_i32_f32_e32 v30, v30
	v_cvt_f32_i32_dpp v26, v26 row_shl:2 row_mask:0xf bank_mask:0xf bound_ctrl:1
	v_cvt_f32_i32_dpp v27, v27 row_shl:3 row_mask:0xf bank_mask:0xf bound_ctrl:1
	;; [unrolled: 1-line block ×3, first 2 shown]
	v_cvt_f32_i32_dpp v30, v30 row_shr:15 row_mask:0xf bank_mask:0xf bound_ctrl:1
	v_add_f32_e32 v24, v24, v25
	v_cvt_i32_f32_e32 v21, v21
	v_add_f32_e32 v24, v24, v26
	v_cvt_i32_f32_e32 v22, v22
	;; [unrolled: 2-line block ×4, first 2 shown]
	v_cvt_i32_f32_e32 v26, v25
	v_cvt_i32_f32_e32 v28, v28
	v_cvt_f32_i32_dpp v21, v21 row_shl:1 row_mask:0xf bank_mask:0xf bound_ctrl:1
	v_cvt_f32_i32_dpp v22, v22 row_shl:2 row_mask:0xf bank_mask:0xf bound_ctrl:1
	v_cvt_f32_i32_dpp v29, v29 row_bcast:15 row_mask:0xf bank_mask:0xf bound_ctrl:1
	v_cvt_f32_i32_dpp v23, v23 row_shl:3 row_mask:0xf bank_mask:0xf bound_ctrl:1
	v_cvt_f32_i32_dpp v26, v26 row_shl:4 row_mask:0xf bank_mask:0xf bound_ctrl:1
	v_cvt_f32_i32_dpp v28, v28 row_shr:15 row_mask:0xf bank_mask:0xf bound_ctrl:1
	v_add_f32_e32 v20, v20, v21
	v_add_f32_e32 v20, v20, v22
	;; [unrolled: 1-line block ×4, first 2 shown]
	v_cvt_i32_f32_e32 v27, v24
	v_add_f32_e32 v25, v25, v26
	v_cvt_i32_f32_e32 v20, v22
	v_cvt_i32_f32_e32 v29, v28
	v_cvt_i32_f32_e32 v26, v25
	v_mov_b32_dpp v21, v27 row_bcast:31 row_mask:0xf bank_mask:0xf bound_ctrl:1
	v_cvt_f32_i32_dpp v27, v20 row_shl:4 row_mask:0xf bank_mask:0xf bound_ctrl:1
	v_cvt_f32_i32_dpp v23, v29 row_bcast:15 row_mask:0xf bank_mask:0xf bound_ctrl:1
	v_cvt_f32_i32_dpp v26, v26 row_shl:8 row_mask:0xf bank_mask:0xf bound_ctrl:1
	v_cvt_i32_f32_e32 v17, v17
	v_add_f32_e32 v22, v22, v27
	v_cvt_i32_f32_e32 v18, v18
	v_add_f32_e32 v20, v28, v23
	v_add_f32_e32 v23, v25, v26
	v_cvt_i32_f32_e32 v19, v19
	v_cvt_i32_f32_e32 v25, v22
	v_cvt_f32_i32_dpp v17, v17 row_shl:1 row_mask:0xf bank_mask:0xf bound_ctrl:1
	v_cvt_f32_i32_dpp v18, v18 row_shl:2 row_mask:0xf bank_mask:0xf bound_ctrl:1
	;; [unrolled: 1-line block ×4, first 2 shown]
	v_add_f32_e32 v16, v16, v17
	v_add_f32_e32 v16, v16, v18
	;; [unrolled: 1-line block ×4, first 2 shown]
	v_cvt_i32_f32_e32 v17, v16
	v_cvt_i32_f32_e32 v19, v19
	v_cvt_i32_f32_e32 v1, v1
	v_cvt_i32_f32_e32 v13, v13
	v_cvt_i32_f32_e32 v2, v2
	v_cvt_i32_f32_e32 v14, v14
	v_cvt_i32_f32_e32 v15, v15
	v_cvt_f32_i32_dpp v17, v17 row_shl:4 row_mask:0xf bank_mask:0xf bound_ctrl:1
	v_cvt_i32_f32_e32 v22, v20
	v_cvt_f32_i32_dpp v19, v19 row_shr:15 row_mask:0xf bank_mask:0xf bound_ctrl:1
	v_cvt_f32_i32_dpp v1, v1 row_shl:1 row_mask:0xf bank_mask:0xf bound_ctrl:1
	v_cvt_f32_i32_dpp v13, v13 row_shl:1 row_mask:0xf bank_mask:0xf bound_ctrl:1
	v_cvt_i32_f32_e32 v9, v9
	v_cvt_f32_i32_dpp v2, v2 row_shl:2 row_mask:0xf bank_mask:0xf bound_ctrl:1
	v_cvt_i32_f32_e32 v3, v3
	;; [unrolled: 2-line block ×4, first 2 shown]
	v_add_f32_e32 v25, v16, v17
	v_mov_b32_dpp v17, v22 row_bcast:31 row_mask:0xf bank_mask:0xf bound_ctrl:1
	v_cvt_i32_f32_e32 v22, v19
	v_add_f32_e32 v0, v0, v1
	v_add_f32_e32 v12, v12, v13
	v_cvt_f32_i32_dpp v9, v9 row_shl:1 row_mask:0xf bank_mask:0xf bound_ctrl:1
	v_add_f32_e32 v0, v0, v2
	v_cvt_f32_i32_dpp v1, v3 row_shl:3 row_mask:0xf bank_mask:0xf bound_ctrl:1
	v_cvt_i32_f32_e32 v2, v5
	v_add_f32_e32 v12, v12, v14
	v_cvt_f32_i32_dpp v10, v10 row_shl:2 row_mask:0xf bank_mask:0xf bound_ctrl:1
	v_cvt_i32_f32_e32 v3, v6
	;; [unrolled: 3-line block ×3, first 2 shown]
	v_cvt_f32_i32_dpp v22, v22 row_bcast:15 row_mask:0xf bank_mask:0xf bound_ctrl:1
	v_cvt_i32_f32_e32 v12, v15
	v_add_f32_e32 v8, v8, v9
	v_add_f32_e32 v0, v0, v1
	v_cvt_f32_i32_dpp v1, v2 row_shl:1 row_mask:0xf bank_mask:0xf bound_ctrl:1
	v_add_f32_e32 v8, v8, v10
	v_cvt_f32_i32_dpp v2, v3 row_shl:2 row_mask:0xf bank_mask:0xf bound_ctrl:1
	;; [unrolled: 2-line block ×4, first 2 shown]
	v_cvt_i32_f32_e32 v10, v9
	v_add_f32_e32 v1, v4, v1
	v_add_f32_e32 v1, v1, v2
	;; [unrolled: 1-line block ×4, first 2 shown]
	v_cvt_f32_i32_dpp v10, v10 row_shl:4 row_mask:0xf bank_mask:0xf bound_ctrl:1
	v_cvt_i32_f32_e32 v5, v0
	v_cvt_i32_f32_e32 v2, v1
	;; [unrolled: 1-line block ×4, first 2 shown]
	v_add_f32_e32 v9, v9, v10
	v_cvt_f32_i32_dpp v4, v5 row_shl:4 row_mask:0xf bank_mask:0xf bound_ctrl:1
	v_cvt_f32_i32_dpp v2, v2 row_shl:4 row_mask:0xf bank_mask:0xf bound_ctrl:1
	v_cvt_f32_i32_dpp v18, v23 row_shr:15 row_mask:0xf bank_mask:0xf bound_ctrl:1
	v_cvt_f32_i32_dpp v19, v19 row_shl:8 row_mask:0xf bank_mask:0xf bound_ctrl:1
	v_cvt_i32_f32_e32 v10, v9
	v_add_f32_e32 v0, v0, v4
	v_add_f32_e32 v1, v1, v2
	v_cvt_i32_f32_e32 v23, v18
	v_cvt_i32_f32_e32 v16, v25
	v_add_f32_e32 v15, v15, v19
	v_cvt_f32_i32_dpp v3, v10 row_shl:8 row_mask:0xf bank_mask:0xf bound_ctrl:1
	v_cvt_i32_f32_e32 v4, v0
	v_cvt_i32_f32_e32 v2, v1
	;; [unrolled: 1-line block ×3, first 2 shown]
	v_cvt_f32_i32_dpp v23, v23 row_bcast:15 row_mask:0xf bank_mask:0xf bound_ctrl:1
	v_cvt_f32_i32_dpp v26, v16 row_shl:8 row_mask:0xf bank_mask:0xf bound_ctrl:1
	v_add_f32_e32 v3, v9, v3
	v_cvt_f32_i32_dpp v4, v4 row_shl:8 row_mask:0xf bank_mask:0xf bound_ctrl:1
	v_cvt_f32_i32_dpp v2, v2 row_shl:8 row_mask:0xf bank_mask:0xf bound_ctrl:1
	v_cvt_f32_i32_dpp v5, v15 row_shr:15 row_mask:0xf bank_mask:0xf bound_ctrl:1
	v_cvt_i32_f32_e32 v3, v3
	v_add_f32_e32 v16, v18, v23
	v_add_f32_e32 v23, v25, v26
	;; [unrolled: 1-line block ×4, first 2 shown]
	v_cvt_i32_f32_e32 v23, v23
	v_cvt_i32_f32_e32 v6, v5
	v_cvt_f32_i32_dpp v3, v3 row_shr:15 row_mask:0xf bank_mask:0xf bound_ctrl:1
	v_cvt_i32_f32_e32 v0, v0
	v_cvt_i32_f32_e32 v1, v1
	v_cvt_f32_i32_dpp v23, v23 row_shr:15 row_mask:0xf bank_mask:0xf bound_ctrl:1
	v_cvt_f32_i32_dpp v2, v6 row_bcast:15 row_mask:0xf bank_mask:0xf bound_ctrl:1
	v_cvt_f32_i32_dpp v0, v0 row_shr:15 row_mask:0xf bank_mask:0xf bound_ctrl:1
	v_cvt_i32_f32_e32 v4, v3
	v_cvt_f32_i32_dpp v1, v1 row_shr:15 row_mask:0xf bank_mask:0xf bound_ctrl:1
	v_cvt_i32_f32_e32 v18, v16
	v_cvt_i32_f32_e32 v25, v23
	v_add_f32_e32 v7, v5, v2
	v_cvt_i32_f32_e32 v2, v0
	v_cvt_f32_i32_dpp v4, v4 row_bcast:15 row_mask:0xf bank_mask:0xf bound_ctrl:1
	v_cvt_i32_f32_e32 v5, v1
	v_mov_b32_dpp v14, v18 row_bcast:31 row_mask:0xf bank_mask:0xf bound_ctrl:1
	v_cvt_f32_i32_dpp v18, v25 row_bcast:15 row_mask:0xf bank_mask:0xf bound_ctrl:1
	v_cvt_f32_i32_dpp v2, v2 row_bcast:15 row_mask:0xf bank_mask:0xf bound_ctrl:1
	v_add_f32_e32 v4, v3, v4
	v_cvt_f32_i32_dpp v3, v5 row_bcast:15 row_mask:0xf bank_mask:0xf bound_ctrl:1
	v_add_f32_e32 v12, v23, v18
	v_add_f32_e32 v2, v0, v2
	v_cvt_i32_f32_e32 v22, v13
	v_add_f32_e32 v0, v1, v3
	v_cvt_i32_f32_e32 v18, v12
	v_cvt_i32_f32_e32 v6, v7
	;; [unrolled: 1-line block ×5, first 2 shown]
	v_mov_b32_dpp v11, v22 row_bcast:31 row_mask:0xf bank_mask:0xf bound_ctrl:1
	v_mov_b32_dpp v8, v18 row_bcast:31 row_mask:0xf bank_mask:0xf bound_ctrl:1
	;; [unrolled: 1-line block ×6, first 2 shown]
	s_and_saveexec_b64 s[30:31], s[0:1]
	s_cbranch_execz .LBB225_107
; %bb.51:                               ;   in Loop: Header=BB225_19 Depth=1
	s_andn2_b64 vcc, exec, s[26:27]
	v_mov_b32_e32 v26, 0
	v_mov_b32_e32 v25, 0
	;; [unrolled: 1-line block ×9, first 2 shown]
	s_cbranch_vccnz .LBB225_53
; %bb.52:                               ;   in Loop: Header=BB225_19 Depth=1
	v_mul_hi_u32 v6, v88, v106
	v_mul_lo_u32 v6, v6, s20
	v_sub_u32_e32 v6, v88, v6
	v_subrev_u32_e32 v9, s20, v6
	v_cmp_le_u32_e32 vcc, s20, v6
	v_mov_b32_e32 v23, v91
	v_mov_b32_e32 v19, v91
	v_cndmask_b32_e32 v6, v6, v9, vcc
	v_subrev_u32_e32 v9, s20, v6
	v_cmp_le_u32_e32 vcc, s20, v6
	v_mov_b32_e32 v33, v91
	s_nop 0
	v_cndmask_b32_e32 v90, v6, v9, vcc
	v_mul_hi_u32 v6, v94, v106
	v_mul_lo_u32 v6, v6, s20
	v_sub_u32_e32 v6, v94, v6
	v_subrev_u32_e32 v9, s20, v6
	v_cmp_le_u32_e32 vcc, s20, v6
	v_add_u32_e32 v22, s40, v90
	v_lshl_add_u64 v[28:29], v[90:91], 1, s[16:17]
	v_cndmask_b32_e32 v6, v6, v9, vcc
	v_subrev_u32_e32 v9, s20, v6
	v_cmp_le_u32_e32 vcc, s20, v6
	v_lshl_add_u64 v[36:37], v[22:23], 1, s[16:17]
	v_add_u32_e32 v90, s41, v90
	v_cndmask_b32_e32 v18, v6, v9, vcc
	v_mul_hi_u32 v6, v92, v106
	v_mul_lo_u32 v6, v6, s20
	v_sub_u32_e32 v6, v92, v6
	v_subrev_u32_e32 v9, s20, v6
	v_cmp_le_u32_e32 vcc, s20, v6
	v_add_u32_e32 v22, s40, v18
	v_lshl_add_u64 v[38:39], v[22:23], 1, s[16:17]
	v_cndmask_b32_e32 v6, v6, v9, vcc
	v_subrev_u32_e32 v9, s20, v6
	v_cmp_le_u32_e32 vcc, s20, v6
	v_lshl_add_u64 v[42:43], v[90:91], 1, s[16:17]
	v_add_u32_e32 v90, s41, v18
	v_cndmask_b32_e32 v32, v6, v9, vcc
	v_add_u32_e32 v22, s40, v32
	v_lshl_add_u64 v[30:31], v[18:19], 1, s[16:17]
	v_lshl_add_u64 v[34:35], v[32:33], 1, s[16:17]
	;; [unrolled: 1-line block ×4, first 2 shown]
	global_load_ushort v26, v[28:29], off
	global_load_ushort v25, v[30:31], off
	global_load_ushort v23, v[34:35], off
	global_load_ushort v22, v[36:37], off
	global_load_ushort v19, v[38:39], off
	global_load_ushort v18, v[40:41], off
	global_load_ushort v15, v[42:43], off
	global_load_ushort v9, v[44:45], off
	v_add_u32_e32 v90, s41, v32
	v_lshl_add_u64 v[28:29], v[90:91], 1, s[16:17]
	global_load_ushort v6, v[28:29], off
.LBB225_53:                             ;   in Loop: Header=BB225_19 Depth=1
	v_cmp_ne_u32_e32 vcc, 0, v84
	s_and_saveexec_b64 s[6:7], vcc
	s_cbranch_execnz .LBB225_62
; %bb.54:                               ;   in Loop: Header=BB225_19 Depth=1
	s_or_b64 exec, exec, s[6:7]
	v_cmp_ne_u32_e64 s[4:5], 0, v85
	s_and_saveexec_b64 s[8:9], s[4:5]
	s_cbranch_execnz .LBB225_67
.LBB225_55:                             ;   in Loop: Header=BB225_19 Depth=1
	s_or_b64 exec, exec, s[8:9]
	v_cmp_ne_u32_e64 s[6:7], 0, v86
	s_and_saveexec_b64 s[34:35], s[6:7]
	s_cbranch_execnz .LBB225_72
.LBB225_56:                             ;   in Loop: Header=BB225_19 Depth=1
	s_or_b64 exec, exec, s[34:35]
	v_add_u32_e32 v90, s15, v88
	s_and_saveexec_b64 s[34:35], vcc
	s_cbranch_execnz .LBB225_77
.LBB225_57:                             ;   in Loop: Header=BB225_19 Depth=1
	s_or_b64 exec, exec, s[34:35]
	s_and_saveexec_b64 s[34:35], s[4:5]
	s_cbranch_execnz .LBB225_82
.LBB225_58:                             ;   in Loop: Header=BB225_19 Depth=1
	s_or_b64 exec, exec, s[34:35]
	s_and_saveexec_b64 s[34:35], s[6:7]
	s_cbranch_execnz .LBB225_87
.LBB225_59:                             ;   in Loop: Header=BB225_19 Depth=1
	s_or_b64 exec, exec, s[34:35]
	v_add_u32_e32 v90, s15, v90
	s_and_saveexec_b64 s[8:9], vcc
	s_cbranch_execnz .LBB225_92
.LBB225_60:                             ;   in Loop: Header=BB225_19 Depth=1
	s_or_b64 exec, exec, s[8:9]
	s_and_saveexec_b64 s[8:9], s[4:5]
	s_cbranch_execnz .LBB225_97
.LBB225_61:                             ;   in Loop: Header=BB225_19 Depth=1
	s_or_b64 exec, exec, s[8:9]
	s_and_b64 exec, exec, s[6:7]
	s_cbranch_execnz .LBB225_102
	s_branch .LBB225_107
.LBB225_62:                             ;   in Loop: Header=BB225_19 Depth=1
	v_cvt_f32_i32_e32 v21, v21
	v_add_f32_e32 v21, v24, v21
	s_waitcnt vmcnt(8)
	v_lshlrev_b32_e32 v24, 16, v26
	v_add_f32_e32 v24, v21, v24
	v_and_b32_e32 v21, 0x7f800000, v24
	v_cmp_ne_u32_e64 s[4:5], s44, v21
                                        ; implicit-def: $vgpr21
	s_and_saveexec_b64 s[8:9], s[4:5]
	s_xor_b64 s[4:5], exec, s[8:9]
; %bb.63:                               ;   in Loop: Header=BB225_19 Depth=1
	v_bfe_u32 v21, v24, 16, 1
	v_add3_u32 v21, v24, v21, s14
                                        ; implicit-def: $vgpr24
; %bb.64:                               ;   in Loop: Header=BB225_19 Depth=1
	s_andn2_saveexec_b64 s[8:9], s[4:5]
; %bb.65:                               ;   in Loop: Header=BB225_19 Depth=1
	v_or_b32_e32 v21, 0x10000, v24
	v_cmp_eq_u32_sdwa s[4:5], v24, v91 src0_sel:WORD_0 src1_sel:DWORD
	s_nop 1
	v_cndmask_b32_e64 v21, v21, v24, s[4:5]
; %bb.66:                               ;   in Loop: Header=BB225_19 Depth=1
	s_or_b64 exec, exec, s[8:9]
	v_mov_b32_e32 v89, v91
	v_lshl_add_u64 v[26:27], v[88:89], 1, s[18:19]
	global_store_short_d16_hi v[26:27], v21, off
	s_or_b64 exec, exec, s[6:7]
	v_cmp_ne_u32_e64 s[4:5], 0, v85
	s_and_saveexec_b64 s[8:9], s[4:5]
	s_cbranch_execz .LBB225_55
.LBB225_67:                             ;   in Loop: Header=BB225_19 Depth=1
	v_cvt_f32_i32_e32 v17, v17
	v_add_f32_e32 v17, v20, v17
	s_waitcnt vmcnt(7)
	v_lshlrev_b32_e32 v20, 16, v25
	v_add_f32_e32 v20, v17, v20
	v_and_b32_e32 v17, 0x7f800000, v20
	v_cmp_ne_u32_e64 s[6:7], s44, v17
                                        ; implicit-def: $vgpr17
	s_and_saveexec_b64 s[34:35], s[6:7]
	s_xor_b64 s[6:7], exec, s[34:35]
; %bb.68:                               ;   in Loop: Header=BB225_19 Depth=1
	v_bfe_u32 v17, v20, 16, 1
	v_add3_u32 v17, v20, v17, s14
                                        ; implicit-def: $vgpr20
; %bb.69:                               ;   in Loop: Header=BB225_19 Depth=1
	s_andn2_saveexec_b64 s[34:35], s[6:7]
; %bb.70:                               ;   in Loop: Header=BB225_19 Depth=1
	v_or_b32_e32 v17, 0x10000, v20
	v_cmp_eq_u32_sdwa s[6:7], v20, v91 src0_sel:WORD_0 src1_sel:DWORD
	s_nop 1
	v_cndmask_b32_e64 v17, v17, v20, s[6:7]
; %bb.71:                               ;   in Loop: Header=BB225_19 Depth=1
	s_or_b64 exec, exec, s[34:35]
	v_mov_b32_e32 v95, v91
	v_lshl_add_u64 v[20:21], v[94:95], 1, s[18:19]
	global_store_short_d16_hi v[20:21], v17, off
	s_or_b64 exec, exec, s[8:9]
	v_cmp_ne_u32_e64 s[6:7], 0, v86
	s_and_saveexec_b64 s[34:35], s[6:7]
	s_cbranch_execz .LBB225_56
.LBB225_72:                             ;   in Loop: Header=BB225_19 Depth=1
	v_cvt_f32_i32_e32 v14, v14
	v_add_f32_e32 v14, v16, v14
	s_waitcnt vmcnt(6)
	v_lshlrev_b32_e32 v16, 16, v23
	v_add_f32_e32 v16, v14, v16
	v_and_b32_e32 v14, 0x7f800000, v16
	v_cmp_ne_u32_e64 s[8:9], s44, v14
                                        ; implicit-def: $vgpr14
	s_and_saveexec_b64 s[36:37], s[8:9]
	s_xor_b64 s[8:9], exec, s[36:37]
; %bb.73:                               ;   in Loop: Header=BB225_19 Depth=1
	v_bfe_u32 v14, v16, 16, 1
	v_add3_u32 v14, v16, v14, s14
                                        ; implicit-def: $vgpr16
; %bb.74:                               ;   in Loop: Header=BB225_19 Depth=1
	s_andn2_saveexec_b64 s[36:37], s[8:9]
; %bb.75:                               ;   in Loop: Header=BB225_19 Depth=1
	v_or_b32_e32 v14, 0x10000, v16
	v_cmp_eq_u32_sdwa s[8:9], v16, v91 src0_sel:WORD_0 src1_sel:DWORD
	s_nop 1
	v_cndmask_b32_e64 v14, v14, v16, s[8:9]
; %bb.76:                               ;   in Loop: Header=BB225_19 Depth=1
	s_or_b64 exec, exec, s[36:37]
	v_mov_b32_e32 v93, v91
	v_lshl_add_u64 v[16:17], v[92:93], 1, s[18:19]
	global_store_short_d16_hi v[16:17], v14, off
	s_or_b64 exec, exec, s[34:35]
	v_add_u32_e32 v90, s15, v88
	s_and_saveexec_b64 s[34:35], vcc
	s_cbranch_execz .LBB225_57
.LBB225_77:                             ;   in Loop: Header=BB225_19 Depth=1
	v_cvt_f32_i32_e32 v11, v11
	v_add_f32_e32 v11, v13, v11
	s_waitcnt vmcnt(5)
	v_lshlrev_b32_e32 v13, 16, v22
	v_add_f32_e32 v13, v11, v13
	v_and_b32_e32 v11, 0x7f800000, v13
	v_cmp_ne_u32_e64 s[8:9], s44, v11
                                        ; implicit-def: $vgpr11
	s_and_saveexec_b64 s[36:37], s[8:9]
	s_xor_b64 s[8:9], exec, s[36:37]
; %bb.78:                               ;   in Loop: Header=BB225_19 Depth=1
	v_bfe_u32 v11, v13, 16, 1
	v_add3_u32 v11, v13, v11, s14
                                        ; implicit-def: $vgpr13
; %bb.79:                               ;   in Loop: Header=BB225_19 Depth=1
	s_andn2_saveexec_b64 s[36:37], s[8:9]
; %bb.80:                               ;   in Loop: Header=BB225_19 Depth=1
	v_or_b32_e32 v11, 0x10000, v13
	v_cmp_eq_u32_sdwa s[8:9], v13, v91 src0_sel:WORD_0 src1_sel:DWORD
	s_nop 1
	v_cndmask_b32_e64 v11, v11, v13, s[8:9]
; %bb.81:                               ;   in Loop: Header=BB225_19 Depth=1
	s_or_b64 exec, exec, s[36:37]
	v_lshl_add_u64 v[16:17], v[90:91], 1, s[18:19]
	global_store_short_d16_hi v[16:17], v11, off
	s_or_b64 exec, exec, s[34:35]
	s_and_saveexec_b64 s[34:35], s[4:5]
	s_cbranch_execz .LBB225_58
.LBB225_82:                             ;   in Loop: Header=BB225_19 Depth=1
	v_cvt_f32_i32_e32 v8, v8
	s_waitcnt vmcnt(4)
	v_lshlrev_b32_e32 v11, 16, v19
	v_add_f32_e32 v8, v12, v8
	v_add_f32_e32 v11, v8, v11
	v_and_b32_e32 v8, 0x7f800000, v11
	v_cmp_ne_u32_e64 s[8:9], s44, v8
                                        ; implicit-def: $vgpr8
	s_and_saveexec_b64 s[36:37], s[8:9]
	s_xor_b64 s[8:9], exec, s[36:37]
; %bb.83:                               ;   in Loop: Header=BB225_19 Depth=1
	v_bfe_u32 v8, v11, 16, 1
	v_add3_u32 v8, v11, v8, s14
                                        ; implicit-def: $vgpr11
; %bb.84:                               ;   in Loop: Header=BB225_19 Depth=1
	s_andn2_saveexec_b64 s[36:37], s[8:9]
; %bb.85:                               ;   in Loop: Header=BB225_19 Depth=1
	v_or_b32_e32 v8, 0x10000, v11
	v_cmp_eq_u32_sdwa s[8:9], v11, v91 src0_sel:WORD_0 src1_sel:DWORD
	s_nop 1
	v_cndmask_b32_e64 v8, v8, v11, s[8:9]
; %bb.86:                               ;   in Loop: Header=BB225_19 Depth=1
	s_or_b64 exec, exec, s[36:37]
	v_add_u32_e32 v12, 1, v90
	v_mov_b32_e32 v13, v91
	v_lshl_add_u64 v[12:13], v[12:13], 1, s[18:19]
	global_store_short_d16_hi v[12:13], v8, off
	s_or_b64 exec, exec, s[34:35]
	s_and_saveexec_b64 s[34:35], s[6:7]
	s_cbranch_execz .LBB225_59
.LBB225_87:                             ;   in Loop: Header=BB225_19 Depth=1
	v_cvt_f32_i32_e32 v8, v10
	v_add_f32_e32 v7, v7, v8
	s_waitcnt vmcnt(3)
	v_lshlrev_b32_e32 v8, 16, v18
	v_add_f32_e32 v8, v7, v8
	v_and_b32_e32 v7, 0x7f800000, v8
	v_cmp_ne_u32_e64 s[8:9], s44, v7
                                        ; implicit-def: $vgpr7
	s_and_saveexec_b64 s[36:37], s[8:9]
	s_xor_b64 s[8:9], exec, s[36:37]
; %bb.88:                               ;   in Loop: Header=BB225_19 Depth=1
	v_bfe_u32 v7, v8, 16, 1
	v_add3_u32 v7, v8, v7, s14
                                        ; implicit-def: $vgpr8
; %bb.89:                               ;   in Loop: Header=BB225_19 Depth=1
	s_andn2_saveexec_b64 s[36:37], s[8:9]
; %bb.90:                               ;   in Loop: Header=BB225_19 Depth=1
	v_or_b32_e32 v7, 0x10000, v8
	v_cmp_eq_u32_sdwa s[8:9], v8, v91 src0_sel:WORD_0 src1_sel:DWORD
	s_nop 1
	v_cndmask_b32_e64 v7, v7, v8, s[8:9]
; %bb.91:                               ;   in Loop: Header=BB225_19 Depth=1
	s_or_b64 exec, exec, s[36:37]
	v_add_u32_e32 v10, 2, v90
	v_mov_b32_e32 v11, v91
	v_lshl_add_u64 v[10:11], v[10:11], 1, s[18:19]
	global_store_short_d16_hi v[10:11], v7, off
	s_or_b64 exec, exec, s[34:35]
	v_add_u32_e32 v90, s15, v90
	s_and_saveexec_b64 s[8:9], vcc
	s_cbranch_execz .LBB225_60
.LBB225_92:                             ;   in Loop: Header=BB225_19 Depth=1
	v_cvt_f32_i32_e32 v5, v5
	v_add_f32_e32 v4, v4, v5
	s_waitcnt vmcnt(2)
	v_lshlrev_b32_e32 v5, 16, v15
	v_add_f32_e32 v5, v4, v5
	v_and_b32_e32 v4, 0x7f800000, v5
	v_cmp_ne_u32_e32 vcc, s44, v4
                                        ; implicit-def: $vgpr4
	s_and_saveexec_b64 s[34:35], vcc
	s_xor_b64 s[34:35], exec, s[34:35]
; %bb.93:                               ;   in Loop: Header=BB225_19 Depth=1
	v_bfe_u32 v4, v5, 16, 1
	v_add3_u32 v4, v5, v4, s14
                                        ; implicit-def: $vgpr5
; %bb.94:                               ;   in Loop: Header=BB225_19 Depth=1
	s_andn2_saveexec_b64 s[34:35], s[34:35]
; %bb.95:                               ;   in Loop: Header=BB225_19 Depth=1
	v_or_b32_e32 v4, 0x10000, v5
	v_cmp_eq_u32_sdwa vcc, v5, v91 src0_sel:WORD_0 src1_sel:DWORD
	s_nop 1
	v_cndmask_b32_e32 v4, v4, v5, vcc
; %bb.96:                               ;   in Loop: Header=BB225_19 Depth=1
	s_or_b64 exec, exec, s[34:35]
	v_lshl_add_u64 v[10:11], v[90:91], 1, s[18:19]
	global_store_short_d16_hi v[10:11], v4, off
	s_or_b64 exec, exec, s[8:9]
	s_and_saveexec_b64 s[8:9], s[4:5]
	s_cbranch_execz .LBB225_61
.LBB225_97:                             ;   in Loop: Header=BB225_19 Depth=1
	v_cvt_f32_i32_e32 v3, v3
	v_add_f32_e32 v2, v2, v3
	s_waitcnt vmcnt(1)
	v_lshlrev_b32_e32 v3, 16, v9
	v_add_f32_e32 v3, v2, v3
	v_and_b32_e32 v2, 0x7f800000, v3
	v_cmp_ne_u32_e32 vcc, s44, v2
                                        ; implicit-def: $vgpr2
	s_and_saveexec_b64 s[4:5], vcc
	s_xor_b64 s[4:5], exec, s[4:5]
; %bb.98:                               ;   in Loop: Header=BB225_19 Depth=1
	v_bfe_u32 v2, v3, 16, 1
	v_add3_u32 v2, v3, v2, s14
                                        ; implicit-def: $vgpr3
; %bb.99:                               ;   in Loop: Header=BB225_19 Depth=1
	s_andn2_saveexec_b64 s[4:5], s[4:5]
; %bb.100:                              ;   in Loop: Header=BB225_19 Depth=1
	v_or_b32_e32 v2, 0x10000, v3
	v_cmp_eq_u32_sdwa vcc, v3, v91 src0_sel:WORD_0 src1_sel:DWORD
	s_nop 1
	v_cndmask_b32_e32 v2, v2, v3, vcc
; %bb.101:                              ;   in Loop: Header=BB225_19 Depth=1
	s_or_b64 exec, exec, s[4:5]
	v_add_u32_e32 v4, 1, v90
	v_mov_b32_e32 v5, v91
	v_lshl_add_u64 v[4:5], v[4:5], 1, s[18:19]
	global_store_short_d16_hi v[4:5], v2, off
	s_or_b64 exec, exec, s[8:9]
	s_and_b64 exec, exec, s[6:7]
	s_cbranch_execz .LBB225_107
.LBB225_102:                            ;   in Loop: Header=BB225_19 Depth=1
	v_cvt_f32_i32_e32 v1, v1
	v_add_f32_e32 v0, v0, v1
	s_waitcnt vmcnt(0)
	v_lshlrev_b32_e32 v1, 16, v6
	v_add_f32_e32 v1, v0, v1
	v_and_b32_e32 v0, 0x7f800000, v1
	v_cmp_ne_u32_e32 vcc, s44, v0
                                        ; implicit-def: $vgpr0
	s_and_saveexec_b64 s[4:5], vcc
	s_xor_b64 s[4:5], exec, s[4:5]
; %bb.103:                              ;   in Loop: Header=BB225_19 Depth=1
	v_bfe_u32 v0, v1, 16, 1
	v_add3_u32 v0, v1, v0, s14
                                        ; implicit-def: $vgpr1
; %bb.104:                              ;   in Loop: Header=BB225_19 Depth=1
	s_andn2_saveexec_b64 s[4:5], s[4:5]
; %bb.105:                              ;   in Loop: Header=BB225_19 Depth=1
	v_or_b32_e32 v0, 0x10000, v1
	v_cmp_eq_u32_sdwa vcc, v1, v91 src0_sel:WORD_0 src1_sel:DWORD
	s_nop 1
	v_cndmask_b32_e32 v0, v0, v1, vcc
; %bb.106:                              ;   in Loop: Header=BB225_19 Depth=1
	s_or_b64 exec, exec, s[4:5]
	v_add_u32_e32 v90, 2, v90
	v_lshl_add_u64 v[2:3], v[90:91], 1, s[18:19]
	global_store_short_d16_hi v[2:3], v0, off
.LBB225_107:                            ;   in Loop: Header=BB225_19 Depth=1
	s_or_b64 exec, exec, s[30:31]
	v_add_u32_e32 v88, s39, v88
	v_add_u32_e32 v0, 3, v88
	v_cmp_gt_u32_e32 vcc, s15, v88
	v_cmp_le_u32_e64 s[4:5], s15, v0
	s_and_b64 s[4:5], vcc, s[4:5]
	s_and_saveexec_b64 s[6:7], s[4:5]
	s_cbranch_execz .LBB225_18
; %bb.108:                              ;   in Loop: Header=BB225_19 Depth=1
	v_cmp_ne_u32_e32 vcc, s21, v88
	s_and_saveexec_b64 s[8:9], vcc
	s_cbranch_execz .LBB225_17
; %bb.109:                              ;   in Loop: Header=BB225_19 Depth=1
	v_subrev_u32_e32 v0, s21, v88
	v_cmp_lt_u32_e32 vcc, 1, v0
	s_mov_b64 s[30:31], 0
	s_mov_b64 s[34:35], 0
	v_cndmask_b32_e32 v0, 1, v0, vcc
.LBB225_110:                            ;   Parent Loop BB225_19 Depth=1
                                        ; =>  This Inner Loop Header: Depth=2
	s_cmp_lg_u32 s34, 2
	s_cselect_b64 vcc, -1, 0
	s_cmp_lg_u32 s34, 1
	v_cndmask_b32_e32 v86, 0, v86, vcc
	s_cselect_b64 vcc, -1, 0
	s_cmp_lg_u32 s34, 0
	v_cndmask_b32_e32 v85, 0, v85, vcc
	s_cselect_b64 vcc, -1, 0
	s_add_u32 s34, s34, 1
	s_addc_u32 s35, s35, 0
	v_cmp_eq_u32_e64 s[4:5], s34, v0
	s_or_b64 s[30:31], s[4:5], s[30:31]
	v_cndmask_b32_e32 v84, 0, v84, vcc
	s_andn2_b64 exec, exec, s[30:31]
	s_cbranch_execnz .LBB225_110
; %bb.111:                              ;   in Loop: Header=BB225_19 Depth=1
	s_or_b64 exec, exec, s[30:31]
	s_branch .LBB225_17
.LBB225_112:
	s_endpgm
	.section	.rodata,"a",@progbits
	.p2align	6, 0x0
	.amdhsa_kernel _Z12wvSplitK_hf_I14__hip_bfloat16Li32ELi3ELi16ELi8ELi2ELi3EEviiiiiiPKT_S3_S3_PS1_ii
		.amdhsa_group_segment_fixed_size 65536
		.amdhsa_private_segment_fixed_size 0
		.amdhsa_kernarg_size 64
		.amdhsa_user_sgpr_count 2
		.amdhsa_user_sgpr_dispatch_ptr 0
		.amdhsa_user_sgpr_queue_ptr 0
		.amdhsa_user_sgpr_kernarg_segment_ptr 1
		.amdhsa_user_sgpr_dispatch_id 0
		.amdhsa_user_sgpr_kernarg_preload_length 0
		.amdhsa_user_sgpr_kernarg_preload_offset 0
		.amdhsa_user_sgpr_private_segment_size 0
		.amdhsa_uses_dynamic_stack 0
		.amdhsa_enable_private_segment 0
		.amdhsa_system_sgpr_workgroup_id_x 1
		.amdhsa_system_sgpr_workgroup_id_y 0
		.amdhsa_system_sgpr_workgroup_id_z 0
		.amdhsa_system_sgpr_workgroup_info 0
		.amdhsa_system_vgpr_workitem_id 1
		.amdhsa_next_free_vgpr 110
		.amdhsa_next_free_sgpr 45
		.amdhsa_accum_offset 112
		.amdhsa_reserve_vcc 1
		.amdhsa_float_round_mode_32 0
		.amdhsa_float_round_mode_16_64 0
		.amdhsa_float_denorm_mode_32 3
		.amdhsa_float_denorm_mode_16_64 3
		.amdhsa_dx10_clamp 1
		.amdhsa_ieee_mode 1
		.amdhsa_fp16_overflow 0
		.amdhsa_tg_split 0
		.amdhsa_exception_fp_ieee_invalid_op 0
		.amdhsa_exception_fp_denorm_src 0
		.amdhsa_exception_fp_ieee_div_zero 0
		.amdhsa_exception_fp_ieee_overflow 0
		.amdhsa_exception_fp_ieee_underflow 0
		.amdhsa_exception_fp_ieee_inexact 0
		.amdhsa_exception_int_div_zero 0
	.end_amdhsa_kernel
	.section	.text._Z12wvSplitK_hf_I14__hip_bfloat16Li32ELi3ELi16ELi8ELi2ELi3EEviiiiiiPKT_S3_S3_PS1_ii,"axG",@progbits,_Z12wvSplitK_hf_I14__hip_bfloat16Li32ELi3ELi16ELi8ELi2ELi3EEviiiiiiPKT_S3_S3_PS1_ii,comdat
.Lfunc_end225:
	.size	_Z12wvSplitK_hf_I14__hip_bfloat16Li32ELi3ELi16ELi8ELi2ELi3EEviiiiiiPKT_S3_S3_PS1_ii, .Lfunc_end225-_Z12wvSplitK_hf_I14__hip_bfloat16Li32ELi3ELi16ELi8ELi2ELi3EEviiiiiiPKT_S3_S3_PS1_ii
                                        ; -- End function
	.section	.AMDGPU.csdata,"",@progbits
; Kernel info:
; codeLenInByte = 5336
; NumSgprs: 51
; NumVgprs: 110
; NumAgprs: 0
; TotalNumVgprs: 110
; ScratchSize: 0
; MemoryBound: 1
; FloatMode: 240
; IeeeMode: 1
; LDSByteSize: 65536 bytes/workgroup (compile time only)
; SGPRBlocks: 6
; VGPRBlocks: 13
; NumSGPRsForWavesPerEU: 51
; NumVGPRsForWavesPerEU: 110
; AccumOffset: 112
; Occupancy: 2
; WaveLimiterHint : 0
; COMPUTE_PGM_RSRC2:SCRATCH_EN: 0
; COMPUTE_PGM_RSRC2:USER_SGPR: 2
; COMPUTE_PGM_RSRC2:TRAP_HANDLER: 0
; COMPUTE_PGM_RSRC2:TGID_X_EN: 1
; COMPUTE_PGM_RSRC2:TGID_Y_EN: 0
; COMPUTE_PGM_RSRC2:TGID_Z_EN: 0
; COMPUTE_PGM_RSRC2:TIDIG_COMP_CNT: 1
; COMPUTE_PGM_RSRC3_GFX90A:ACCUM_OFFSET: 27
; COMPUTE_PGM_RSRC3_GFX90A:TG_SPLIT: 0
	.section	.text._Z16wvSplitK_hf_big_I14__hip_bfloat16Li32ELi3ELi16ELi8ELi2ELi3EEviiiiiiPKT_S3_S3_PS1_ii,"axG",@progbits,_Z16wvSplitK_hf_big_I14__hip_bfloat16Li32ELi3ELi16ELi8ELi2ELi3EEviiiiiiPKT_S3_S3_PS1_ii,comdat
	.protected	_Z16wvSplitK_hf_big_I14__hip_bfloat16Li32ELi3ELi16ELi8ELi2ELi3EEviiiiiiPKT_S3_S3_PS1_ii ; -- Begin function _Z16wvSplitK_hf_big_I14__hip_bfloat16Li32ELi3ELi16ELi8ELi2ELi3EEviiiiiiPKT_S3_S3_PS1_ii
	.globl	_Z16wvSplitK_hf_big_I14__hip_bfloat16Li32ELi3ELi16ELi8ELi2ELi3EEviiiiiiPKT_S3_S3_PS1_ii
	.p2align	8
	.type	_Z16wvSplitK_hf_big_I14__hip_bfloat16Li32ELi3ELi16ELi8ELi2ELi3EEviiiiiiPKT_S3_S3_PS1_ii,@function
_Z16wvSplitK_hf_big_I14__hip_bfloat16Li32ELi3ELi16ELi8ELi2ELi3EEviiiiiiPKT_S3_S3_PS1_ii: ; @_Z16wvSplitK_hf_big_I14__hip_bfloat16Li32ELi3ELi16ELi8ELi2ELi3EEviiiiiiPKT_S3_S3_PS1_ii
; %bb.0:
	s_load_dwordx2 s[8:9], s[0:1], 0x38
	v_bfe_u32 v1, v0, 10, 10
	s_waitcnt lgkmcnt(0)
	v_cmp_gt_u32_e32 vcc, s8, v1
	s_and_saveexec_b64 s[4:5], vcc
	s_cbranch_execz .LBB226_94
; %bb.1:
	s_load_dwordx4 s[20:23], s[0:1], 0x0
	s_mul_i32 s2, s2, s8
	v_add_u32_e32 v2, s2, v1
	v_lshl_add_u32 v88, v2, 1, v2
	s_mov_b32 s4, 1
	v_add_u32_e32 v2, 3, v88
	s_mov_b32 s6, s4
	s_waitcnt lgkmcnt(0)
	v_cmp_gt_u32_e32 vcc, s23, v88
	v_cmp_le_u32_e64 s[2:3], s23, v2
	s_mov_b32 s5, s4
	v_mov_b32_e32 v86, s6
	s_and_b64 s[10:11], vcc, s[2:3]
	v_mov_b32_e32 v85, s5
	v_mov_b32_e32 v84, s4
	s_and_saveexec_b64 s[2:3], s[10:11]
	s_cbranch_execz .LBB226_7
; %bb.2:
	s_add_i32 s7, s23, -3
	v_mov_b32_e32 v86, s6
	v_cmp_ne_u32_e32 vcc, s7, v88
	v_mov_b32_e32 v85, s5
	v_mov_b32_e32 v84, s4
	s_and_saveexec_b64 s[10:11], vcc
	s_cbranch_execz .LBB226_6
; %bb.3:
	v_subrev_u32_e32 v2, s7, v88
	v_cmp_lt_u32_e32 vcc, 1, v2
	s_mov_b64 s[12:13], 0
	s_mov_b64 s[14:15], 0
	v_cndmask_b32_e32 v2, 1, v2, vcc
	s_mov_b32 s5, s4
	s_mov_b32 s6, s4
.LBB226_4:                              ; =>This Inner Loop Header: Depth=1
	s_cmp_lg_u32 s14, 2
	s_cselect_b32 s6, s6, 0
	s_cmp_lg_u32 s14, 1
	s_cselect_b32 s5, s5, 0
	;; [unrolled: 2-line block ×3, first 2 shown]
	s_add_u32 s14, s14, 1
	s_addc_u32 s15, s15, 0
	v_cmp_eq_u32_e32 vcc, s14, v2
	v_mov_b32_e32 v86, s6
	s_or_b64 s[12:13], vcc, s[12:13]
	v_mov_b32_e32 v85, s5
	v_mov_b32_e32 v84, s4
	s_andn2_b64 exec, exec, s[12:13]
	s_cbranch_execnz .LBB226_4
; %bb.5:
	s_or_b64 exec, exec, s[12:13]
	v_mov_b32_e32 v88, s7
.LBB226_6:
	s_or_b64 exec, exec, s[10:11]
.LBB226_7:
	s_or_b64 exec, exec, s[2:3]
	s_mul_i32 s46, s8, 3
	s_abs_i32 s2, s46
	v_cvt_f32_u32_e32 v2, s2
	s_sub_i32 s5, 0, s2
	s_abs_i32 s4, s23
	s_ashr_i32 s3, s23, 31
	v_rcp_iflag_f32_e32 v2, v2
	s_nop 0
	v_mul_f32_e32 v2, 0x4f7ffffe, v2
	v_cvt_u32_f32_e32 v2, v2
	s_nop 0
	v_readfirstlane_b32 s6, v2
	s_mul_i32 s5, s5, s6
	s_mul_hi_u32 s5, s6, s5
	s_add_i32 s6, s6, s5
	s_mul_hi_u32 s5, s4, s6
	s_mul_i32 s5, s5, s2
	s_sub_i32 s4, s4, s5
	s_sub_i32 s5, s4, s2
	s_cmp_ge_u32 s4, s2
	s_cselect_b32 s4, s5, s4
	s_sub_i32 s5, s4, s2
	s_cmp_ge_u32 s4, s2
	s_cselect_b32 s2, s5, s4
	s_xor_b32 s2, s2, s3
	s_sub_i32 s2, s2, s3
	s_add_i32 s3, s46, s23
	s_sub_i32 s3, s3, s2
	s_cmp_eq_u32 s2, 0
	s_cselect_b32 s33, s23, s3
	v_cmp_gt_u32_e32 vcc, s33, v88
	s_and_b64 exec, exec, vcc
	s_cbranch_execz .LBB226_94
; %bb.8:
	s_load_dwordx8 s[12:19], s[0:1], 0x10
	s_min_u32 s42, s22, 0x2a00
	s_cmp_lg_u32 s20, 0
	s_cselect_b64 s[2:3], -1, 0
	s_cmp_lg_u32 s22, 0
	s_cselect_b64 s[4:5], -1, 0
	s_lshl_b32 s43, s8, 8
	s_add_i32 s44, s20, -8
	s_add_i32 s45, s23, -1
	s_waitcnt lgkmcnt(0)
	s_cmp_lg_u64 s[18:19], 0
	s_cselect_b64 s[28:29], -1, 0
	s_abs_i32 s6, s13
	v_cvt_f32_u32_e32 v2, s12
	v_cvt_f32_u32_e32 v3, s6
	s_sub_i32 s7, 0, s12
	s_mul_i32 s46, s46, s9
	v_rcp_iflag_f32_e32 v2, v2
	v_rcp_iflag_f32_e32 v3, v3
	s_add_i32 s13, s23, -3
	s_load_dwordx2 s[24:25], s[0:1], 0x30
	v_mul_f32_e32 v2, 0x4f7ffffe, v2
	v_mul_f32_e32 v3, 0x4f7ffffe, v3
	v_cvt_u32_f32_e32 v2, v2
	v_cvt_u32_f32_e32 v3, v3
	v_and_b32_e32 v0, 0x3ff, v0
	v_lshlrev_b32_e32 v87, 3, v0
	v_mul_lo_u32 v4, s7, v2
	s_sub_i32 s7, 0, s6
	v_readfirstlane_b32 s9, v3
	s_mul_i32 s7, s7, s9
	s_mul_hi_u32 s7, s9, s7
	s_add_i32 s9, s9, s7
	s_sub_i32 s7, 1, s6
	s_cmp_lt_u32 s6, 2
	s_cselect_b32 s7, s7, 1
	s_sub_i32 s10, s7, s6
	s_cmp_ge_u32 s7, s6
	s_cselect_b32 s47, s10, s7
	s_lshr_b32 s7, s9, 31
	s_mul_i32 s7, s7, s6
	s_sub_i32 s7, 2, s7
	s_sub_i32 s9, s7, s6
	s_cmp_ge_u32 s7, s6
	s_cselect_b32 s7, s9, s7
	v_cmp_eq_u32_e64 s[0:1], 31, v0
	s_sub_i32 s9, s7, s6
	v_lshlrev_b32_e32 v0, 4, v0
	s_cmp_ge_u32 s7, s6
	v_lshl_add_u32 v99, v1, 9, v0
	v_cndmask_b32_e64 v0, 0, 1, s[2:3]
	v_mul_hi_u32 v4, v2, v4
	s_cselect_b32 s48, s9, s7
	s_waitcnt lgkmcnt(0)
	s_add_u32 s30, s24, 2
	v_lshl_add_u32 v100, v1, 8, v87
	v_cmp_ne_u32_e64 s[2:3], 1, v0
	v_cndmask_b32_e64 v0, 0, 1, s[4:5]
	s_mov_b64 s[26:27], 0
	v_add_u32_e32 v98, v2, v4
	v_mov_b32_e32 v91, 0
	s_mul_i32 s47, s47, s12
	s_mul_i32 s48, s48, s12
	s_addc_u32 s31, s25, 0
	s_lshl_b32 s49, s42, 2
	s_lshl_b32 s50, s8, 9
	s_lshl_b32 s51, s42, 1
	v_lshl_add_u32 v101, s22, 1, v100
	v_add_u32_e32 v102, s22, v100
	v_cmp_ne_u32_e64 s[4:5], 1, v0
	s_mov_b32 s52, 0x7f800000
	s_movk_i32 s53, 0x7fff
	s_branch .LBB226_12
.LBB226_9:                              ;   in Loop: Header=BB226_12 Depth=1
	s_or_b64 exec, exec, s[10:11]
	v_mov_b32_e32 v88, s13
.LBB226_10:                             ;   in Loop: Header=BB226_12 Depth=1
	s_or_b64 exec, exec, s[8:9]
.LBB226_11:                             ;   in Loop: Header=BB226_12 Depth=1
	s_or_b64 exec, exec, s[34:35]
	v_cmp_le_u32_e32 vcc, s33, v88
	s_or_b64 s[26:27], vcc, s[26:27]
	s_andn2_b64 exec, exec, s[26:27]
	s_cbranch_execz .LBB226_94
.LBB226_12:                             ; =>This Loop Header: Depth=1
                                        ;     Child Loop BB226_17 Depth 2
                                        ;       Child Loop BB226_22 Depth 3
                                        ;     Child Loop BB226_92 Depth 2
	s_and_b64 vcc, exec, s[2:3]
	v_mov_b32_e32 v3, v91
	v_mov_b32_e32 v2, v91
	;; [unrolled: 1-line block ×5, first 2 shown]
	s_waitcnt vmcnt(0)
	v_mov_b32_e32 v6, v91
	v_mov_b32_e32 v5, v91
	;; [unrolled: 1-line block ×31, first 2 shown]
	s_cbranch_vccnz .LBB226_29
; %bb.13:                               ;   in Loop: Header=BB226_12 Depth=1
	v_min_u32_e32 v0, s45, v88
	v_mul_lo_u32 v90, v0, s21
	v_add_u32_e32 v0, 1, v88
	v_add_u32_e32 v2, 2, v88
	v_min_u32_e32 v0, s45, v0
	v_min_u32_e32 v2, s45, v2
	v_mul_lo_u32 v0, v0, s21
	v_mov_b32_e32 v1, v91
	v_mul_lo_u32 v2, v2, s21
	v_mov_b32_e32 v3, v91
	v_mov_b32_e32 v24, 0
	v_cmp_gt_u32_e64 s[6:7], s23, v88
	s_mov_b32 s36, 0
	v_lshlrev_b64 v[92:93], 1, v[90:91]
	v_lshlrev_b64 v[94:95], 1, v[0:1]
	;; [unrolled: 1-line block ×3, first 2 shown]
	s_mov_b32 s37, 0
	v_mov_b32_e32 v25, v24
	v_mov_b32_e32 v26, v24
	v_mov_b32_e32 v27, v24
	v_mov_b32_e32 v28, v24
	v_mov_b32_e32 v29, v24
	v_mov_b32_e32 v30, v24
	v_mov_b32_e32 v31, v24
	v_mov_b32_e32 v32, v24
	v_mov_b32_e32 v33, v24
	v_mov_b32_e32 v34, v24
	v_mov_b32_e32 v35, v24
	v_mov_b32_e32 v20, v24
	v_mov_b32_e32 v21, v24
	v_mov_b32_e32 v22, v24
	v_mov_b32_e32 v23, v24
	v_mov_b32_e32 v16, v24
	v_mov_b32_e32 v17, v24
	v_mov_b32_e32 v18, v24
	v_mov_b32_e32 v19, v24
	v_mov_b32_e32 v12, v24
	v_mov_b32_e32 v13, v24
	v_mov_b32_e32 v14, v24
	v_mov_b32_e32 v15, v24
	v_mov_b32_e32 v8, v24
	v_mov_b32_e32 v9, v24
	v_mov_b32_e32 v10, v24
	v_mov_b32_e32 v11, v24
	v_mov_b32_e32 v4, v24
	v_mov_b32_e32 v5, v24
	v_mov_b32_e32 v6, v24
	v_mov_b32_e32 v7, v24
	v_mov_b32_e32 v0, v24
	v_mov_b32_e32 v1, v24
	v_mov_b32_e32 v2, v24
	v_mov_b32_e32 v3, v24
	s_branch .LBB226_17
.LBB226_14:                             ;   in Loop: Header=BB226_17 Depth=2
	s_or_b64 exec, exec, s[34:35]
.LBB226_15:                             ;   in Loop: Header=BB226_17 Depth=2
	s_or_b64 exec, exec, s[10:11]
	s_waitcnt vmcnt(5) lgkmcnt(2)
	v_mfma_f32_4x4x4_16b_bf16 v[32:35], v[80:81], v[52:53], v[32:35]
	s_waitcnt vmcnt(4)
	v_mfma_f32_4x4x4_16b_bf16 v[28:31], v[80:81], v[48:49], v[28:31]
	s_waitcnt vmcnt(3)
	v_mfma_f32_4x4x4_16b_bf16 v[24:27], v[80:81], v[56:57], v[24:27]
	s_waitcnt lgkmcnt(1)
	v_mfma_f32_4x4x4_16b_bf16 v[20:23], v[76:77], v[52:53], v[20:23]
	v_mfma_f32_4x4x4_16b_bf16 v[16:19], v[76:77], v[48:49], v[16:19]
	;; [unrolled: 1-line block ×3, first 2 shown]
	s_waitcnt lgkmcnt(0)
	v_mfma_f32_4x4x4_16b_bf16 v[8:11], v[72:73], v[52:53], v[8:11]
	v_mfma_f32_4x4x4_16b_bf16 v[4:7], v[72:73], v[48:49], v[4:7]
	v_mfma_f32_4x4x4_16b_bf16 v[0:3], v[72:73], v[56:57], v[0:3]
	v_mfma_f32_4x4x4_16b_bf16 v[32:35], v[82:83], v[54:55], v[32:35]
	v_mfma_f32_4x4x4_16b_bf16 v[28:31], v[82:83], v[50:51], v[28:31]
	v_mfma_f32_4x4x4_16b_bf16 v[24:27], v[82:83], v[58:59], v[24:27]
	v_mfma_f32_4x4x4_16b_bf16 v[20:23], v[78:79], v[54:55], v[20:23]
	v_mfma_f32_4x4x4_16b_bf16 v[16:19], v[78:79], v[50:51], v[16:19]
	v_mfma_f32_4x4x4_16b_bf16 v[12:15], v[78:79], v[58:59], v[12:15]
	v_mfma_f32_4x4x4_16b_bf16 v[8:11], v[74:75], v[54:55], v[8:11]
	v_mfma_f32_4x4x4_16b_bf16 v[4:7], v[74:75], v[50:51], v[4:7]
	v_mfma_f32_4x4x4_16b_bf16 v[0:3], v[74:75], v[58:59], v[0:3]
	s_waitcnt vmcnt(2)
	v_mfma_f32_4x4x4_16b_bf16 v[32:35], v[68:69], v[36:37], v[32:35]
	s_waitcnt vmcnt(1)
	v_mfma_f32_4x4x4_16b_bf16 v[28:31], v[68:69], v[44:45], v[28:31]
	;; [unrolled: 2-line block ×3, first 2 shown]
	v_mfma_f32_4x4x4_16b_bf16 v[20:23], v[64:65], v[36:37], v[20:23]
	v_mfma_f32_4x4x4_16b_bf16 v[16:19], v[64:65], v[44:45], v[16:19]
	;; [unrolled: 1-line block ×15, first 2 shown]
.LBB226_16:                             ;   in Loop: Header=BB226_17 Depth=2
	s_or_b64 exec, exec, s[8:9]
	s_addk_i32 s37, 0x200
	s_cmp_ge_u32 s37, s20
	s_cbranch_scc1 .LBB226_29
.LBB226_17:                             ;   Parent Loop BB226_12 Depth=1
                                        ; =>  This Loop Header: Depth=2
                                        ;       Child Loop BB226_22 Depth 3
	s_cmp_eq_u32 s37, 0
	s_cselect_b64 s[8:9], -1, 0
	s_add_i32 s10, s36, s42
	s_cmp_eq_u32 s37, s10
	s_cselect_b64 s[34:35], -1, 0
	s_or_b64 s[34:35], s[8:9], s[34:35]
	s_andn2_b64 vcc, exec, s[34:35]
	s_cbranch_vccz .LBB226_19
; %bb.18:                               ;   in Loop: Header=BB226_17 Depth=2
	s_and_saveexec_b64 s[8:9], s[6:7]
	s_cbranch_execz .LBB226_16
	s_branch .LBB226_26
.LBB226_19:                             ;   in Loop: Header=BB226_17 Depth=2
	s_and_b64 s[8:9], s[8:9], exec
	s_cselect_b32 s36, s36, s10
	s_and_b64 vcc, exec, s[4:5]
	s_barrier
	s_cbranch_vccnz .LBB226_25
; %bb.20:                               ;   in Loop: Header=BB226_17 Depth=2
	v_add_u32_e32 v36, s36, v101
	v_add_u32_e32 v37, s36, v102
	v_add_u32_e32 v38, s36, v100
	s_mov_b32 s38, 0
	s_mov_b64 s[10:11], 0
	v_mov_b32_e32 v39, v99
                                        ; implicit-def: $sgpr34_sgpr35
	s_branch .LBB226_22
.LBB226_21:                             ;   in Loop: Header=BB226_22 Depth=3
	s_or_b64 exec, exec, s[8:9]
	s_and_b64 s[8:9], exec, s[34:35]
	s_or_b64 s[10:11], s[8:9], s[10:11]
	s_andn2_b64 exec, exec, s[10:11]
	s_cbranch_execz .LBB226_24
.LBB226_22:                             ;   Parent Loop BB226_12 Depth=1
                                        ;     Parent Loop BB226_17 Depth=2
                                        ; =>    This Inner Loop Header: Depth=3
	v_add_u32_e32 v40, s38, v100
	v_add_u32_e32 v90, s38, v38
	v_cmp_gt_u32_e32 vcc, s22, v90
	v_cmp_gt_u32_e64 s[8:9], s42, v40
	s_and_b64 s[40:41], s[8:9], vcc
	s_or_b64 s[34:35], s[34:35], exec
	s_and_saveexec_b64 s[8:9], s[40:41]
	s_cbranch_execz .LBB226_21
; %bb.23:                               ;   in Loop: Header=BB226_22 Depth=3
	v_lshl_add_u64 v[40:41], v[90:91], 1, s[16:17]
	v_add_u32_e32 v90, s38, v37
	v_lshl_add_u64 v[44:45], v[90:91], 1, s[16:17]
	v_add_u32_e32 v90, s38, v36
	global_load_dwordx4 v[40:43], v[40:41], off
	s_nop 0
	global_load_dwordx4 v[44:47], v[44:45], off
	v_lshl_add_u64 v[48:49], v[90:91], 1, s[16:17]
	global_load_dwordx4 v[48:51], v[48:49], off
	s_add_i32 s38, s38, s43
	s_cmp_ge_u32 s38, s42
	s_cselect_b64 s[40:41], -1, 0
	s_andn2_b64 s[34:35], s[34:35], exec
	s_and_b64 s[40:41], s[40:41], exec
	v_add_u32_e32 v52, s51, v39
	v_add_u32_e32 v53, s49, v39
	s_or_b64 s[34:35], s[34:35], s[40:41]
	s_waitcnt vmcnt(2)
	ds_write_b128 v39, v[40:43]
	v_add_u32_e32 v39, s50, v39
	s_waitcnt vmcnt(1)
	ds_write2_b64 v52, v[44:45], v[46:47] offset1:1
	s_waitcnt vmcnt(0)
	ds_write2_b32 v53, v48, v49 offset1:1
	ds_write2_b32 v53, v50, v51 offset0:2 offset1:3
	s_branch .LBB226_21
.LBB226_24:                             ;   in Loop: Header=BB226_17 Depth=2
	s_or_b64 exec, exec, s[10:11]
.LBB226_25:                             ;   in Loop: Header=BB226_17 Depth=2
	s_waitcnt lgkmcnt(0)
	s_barrier
	s_and_saveexec_b64 s[8:9], s[6:7]
	s_cbranch_execz .LBB226_16
.LBB226_26:                             ;   in Loop: Header=BB226_17 Depth=2
	v_add_u32_e32 v89, s37, v87
	v_min_u32_e32 v90, s44, v89
	v_add_u32_e32 v103, 0x100, v89
	v_lshl_add_u64 v[36:37], v[90:91], 1, s[14:15]
	v_min_u32_e32 v90, s44, v103
	v_lshl_add_u64 v[38:39], v[36:37], 0, v[92:93]
	v_lshl_add_u64 v[40:41], v[36:37], 0, v[94:95]
	;; [unrolled: 1-line block ×3, first 2 shown]
	global_load_dwordx4 v[52:55], v[38:39], off nt
	global_load_dwordx4 v[48:51], v[40:41], off nt
	v_lshl_add_u64 v[40:41], v[36:37], 0, v[96:97]
	v_lshl_add_u64 v[44:45], v[42:43], 0, v[92:93]
	;; [unrolled: 1-line block ×3, first 2 shown]
	global_load_dwordx4 v[56:59], v[40:41], off nt
	global_load_dwordx4 v[36:39], v[44:45], off nt
	v_lshl_add_u64 v[62:63], v[42:43], 0, v[96:97]
	global_load_dwordx4 v[44:47], v[60:61], off nt
	global_load_dwordx4 v[40:43], v[62:63], off nt
	v_cmp_gt_u32_e32 vcc, s20, v89
	v_mov_b32_e32 v62, 0
	v_mov_b32_e32 v63, 0
	;; [unrolled: 1-line block ×24, first 2 shown]
	s_and_saveexec_b64 s[10:11], vcc
	s_cbranch_execz .LBB226_15
; %bb.27:                               ;   in Loop: Header=BB226_17 Depth=2
	v_subrev_u32_e32 v60, s36, v89
	v_lshlrev_b32_e32 v104, 1, v60
	v_add_u32_e32 v90, s51, v104
	v_add_u32_e32 v89, s51, v90
	ds_read_b128 v[80:83], v104
	ds_read_b128 v[76:79], v90
	;; [unrolled: 1-line block ×3, first 2 shown]
	v_cmp_gt_u32_e32 vcc, s20, v103
	v_mov_b32_e32 v69, 0
	v_mov_b32_e32 v68, 0
	;; [unrolled: 1-line block ×12, first 2 shown]
	s_and_saveexec_b64 s[34:35], vcc
	s_cbranch_execz .LBB226_14
; %bb.28:                               ;   in Loop: Header=BB226_17 Depth=2
	ds_read_b128 v[68:71], v104 offset:512
	ds_read_b128 v[64:67], v90 offset:512
	;; [unrolled: 1-line block ×3, first 2 shown]
	s_branch .LBB226_14
.LBB226_29:                             ;   in Loop: Header=BB226_12 Depth=1
	v_cmp_le_u32_e32 vcc, s23, v88
	s_and_saveexec_b64 s[6:7], vcc
	s_xor_b64 s[6:7], exec, s[6:7]
; %bb.30:                               ;   in Loop: Header=BB226_12 Depth=1
	v_add_u32_e32 v88, s46, v88
                                        ; implicit-def: $vgpr3
                                        ; implicit-def: $vgpr7
                                        ; implicit-def: $vgpr11
                                        ; implicit-def: $vgpr15
                                        ; implicit-def: $vgpr19
                                        ; implicit-def: $vgpr23
                                        ; implicit-def: $vgpr35
                                        ; implicit-def: $vgpr31
                                        ; implicit-def: $vgpr27
; %bb.31:                               ;   in Loop: Header=BB226_12 Depth=1
	s_andn2_saveexec_b64 s[34:35], s[6:7]
	s_cbranch_execz .LBB226_11
; %bb.32:                               ;   in Loop: Header=BB226_12 Depth=1
	v_cvt_i32_f32_e32 v33, v33
	v_cvt_i32_f32_e32 v34, v34
	;; [unrolled: 1-line block ×4, first 2 shown]
	v_cvt_f32_i32_dpp v33, v33 row_shl:1 row_mask:0xf bank_mask:0xf bound_ctrl:1
	v_cvt_f32_i32_dpp v34, v34 row_shl:2 row_mask:0xf bank_mask:0xf bound_ctrl:1
	v_cvt_f32_i32_dpp v35, v35 row_shl:3 row_mask:0xf bank_mask:0xf bound_ctrl:1
	v_cvt_i32_f32_e32 v30, v30
	v_add_f32_e32 v32, v32, v33
	v_add_f32_e32 v32, v32, v34
	;; [unrolled: 1-line block ×3, first 2 shown]
	v_cvt_i32_f32_e32 v31, v31
	v_cvt_i32_f32_e32 v33, v32
	v_cvt_f32_i32_dpp v29, v29 row_shl:1 row_mask:0xf bank_mask:0xf bound_ctrl:1
	v_cvt_f32_i32_dpp v30, v30 row_shl:2 row_mask:0xf bank_mask:0xf bound_ctrl:1
	;; [unrolled: 1-line block ×4, first 2 shown]
	v_add_f32_e32 v28, v28, v29
	v_add_f32_e32 v28, v28, v30
	;; [unrolled: 1-line block ×4, first 2 shown]
	v_cvt_i32_f32_e32 v29, v28
	v_cvt_i32_f32_e32 v31, v30
	;; [unrolled: 1-line block ×4, first 2 shown]
	v_cvt_f32_i32_dpp v29, v29 row_shl:4 row_mask:0xf bank_mask:0xf bound_ctrl:1
	v_cvt_f32_i32_dpp v31, v31 row_shl:8 row_mask:0xf bank_mask:0xf bound_ctrl:1
	v_cvt_i32_f32_e32 v27, v27
	v_cvt_f32_i32_dpp v25, v25 row_shl:1 row_mask:0xf bank_mask:0xf bound_ctrl:1
	v_add_f32_e32 v28, v28, v29
	v_add_f32_e32 v30, v30, v31
	v_cvt_i32_f32_e32 v29, v28
	v_cvt_i32_f32_e32 v30, v30
	v_cvt_f32_i32_dpp v26, v26 row_shl:2 row_mask:0xf bank_mask:0xf bound_ctrl:1
	v_cvt_f32_i32_dpp v27, v27 row_shl:3 row_mask:0xf bank_mask:0xf bound_ctrl:1
	;; [unrolled: 1-line block ×3, first 2 shown]
	v_cvt_f32_i32_dpp v30, v30 row_shr:15 row_mask:0xf bank_mask:0xf bound_ctrl:1
	v_add_f32_e32 v24, v24, v25
	v_cvt_i32_f32_e32 v21, v21
	v_add_f32_e32 v24, v24, v26
	v_cvt_i32_f32_e32 v22, v22
	;; [unrolled: 2-line block ×4, first 2 shown]
	v_cvt_i32_f32_e32 v26, v25
	v_cvt_i32_f32_e32 v28, v28
	v_cvt_f32_i32_dpp v21, v21 row_shl:1 row_mask:0xf bank_mask:0xf bound_ctrl:1
	v_cvt_f32_i32_dpp v22, v22 row_shl:2 row_mask:0xf bank_mask:0xf bound_ctrl:1
	v_cvt_f32_i32_dpp v29, v29 row_bcast:15 row_mask:0xf bank_mask:0xf bound_ctrl:1
	v_cvt_f32_i32_dpp v23, v23 row_shl:3 row_mask:0xf bank_mask:0xf bound_ctrl:1
	v_cvt_f32_i32_dpp v26, v26 row_shl:4 row_mask:0xf bank_mask:0xf bound_ctrl:1
	v_cvt_f32_i32_dpp v28, v28 row_shr:15 row_mask:0xf bank_mask:0xf bound_ctrl:1
	v_add_f32_e32 v20, v20, v21
	v_add_f32_e32 v20, v20, v22
	;; [unrolled: 1-line block ×4, first 2 shown]
	v_cvt_i32_f32_e32 v27, v24
	v_add_f32_e32 v25, v25, v26
	v_cvt_i32_f32_e32 v20, v22
	v_cvt_i32_f32_e32 v29, v28
	;; [unrolled: 1-line block ×3, first 2 shown]
	v_mov_b32_dpp v21, v27 row_bcast:31 row_mask:0xf bank_mask:0xf bound_ctrl:1
	v_cvt_f32_i32_dpp v27, v20 row_shl:4 row_mask:0xf bank_mask:0xf bound_ctrl:1
	v_cvt_f32_i32_dpp v23, v29 row_bcast:15 row_mask:0xf bank_mask:0xf bound_ctrl:1
	v_cvt_f32_i32_dpp v26, v26 row_shl:8 row_mask:0xf bank_mask:0xf bound_ctrl:1
	v_cvt_i32_f32_e32 v17, v17
	v_add_f32_e32 v22, v22, v27
	v_cvt_i32_f32_e32 v18, v18
	v_add_f32_e32 v20, v28, v23
	v_add_f32_e32 v23, v25, v26
	v_cvt_i32_f32_e32 v19, v19
	v_cvt_i32_f32_e32 v25, v22
	v_cvt_f32_i32_dpp v17, v17 row_shl:1 row_mask:0xf bank_mask:0xf bound_ctrl:1
	v_cvt_f32_i32_dpp v18, v18 row_shl:2 row_mask:0xf bank_mask:0xf bound_ctrl:1
	;; [unrolled: 1-line block ×4, first 2 shown]
	v_add_f32_e32 v16, v16, v17
	v_add_f32_e32 v16, v16, v18
	;; [unrolled: 1-line block ×4, first 2 shown]
	v_cvt_i32_f32_e32 v17, v16
	v_cvt_i32_f32_e32 v19, v19
	;; [unrolled: 1-line block ×5, first 2 shown]
	v_cvt_f32_i32_dpp v17, v17 row_shl:4 row_mask:0xf bank_mask:0xf bound_ctrl:1
	v_cvt_i32_f32_e32 v22, v20
	v_cvt_f32_i32_dpp v19, v19 row_shr:15 row_mask:0xf bank_mask:0xf bound_ctrl:1
	v_cvt_f32_i32_dpp v13, v13 row_shl:1 row_mask:0xf bank_mask:0xf bound_ctrl:1
	v_cvt_f32_i32_dpp v14, v14 row_shl:2 row_mask:0xf bank_mask:0xf bound_ctrl:1
	v_cvt_f32_i32_dpp v15, v15 row_shl:3 row_mask:0xf bank_mask:0xf bound_ctrl:1
	v_cvt_i32_f32_e32 v5, v5
	v_add_f32_e32 v25, v16, v17
	v_mov_b32_dpp v17, v22 row_bcast:31 row_mask:0xf bank_mask:0xf bound_ctrl:1
	v_cvt_i32_f32_e32 v22, v19
	v_add_f32_e32 v12, v12, v13
	v_cvt_i32_f32_e32 v9, v9
	v_cvt_i32_f32_e32 v1, v1
	v_add_f32_e32 v12, v12, v14
	v_cvt_i32_f32_e32 v10, v10
	v_cvt_i32_f32_e32 v6, v6
	;; [unrolled: 1-line block ×3, first 2 shown]
	v_add_f32_e32 v15, v12, v15
	v_cvt_i32_f32_e32 v11, v11
	v_cvt_f32_i32_dpp v5, v5 row_shl:1 row_mask:0xf bank_mask:0xf bound_ctrl:1
	v_cvt_i32_f32_e32 v7, v7
	v_cvt_i32_f32_e32 v3, v3
	v_cvt_f32_i32_dpp v22, v22 row_bcast:15 row_mask:0xf bank_mask:0xf bound_ctrl:1
	v_cvt_i32_f32_e32 v12, v15
	v_cvt_f32_i32_dpp v9, v9 row_shl:1 row_mask:0xf bank_mask:0xf bound_ctrl:1
	v_cvt_f32_i32_dpp v1, v1 row_shl:1 row_mask:0xf bank_mask:0xf bound_ctrl:1
	;; [unrolled: 1-line block ×6, first 2 shown]
	v_add_f32_e32 v4, v4, v5
	v_cvt_f32_i32_dpp v5, v7 row_shl:3 row_mask:0xf bank_mask:0xf bound_ctrl:1
	v_cvt_f32_i32_dpp v3, v3 row_shl:3 row_mask:0xf bank_mask:0xf bound_ctrl:1
	v_add_f32_e32 v13, v19, v22
	v_cvt_f32_i32_dpp v19, v12 row_shl:4 row_mask:0xf bank_mask:0xf bound_ctrl:1
	v_add_f32_e32 v8, v8, v9
	v_add_f32_e32 v0, v0, v1
	;; [unrolled: 1-line block ×9, first 2 shown]
	v_cvt_i32_f32_e32 v10, v9
	v_cvt_i32_f32_e32 v5, v4
	;; [unrolled: 1-line block ×5, first 2 shown]
	v_cvt_f32_i32_dpp v10, v10 row_shl:4 row_mask:0xf bank_mask:0xf bound_ctrl:1
	v_cvt_f32_i32_dpp v3, v5 row_shl:4 row_mask:0xf bank_mask:0xf bound_ctrl:1
	;; [unrolled: 1-line block ×3, first 2 shown]
	v_cvt_f32_i32_dpp v18, v23 row_shr:15 row_mask:0xf bank_mask:0xf bound_ctrl:1
	v_cvt_f32_i32_dpp v19, v19 row_shl:8 row_mask:0xf bank_mask:0xf bound_ctrl:1
	v_add_f32_e32 v9, v9, v10
	v_add_f32_e32 v3, v4, v3
	;; [unrolled: 1-line block ×3, first 2 shown]
	v_cvt_i32_f32_e32 v23, v18
	v_cvt_i32_f32_e32 v16, v25
	v_add_f32_e32 v15, v15, v19
	v_cvt_i32_f32_e32 v10, v9
	v_cvt_i32_f32_e32 v4, v3
	;; [unrolled: 1-line block ×4, first 2 shown]
	v_cvt_f32_i32_dpp v23, v23 row_bcast:15 row_mask:0xf bank_mask:0xf bound_ctrl:1
	v_cvt_f32_i32_dpp v26, v16 row_shl:8 row_mask:0xf bank_mask:0xf bound_ctrl:1
	v_cvt_f32_i32_dpp v2, v10 row_shl:8 row_mask:0xf bank_mask:0xf bound_ctrl:1
	;; [unrolled: 1-line block ×4, first 2 shown]
	v_cvt_f32_i32_dpp v5, v15 row_shr:15 row_mask:0xf bank_mask:0xf bound_ctrl:1
	v_add_f32_e32 v16, v18, v23
	v_add_f32_e32 v23, v25, v26
	;; [unrolled: 1-line block ×5, first 2 shown]
	v_cvt_i32_f32_e32 v23, v23
	v_cvt_i32_f32_e32 v2, v2
	;; [unrolled: 1-line block ×5, first 2 shown]
	v_cvt_f32_i32_dpp v23, v23 row_shr:15 row_mask:0xf bank_mask:0xf bound_ctrl:1
	v_cvt_f32_i32_dpp v2, v2 row_shr:15 row_mask:0xf bank_mask:0xf bound_ctrl:1
	v_cvt_f32_i32_dpp v1, v6 row_bcast:15 row_mask:0xf bank_mask:0xf bound_ctrl:1
	v_cvt_f32_i32_dpp v3, v3 row_shr:15 row_mask:0xf bank_mask:0xf bound_ctrl:1
	v_cvt_f32_i32_dpp v0, v0 row_shr:15 row_mask:0xf bank_mask:0xf bound_ctrl:1
	v_cvt_i32_f32_e32 v18, v16
	v_cvt_i32_f32_e32 v25, v23
	;; [unrolled: 1-line block ×3, first 2 shown]
	v_add_f32_e32 v7, v5, v1
	v_cvt_i32_f32_e32 v1, v3
	v_cvt_i32_f32_e32 v5, v0
	v_mov_b32_dpp v14, v18 row_bcast:31 row_mask:0xf bank_mask:0xf bound_ctrl:1
	v_cvt_f32_i32_dpp v18, v25 row_bcast:15 row_mask:0xf bank_mask:0xf bound_ctrl:1
	v_cvt_f32_i32_dpp v4, v4 row_bcast:15 row_mask:0xf bank_mask:0xf bound_ctrl:1
	;; [unrolled: 1-line block ×4, first 2 shown]
	v_add_f32_e32 v12, v23, v18
	v_add_f32_e32 v4, v2, v4
	;; [unrolled: 1-line block ×4, first 2 shown]
	v_cvt_i32_f32_e32 v22, v13
	v_cvt_i32_f32_e32 v18, v12
	v_cvt_i32_f32_e32 v6, v7
	v_cvt_i32_f32_e32 v9, v4
	v_cvt_i32_f32_e32 v1, v2
	v_cvt_i32_f32_e32 v15, v0
	v_mov_b32_dpp v11, v22 row_bcast:31 row_mask:0xf bank_mask:0xf bound_ctrl:1
	v_mov_b32_dpp v8, v18 row_bcast:31 row_mask:0xf bank_mask:0xf bound_ctrl:1
	;; [unrolled: 1-line block ×6, first 2 shown]
	s_and_saveexec_b64 s[36:37], s[0:1]
	s_cbranch_execz .LBB226_89
; %bb.33:                               ;   in Loop: Header=BB226_12 Depth=1
	s_andn2_b64 vcc, exec, s[28:29]
	v_mov_b32_e32 v26, 0
	v_add_u32_e32 v90, 2, v88
	v_mov_b32_e32 v25, 0
	v_mov_b32_e32 v23, 0
	;; [unrolled: 1-line block ×8, first 2 shown]
	s_cbranch_vccnz .LBB226_35
; %bb.34:                               ;   in Loop: Header=BB226_12 Depth=1
	v_mul_hi_u32 v6, v88, v98
	v_mul_lo_u32 v6, v6, s12
	v_sub_u32_e32 v6, v88, v6
	v_subrev_u32_e32 v9, s12, v6
	v_cmp_le_u32_e32 vcc, s12, v6
	v_mov_b32_e32 v19, v91
	v_mov_b32_e32 v27, v91
	v_cndmask_b32_e32 v6, v6, v9, vcc
	v_subrev_u32_e32 v9, s12, v6
	v_cmp_le_u32_e32 vcc, s12, v6
	v_mov_b32_e32 v23, v91
	v_mov_b32_e32 v33, v91
	v_cndmask_b32_e32 v18, v6, v9, vcc
	v_add_u32_e32 v6, 1, v88
	v_mul_hi_u32 v9, v6, v98
	v_mul_lo_u32 v9, v9, s12
	v_sub_u32_e32 v6, v6, v9
	v_subrev_u32_e32 v9, s12, v6
	v_cmp_le_u32_e32 vcc, s12, v6
	v_add_u32_e32 v26, s47, v18
	v_lshl_add_u64 v[28:29], v[18:19], 1, s[18:19]
	v_cndmask_b32_e32 v6, v6, v9, vcc
	v_subrev_u32_e32 v9, s12, v6
	v_cmp_le_u32_e32 vcc, s12, v6
	v_lshl_add_u64 v[36:37], v[26:27], 1, s[18:19]
	v_add_u32_e32 v18, s48, v18
	v_cndmask_b32_e32 v22, v6, v9, vcc
	v_mul_hi_u32 v6, v90, v98
	v_mul_lo_u32 v6, v6, s12
	v_sub_u32_e32 v6, v90, v6
	v_subrev_u32_e32 v9, s12, v6
	v_cmp_le_u32_e32 vcc, s12, v6
	v_add_u32_e32 v26, s47, v22
	v_lshl_add_u64 v[38:39], v[26:27], 1, s[18:19]
	v_cndmask_b32_e32 v6, v6, v9, vcc
	v_subrev_u32_e32 v9, s12, v6
	v_cmp_le_u32_e32 vcc, s12, v6
	v_lshl_add_u64 v[42:43], v[18:19], 1, s[18:19]
	v_add_u32_e32 v18, s48, v22
	v_cndmask_b32_e32 v32, v6, v9, vcc
	v_add_u32_e32 v26, s47, v32
	v_lshl_add_u64 v[30:31], v[22:23], 1, s[18:19]
	v_lshl_add_u64 v[34:35], v[32:33], 1, s[18:19]
	;; [unrolled: 1-line block ×4, first 2 shown]
	global_load_ushort v26, v[28:29], off
	global_load_ushort v25, v[30:31], off
	;; [unrolled: 1-line block ×8, first 2 shown]
	v_add_u32_e32 v28, s48, v32
	v_mov_b32_e32 v29, v91
	v_lshl_add_u64 v[28:29], v[28:29], 1, s[18:19]
	global_load_ushort v6, v[28:29], off
.LBB226_35:                             ;   in Loop: Header=BB226_12 Depth=1
	v_cmp_ne_u32_e32 vcc, 0, v84
	s_and_saveexec_b64 s[8:9], vcc
	s_cbranch_execnz .LBB226_44
; %bb.36:                               ;   in Loop: Header=BB226_12 Depth=1
	s_or_b64 exec, exec, s[8:9]
	v_cmp_ne_u32_e64 s[6:7], 0, v85
	s_and_saveexec_b64 s[10:11], s[6:7]
	s_cbranch_execnz .LBB226_49
.LBB226_37:                             ;   in Loop: Header=BB226_12 Depth=1
	s_or_b64 exec, exec, s[10:11]
	v_cmp_ne_u32_e64 s[8:9], 0, v86
	s_and_saveexec_b64 s[38:39], s[8:9]
	s_cbranch_execnz .LBB226_54
.LBB226_38:                             ;   in Loop: Header=BB226_12 Depth=1
	s_or_b64 exec, exec, s[38:39]
	v_add_u32_e32 v90, s23, v88
	s_and_saveexec_b64 s[38:39], vcc
	s_cbranch_execnz .LBB226_59
.LBB226_39:                             ;   in Loop: Header=BB226_12 Depth=1
	s_or_b64 exec, exec, s[38:39]
	s_and_saveexec_b64 s[38:39], s[6:7]
	s_cbranch_execnz .LBB226_64
.LBB226_40:                             ;   in Loop: Header=BB226_12 Depth=1
	s_or_b64 exec, exec, s[38:39]
	s_and_saveexec_b64 s[38:39], s[8:9]
	s_cbranch_execnz .LBB226_69
.LBB226_41:                             ;   in Loop: Header=BB226_12 Depth=1
	s_or_b64 exec, exec, s[38:39]
	v_add_u32_e32 v90, s23, v90
	s_and_saveexec_b64 s[10:11], vcc
	s_cbranch_execnz .LBB226_74
.LBB226_42:                             ;   in Loop: Header=BB226_12 Depth=1
	s_or_b64 exec, exec, s[10:11]
	s_and_saveexec_b64 s[10:11], s[6:7]
	s_cbranch_execnz .LBB226_79
.LBB226_43:                             ;   in Loop: Header=BB226_12 Depth=1
	s_or_b64 exec, exec, s[10:11]
	s_and_b64 exec, exec, s[8:9]
	s_cbranch_execnz .LBB226_84
	s_branch .LBB226_89
.LBB226_44:                             ;   in Loop: Header=BB226_12 Depth=1
	v_cvt_f32_i32_e32 v21, v21
	v_add_f32_e32 v21, v24, v21
	s_waitcnt vmcnt(8)
	v_lshlrev_b32_e32 v24, 16, v26
	v_add_f32_e32 v24, v21, v24
	v_and_b32_e32 v21, 0x7f800000, v24
	v_cmp_ne_u32_e64 s[6:7], s52, v21
                                        ; implicit-def: $vgpr21
	s_and_saveexec_b64 s[10:11], s[6:7]
	s_xor_b64 s[6:7], exec, s[10:11]
; %bb.45:                               ;   in Loop: Header=BB226_12 Depth=1
	v_bfe_u32 v21, v24, 16, 1
	v_add3_u32 v21, v24, v21, s53
                                        ; implicit-def: $vgpr24
; %bb.46:                               ;   in Loop: Header=BB226_12 Depth=1
	s_andn2_saveexec_b64 s[10:11], s[6:7]
; %bb.47:                               ;   in Loop: Header=BB226_12 Depth=1
	v_or_b32_e32 v21, 0x10000, v24
	v_cmp_eq_u32_sdwa s[6:7], v24, v91 src0_sel:WORD_0 src1_sel:DWORD
	s_nop 1
	v_cndmask_b32_e64 v21, v21, v24, s[6:7]
; %bb.48:                               ;   in Loop: Header=BB226_12 Depth=1
	s_or_b64 exec, exec, s[10:11]
	v_mov_b32_e32 v89, v91
	v_lshl_add_u64 v[26:27], v[88:89], 1, s[24:25]
	global_store_short_d16_hi v[26:27], v21, off
	s_or_b64 exec, exec, s[8:9]
	v_cmp_ne_u32_e64 s[6:7], 0, v85
	s_and_saveexec_b64 s[10:11], s[6:7]
	s_cbranch_execz .LBB226_37
.LBB226_49:                             ;   in Loop: Header=BB226_12 Depth=1
	v_cvt_f32_i32_e32 v17, v17
	v_add_f32_e32 v17, v20, v17
	s_waitcnt vmcnt(7)
	v_lshlrev_b32_e32 v20, 16, v25
	v_add_f32_e32 v20, v17, v20
	v_and_b32_e32 v17, 0x7f800000, v20
	v_cmp_ne_u32_e64 s[8:9], s52, v17
                                        ; implicit-def: $vgpr17
	s_and_saveexec_b64 s[38:39], s[8:9]
	s_xor_b64 s[8:9], exec, s[38:39]
; %bb.50:                               ;   in Loop: Header=BB226_12 Depth=1
	v_bfe_u32 v17, v20, 16, 1
	v_add3_u32 v17, v20, v17, s53
                                        ; implicit-def: $vgpr20
; %bb.51:                               ;   in Loop: Header=BB226_12 Depth=1
	s_andn2_saveexec_b64 s[38:39], s[8:9]
; %bb.52:                               ;   in Loop: Header=BB226_12 Depth=1
	v_or_b32_e32 v17, 0x10000, v20
	v_cmp_eq_u32_sdwa s[8:9], v20, v91 src0_sel:WORD_0 src1_sel:DWORD
	s_nop 1
	v_cndmask_b32_e64 v17, v17, v20, s[8:9]
; %bb.53:                               ;   in Loop: Header=BB226_12 Depth=1
	s_or_b64 exec, exec, s[38:39]
	v_mov_b32_e32 v89, v91
	v_lshl_add_u64 v[20:21], v[88:89], 1, s[30:31]
	global_store_short_d16_hi v[20:21], v17, off
	s_or_b64 exec, exec, s[10:11]
	v_cmp_ne_u32_e64 s[8:9], 0, v86
	s_and_saveexec_b64 s[38:39], s[8:9]
	s_cbranch_execz .LBB226_38
.LBB226_54:                             ;   in Loop: Header=BB226_12 Depth=1
	v_cvt_f32_i32_e32 v14, v14
	v_add_f32_e32 v14, v16, v14
	s_waitcnt vmcnt(6)
	v_lshlrev_b32_e32 v16, 16, v23
	v_add_f32_e32 v16, v14, v16
	v_and_b32_e32 v14, 0x7f800000, v16
	v_cmp_ne_u32_e64 s[10:11], s52, v14
                                        ; implicit-def: $vgpr14
	s_and_saveexec_b64 s[40:41], s[10:11]
	s_xor_b64 s[10:11], exec, s[40:41]
; %bb.55:                               ;   in Loop: Header=BB226_12 Depth=1
	v_bfe_u32 v14, v16, 16, 1
	v_add3_u32 v14, v16, v14, s53
                                        ; implicit-def: $vgpr16
; %bb.56:                               ;   in Loop: Header=BB226_12 Depth=1
	s_andn2_saveexec_b64 s[40:41], s[10:11]
; %bb.57:                               ;   in Loop: Header=BB226_12 Depth=1
	v_or_b32_e32 v14, 0x10000, v16
	v_cmp_eq_u32_sdwa s[10:11], v16, v91 src0_sel:WORD_0 src1_sel:DWORD
	s_nop 1
	v_cndmask_b32_e64 v14, v14, v16, s[10:11]
; %bb.58:                               ;   in Loop: Header=BB226_12 Depth=1
	s_or_b64 exec, exec, s[40:41]
	v_lshl_add_u64 v[16:17], v[90:91], 1, s[24:25]
	global_store_short_d16_hi v[16:17], v14, off
	s_or_b64 exec, exec, s[38:39]
	v_add_u32_e32 v90, s23, v88
	s_and_saveexec_b64 s[38:39], vcc
	s_cbranch_execz .LBB226_39
.LBB226_59:                             ;   in Loop: Header=BB226_12 Depth=1
	v_cvt_f32_i32_e32 v11, v11
	v_add_f32_e32 v11, v13, v11
	s_waitcnt vmcnt(5)
	v_lshlrev_b32_e32 v13, 16, v22
	v_add_f32_e32 v13, v11, v13
	v_and_b32_e32 v11, 0x7f800000, v13
	v_cmp_ne_u32_e64 s[10:11], s52, v11
                                        ; implicit-def: $vgpr11
	s_and_saveexec_b64 s[40:41], s[10:11]
	s_xor_b64 s[10:11], exec, s[40:41]
; %bb.60:                               ;   in Loop: Header=BB226_12 Depth=1
	v_bfe_u32 v11, v13, 16, 1
	v_add3_u32 v11, v13, v11, s53
                                        ; implicit-def: $vgpr13
; %bb.61:                               ;   in Loop: Header=BB226_12 Depth=1
	s_andn2_saveexec_b64 s[40:41], s[10:11]
; %bb.62:                               ;   in Loop: Header=BB226_12 Depth=1
	v_or_b32_e32 v11, 0x10000, v13
	v_cmp_eq_u32_sdwa s[10:11], v13, v91 src0_sel:WORD_0 src1_sel:DWORD
	s_nop 1
	v_cndmask_b32_e64 v11, v11, v13, s[10:11]
; %bb.63:                               ;   in Loop: Header=BB226_12 Depth=1
	s_or_b64 exec, exec, s[40:41]
	v_lshl_add_u64 v[16:17], v[90:91], 1, s[24:25]
	global_store_short_d16_hi v[16:17], v11, off
	s_or_b64 exec, exec, s[38:39]
	s_and_saveexec_b64 s[38:39], s[6:7]
	s_cbranch_execz .LBB226_40
.LBB226_64:                             ;   in Loop: Header=BB226_12 Depth=1
	v_cvt_f32_i32_e32 v8, v8
	s_waitcnt vmcnt(4)
	v_lshlrev_b32_e32 v11, 16, v19
	v_add_f32_e32 v8, v12, v8
	v_add_f32_e32 v11, v8, v11
	v_and_b32_e32 v8, 0x7f800000, v11
	v_cmp_ne_u32_e64 s[10:11], s52, v8
                                        ; implicit-def: $vgpr8
	s_and_saveexec_b64 s[40:41], s[10:11]
	s_xor_b64 s[10:11], exec, s[40:41]
; %bb.65:                               ;   in Loop: Header=BB226_12 Depth=1
	v_bfe_u32 v8, v11, 16, 1
	v_add3_u32 v8, v11, v8, s53
                                        ; implicit-def: $vgpr11
; %bb.66:                               ;   in Loop: Header=BB226_12 Depth=1
	s_andn2_saveexec_b64 s[40:41], s[10:11]
; %bb.67:                               ;   in Loop: Header=BB226_12 Depth=1
	v_or_b32_e32 v8, 0x10000, v11
	v_cmp_eq_u32_sdwa s[10:11], v11, v91 src0_sel:WORD_0 src1_sel:DWORD
	s_nop 1
	v_cndmask_b32_e64 v8, v8, v11, s[10:11]
; %bb.68:                               ;   in Loop: Header=BB226_12 Depth=1
	s_or_b64 exec, exec, s[40:41]
	v_add_u32_e32 v12, 1, v90
	v_mov_b32_e32 v13, v91
	v_lshl_add_u64 v[12:13], v[12:13], 1, s[24:25]
	global_store_short_d16_hi v[12:13], v8, off
	s_or_b64 exec, exec, s[38:39]
	s_and_saveexec_b64 s[38:39], s[8:9]
	s_cbranch_execz .LBB226_41
.LBB226_69:                             ;   in Loop: Header=BB226_12 Depth=1
	v_cvt_f32_i32_e32 v8, v10
	v_add_f32_e32 v7, v7, v8
	s_waitcnt vmcnt(3)
	v_lshlrev_b32_e32 v8, 16, v18
	v_add_f32_e32 v8, v7, v8
	v_and_b32_e32 v7, 0x7f800000, v8
	v_cmp_ne_u32_e64 s[10:11], s52, v7
                                        ; implicit-def: $vgpr7
	s_and_saveexec_b64 s[40:41], s[10:11]
	s_xor_b64 s[10:11], exec, s[40:41]
; %bb.70:                               ;   in Loop: Header=BB226_12 Depth=1
	v_bfe_u32 v7, v8, 16, 1
	v_add3_u32 v7, v8, v7, s53
                                        ; implicit-def: $vgpr8
; %bb.71:                               ;   in Loop: Header=BB226_12 Depth=1
	s_andn2_saveexec_b64 s[40:41], s[10:11]
; %bb.72:                               ;   in Loop: Header=BB226_12 Depth=1
	v_or_b32_e32 v7, 0x10000, v8
	v_cmp_eq_u32_sdwa s[10:11], v8, v91 src0_sel:WORD_0 src1_sel:DWORD
	s_nop 1
	v_cndmask_b32_e64 v7, v7, v8, s[10:11]
; %bb.73:                               ;   in Loop: Header=BB226_12 Depth=1
	s_or_b64 exec, exec, s[40:41]
	v_add_u32_e32 v10, 2, v90
	v_mov_b32_e32 v11, v91
	v_lshl_add_u64 v[10:11], v[10:11], 1, s[24:25]
	global_store_short_d16_hi v[10:11], v7, off
	s_or_b64 exec, exec, s[38:39]
	v_add_u32_e32 v90, s23, v90
	s_and_saveexec_b64 s[10:11], vcc
	s_cbranch_execz .LBB226_42
.LBB226_74:                             ;   in Loop: Header=BB226_12 Depth=1
	v_cvt_f32_i32_e32 v5, v5
	v_add_f32_e32 v4, v4, v5
	s_waitcnt vmcnt(2)
	v_lshlrev_b32_e32 v5, 16, v15
	v_add_f32_e32 v5, v4, v5
	v_and_b32_e32 v4, 0x7f800000, v5
	v_cmp_ne_u32_e32 vcc, s52, v4
                                        ; implicit-def: $vgpr4
	s_and_saveexec_b64 s[38:39], vcc
	s_xor_b64 s[38:39], exec, s[38:39]
; %bb.75:                               ;   in Loop: Header=BB226_12 Depth=1
	v_bfe_u32 v4, v5, 16, 1
	v_add3_u32 v4, v5, v4, s53
                                        ; implicit-def: $vgpr5
; %bb.76:                               ;   in Loop: Header=BB226_12 Depth=1
	s_andn2_saveexec_b64 s[38:39], s[38:39]
; %bb.77:                               ;   in Loop: Header=BB226_12 Depth=1
	v_or_b32_e32 v4, 0x10000, v5
	v_cmp_eq_u32_sdwa vcc, v5, v91 src0_sel:WORD_0 src1_sel:DWORD
	s_nop 1
	v_cndmask_b32_e32 v4, v4, v5, vcc
; %bb.78:                               ;   in Loop: Header=BB226_12 Depth=1
	s_or_b64 exec, exec, s[38:39]
	v_lshl_add_u64 v[10:11], v[90:91], 1, s[24:25]
	global_store_short_d16_hi v[10:11], v4, off
	s_or_b64 exec, exec, s[10:11]
	s_and_saveexec_b64 s[10:11], s[6:7]
	s_cbranch_execz .LBB226_43
.LBB226_79:                             ;   in Loop: Header=BB226_12 Depth=1
	v_cvt_f32_i32_e32 v3, v3
	v_add_f32_e32 v2, v2, v3
	s_waitcnt vmcnt(1)
	v_lshlrev_b32_e32 v3, 16, v9
	v_add_f32_e32 v3, v2, v3
	v_and_b32_e32 v2, 0x7f800000, v3
	v_cmp_ne_u32_e32 vcc, s52, v2
                                        ; implicit-def: $vgpr2
	s_and_saveexec_b64 s[6:7], vcc
	s_xor_b64 s[6:7], exec, s[6:7]
; %bb.80:                               ;   in Loop: Header=BB226_12 Depth=1
	v_bfe_u32 v2, v3, 16, 1
	v_add3_u32 v2, v3, v2, s53
                                        ; implicit-def: $vgpr3
; %bb.81:                               ;   in Loop: Header=BB226_12 Depth=1
	s_andn2_saveexec_b64 s[6:7], s[6:7]
; %bb.82:                               ;   in Loop: Header=BB226_12 Depth=1
	v_or_b32_e32 v2, 0x10000, v3
	v_cmp_eq_u32_sdwa vcc, v3, v91 src0_sel:WORD_0 src1_sel:DWORD
	s_nop 1
	v_cndmask_b32_e32 v2, v2, v3, vcc
; %bb.83:                               ;   in Loop: Header=BB226_12 Depth=1
	s_or_b64 exec, exec, s[6:7]
	v_add_u32_e32 v4, 1, v90
	v_mov_b32_e32 v5, v91
	v_lshl_add_u64 v[4:5], v[4:5], 1, s[24:25]
	global_store_short_d16_hi v[4:5], v2, off
	s_or_b64 exec, exec, s[10:11]
	s_and_b64 exec, exec, s[8:9]
	s_cbranch_execz .LBB226_89
.LBB226_84:                             ;   in Loop: Header=BB226_12 Depth=1
	v_cvt_f32_i32_e32 v1, v1
	v_add_f32_e32 v0, v0, v1
	s_waitcnt vmcnt(0)
	v_lshlrev_b32_e32 v1, 16, v6
	v_add_f32_e32 v1, v0, v1
	v_and_b32_e32 v0, 0x7f800000, v1
	v_cmp_ne_u32_e32 vcc, s52, v0
                                        ; implicit-def: $vgpr0
	s_and_saveexec_b64 s[6:7], vcc
	s_xor_b64 s[6:7], exec, s[6:7]
; %bb.85:                               ;   in Loop: Header=BB226_12 Depth=1
	v_bfe_u32 v0, v1, 16, 1
	v_add3_u32 v0, v1, v0, s53
                                        ; implicit-def: $vgpr1
; %bb.86:                               ;   in Loop: Header=BB226_12 Depth=1
	s_andn2_saveexec_b64 s[6:7], s[6:7]
; %bb.87:                               ;   in Loop: Header=BB226_12 Depth=1
	v_or_b32_e32 v0, 0x10000, v1
	v_cmp_eq_u32_sdwa vcc, v1, v91 src0_sel:WORD_0 src1_sel:DWORD
	s_nop 1
	v_cndmask_b32_e32 v0, v0, v1, vcc
; %bb.88:                               ;   in Loop: Header=BB226_12 Depth=1
	s_or_b64 exec, exec, s[6:7]
	v_add_u32_e32 v90, 2, v90
	v_lshl_add_u64 v[2:3], v[90:91], 1, s[24:25]
	global_store_short_d16_hi v[2:3], v0, off
.LBB226_89:                             ;   in Loop: Header=BB226_12 Depth=1
	s_or_b64 exec, exec, s[36:37]
	v_add_u32_e32 v88, s46, v88
	v_add_u32_e32 v0, 3, v88
	v_cmp_gt_u32_e32 vcc, s23, v88
	v_cmp_le_u32_e64 s[6:7], s23, v0
	s_and_b64 s[6:7], vcc, s[6:7]
	s_and_saveexec_b64 s[8:9], s[6:7]
	s_cbranch_execz .LBB226_10
; %bb.90:                               ;   in Loop: Header=BB226_12 Depth=1
	v_cmp_ne_u32_e32 vcc, s13, v88
	s_and_saveexec_b64 s[10:11], vcc
	s_cbranch_execz .LBB226_9
; %bb.91:                               ;   in Loop: Header=BB226_12 Depth=1
	v_subrev_u32_e32 v0, s13, v88
	v_cmp_lt_u32_e32 vcc, 1, v0
	s_mov_b64 s[36:37], 0
	s_mov_b64 s[38:39], 0
	v_cndmask_b32_e32 v0, 1, v0, vcc
.LBB226_92:                             ;   Parent Loop BB226_12 Depth=1
                                        ; =>  This Inner Loop Header: Depth=2
	s_cmp_lg_u32 s38, 2
	s_cselect_b64 vcc, -1, 0
	s_cmp_lg_u32 s38, 1
	v_cndmask_b32_e32 v86, 0, v86, vcc
	s_cselect_b64 vcc, -1, 0
	s_cmp_lg_u32 s38, 0
	v_cndmask_b32_e32 v85, 0, v85, vcc
	s_cselect_b64 vcc, -1, 0
	s_add_u32 s38, s38, 1
	s_addc_u32 s39, s39, 0
	v_cmp_eq_u32_e64 s[6:7], s38, v0
	s_or_b64 s[36:37], s[6:7], s[36:37]
	v_cndmask_b32_e32 v84, 0, v84, vcc
	s_andn2_b64 exec, exec, s[36:37]
	s_cbranch_execnz .LBB226_92
; %bb.93:                               ;   in Loop: Header=BB226_12 Depth=1
	s_or_b64 exec, exec, s[36:37]
	s_branch .LBB226_9
.LBB226_94:
	s_endpgm
	.section	.rodata,"a",@progbits
	.p2align	6, 0x0
	.amdhsa_kernel _Z16wvSplitK_hf_big_I14__hip_bfloat16Li32ELi3ELi16ELi8ELi2ELi3EEviiiiiiPKT_S3_S3_PS1_ii
		.amdhsa_group_segment_fixed_size 65536
		.amdhsa_private_segment_fixed_size 0
		.amdhsa_kernarg_size 64
		.amdhsa_user_sgpr_count 2
		.amdhsa_user_sgpr_dispatch_ptr 0
		.amdhsa_user_sgpr_queue_ptr 0
		.amdhsa_user_sgpr_kernarg_segment_ptr 1
		.amdhsa_user_sgpr_dispatch_id 0
		.amdhsa_user_sgpr_kernarg_preload_length 0
		.amdhsa_user_sgpr_kernarg_preload_offset 0
		.amdhsa_user_sgpr_private_segment_size 0
		.amdhsa_uses_dynamic_stack 0
		.amdhsa_enable_private_segment 0
		.amdhsa_system_sgpr_workgroup_id_x 1
		.amdhsa_system_sgpr_workgroup_id_y 0
		.amdhsa_system_sgpr_workgroup_id_z 0
		.amdhsa_system_sgpr_workgroup_info 0
		.amdhsa_system_vgpr_workitem_id 1
		.amdhsa_next_free_vgpr 105
		.amdhsa_next_free_sgpr 54
		.amdhsa_accum_offset 108
		.amdhsa_reserve_vcc 1
		.amdhsa_float_round_mode_32 0
		.amdhsa_float_round_mode_16_64 0
		.amdhsa_float_denorm_mode_32 3
		.amdhsa_float_denorm_mode_16_64 3
		.amdhsa_dx10_clamp 1
		.amdhsa_ieee_mode 1
		.amdhsa_fp16_overflow 0
		.amdhsa_tg_split 0
		.amdhsa_exception_fp_ieee_invalid_op 0
		.amdhsa_exception_fp_denorm_src 0
		.amdhsa_exception_fp_ieee_div_zero 0
		.amdhsa_exception_fp_ieee_overflow 0
		.amdhsa_exception_fp_ieee_underflow 0
		.amdhsa_exception_fp_ieee_inexact 0
		.amdhsa_exception_int_div_zero 0
	.end_amdhsa_kernel
	.section	.text._Z16wvSplitK_hf_big_I14__hip_bfloat16Li32ELi3ELi16ELi8ELi2ELi3EEviiiiiiPKT_S3_S3_PS1_ii,"axG",@progbits,_Z16wvSplitK_hf_big_I14__hip_bfloat16Li32ELi3ELi16ELi8ELi2ELi3EEviiiiiiPKT_S3_S3_PS1_ii,comdat
.Lfunc_end226:
	.size	_Z16wvSplitK_hf_big_I14__hip_bfloat16Li32ELi3ELi16ELi8ELi2ELi3EEviiiiiiPKT_S3_S3_PS1_ii, .Lfunc_end226-_Z16wvSplitK_hf_big_I14__hip_bfloat16Li32ELi3ELi16ELi8ELi2ELi3EEviiiiiiPKT_S3_S3_PS1_ii
                                        ; -- End function
	.section	.AMDGPU.csdata,"",@progbits
; Kernel info:
; codeLenInByte = 5096
; NumSgprs: 60
; NumVgprs: 105
; NumAgprs: 0
; TotalNumVgprs: 105
; ScratchSize: 0
; MemoryBound: 0
; FloatMode: 240
; IeeeMode: 1
; LDSByteSize: 65536 bytes/workgroup (compile time only)
; SGPRBlocks: 7
; VGPRBlocks: 13
; NumSGPRsForWavesPerEU: 60
; NumVGPRsForWavesPerEU: 105
; AccumOffset: 108
; Occupancy: 2
; WaveLimiterHint : 0
; COMPUTE_PGM_RSRC2:SCRATCH_EN: 0
; COMPUTE_PGM_RSRC2:USER_SGPR: 2
; COMPUTE_PGM_RSRC2:TRAP_HANDLER: 0
; COMPUTE_PGM_RSRC2:TGID_X_EN: 1
; COMPUTE_PGM_RSRC2:TGID_Y_EN: 0
; COMPUTE_PGM_RSRC2:TGID_Z_EN: 0
; COMPUTE_PGM_RSRC2:TIDIG_COMP_CNT: 1
; COMPUTE_PGM_RSRC3_GFX90A:ACCUM_OFFSET: 26
; COMPUTE_PGM_RSRC3_GFX90A:TG_SPLIT: 0
	.section	.text._Z16wvSplitK_hf_sml_I14__hip_bfloat16Li32ELi4ELi16ELi8ELi1ELi3EEviiiiiiPKT_S3_S3_PS1_ii,"axG",@progbits,_Z16wvSplitK_hf_sml_I14__hip_bfloat16Li32ELi4ELi16ELi8ELi1ELi3EEviiiiiiPKT_S3_S3_PS1_ii,comdat
	.protected	_Z16wvSplitK_hf_sml_I14__hip_bfloat16Li32ELi4ELi16ELi8ELi1ELi3EEviiiiiiPKT_S3_S3_PS1_ii ; -- Begin function _Z16wvSplitK_hf_sml_I14__hip_bfloat16Li32ELi4ELi16ELi8ELi1ELi3EEviiiiiiPKT_S3_S3_PS1_ii
	.globl	_Z16wvSplitK_hf_sml_I14__hip_bfloat16Li32ELi4ELi16ELi8ELi1ELi3EEviiiiiiPKT_S3_S3_PS1_ii
	.p2align	8
	.type	_Z16wvSplitK_hf_sml_I14__hip_bfloat16Li32ELi4ELi16ELi8ELi1ELi3EEviiiiiiPKT_S3_S3_PS1_ii,@function
_Z16wvSplitK_hf_sml_I14__hip_bfloat16Li32ELi4ELi16ELi8ELi1ELi3EEviiiiiiPKT_S3_S3_PS1_ii: ; @_Z16wvSplitK_hf_sml_I14__hip_bfloat16Li32ELi4ELi16ELi8ELi1ELi3EEviiiiiiPKT_S3_S3_PS1_ii
; %bb.0:
	s_load_dwordx4 s[4:7], s[0:1], 0x0
	v_and_b32_e32 v4, 0x3ff, v0
	v_bfe_u32 v5, v0, 10, 10
	v_lshlrev_b32_e32 v88, 3, v4
	v_lshl_add_u32 v6, v5, 8, v88
	s_waitcnt lgkmcnt(0)
	s_mul_i32 s3, s6, 3
	s_min_u32 s3, s3, 0x8000
	v_cmp_gt_u32_e32 vcc, s3, v6
	s_and_saveexec_b64 s[8:9], vcc
	s_cbranch_execz .LBB227_9
; %bb.1:
	s_load_dwordx2 s[10:11], s[0:1], 0x20
	v_lshlrev_b32_e32 v0, 1, v6
	v_add_u32_e32 v1, 0x1000, v6
	v_cmp_gt_u32_e32 vcc, s3, v1
	s_waitcnt lgkmcnt(0)
	global_load_dwordx4 v[8:11], v0, s[10:11]
	s_waitcnt vmcnt(0)
	ds_write_b128 v0, v[8:11]
	s_and_saveexec_b64 s[12:13], vcc
	s_xor_b64 s[12:13], exec, s[12:13]
	s_cbranch_execz .LBB227_9
; %bb.2:
	v_mov_b32_e32 v1, 0
	v_lshl_add_u64 v[2:3], s[10:11], 0, v[0:1]
	v_add_co_u32_e32 v8, vcc, 0x2000, v2
	v_add_u32_e32 v1, 0x2000, v6
	s_nop 0
	v_addc_co_u32_e32 v9, vcc, 0, v3, vcc
	global_load_dwordx4 v[8:11], v[8:9], off
	v_cmp_gt_u32_e32 vcc, s3, v1
	s_waitcnt vmcnt(0)
	ds_write_b128 v0, v[8:11] offset:8192
	s_and_saveexec_b64 s[10:11], vcc
	s_xor_b64 s[10:11], exec, s[10:11]
	s_cbranch_execz .LBB227_9
; %bb.3:
	v_add_co_u32_e32 v8, vcc, 0x4000, v2
	v_add_u32_e32 v1, 0x3000, v6
	s_nop 0
	v_addc_co_u32_e32 v9, vcc, 0, v3, vcc
	global_load_dwordx4 v[8:11], v[8:9], off
	v_cmp_gt_u32_e32 vcc, s3, v1
	s_waitcnt vmcnt(0)
	ds_write_b128 v0, v[8:11] offset:16384
	s_and_saveexec_b64 s[10:11], vcc
	s_xor_b64 s[10:11], exec, s[10:11]
	s_cbranch_execz .LBB227_9
; %bb.4:
	;; [unrolled: 12-line block ×6, first 2 shown]
	v_add_co_u32_e32 v2, vcc, 0xe000, v2
	s_nop 1
	v_addc_co_u32_e32 v3, vcc, 0, v3, vcc
	global_load_dwordx4 v[6:9], v[2:3], off
	s_waitcnt vmcnt(0)
	ds_write_b128 v0, v[6:9] offset:57344
.LBB227_9:
	s_or_b64 exec, exec, s[8:9]
	s_load_dwordx2 s[16:17], s[0:1], 0x38
	s_waitcnt lgkmcnt(0)
	s_barrier
	v_cmp_gt_u32_e32 vcc, s16, v5
	s_and_saveexec_b64 s[8:9], vcc
	s_cbranch_execz .LBB227_70
; %bb.10:
	s_load_dwordx2 s[12:13], s[0:1], 0x10
	s_mul_i32 s2, s2, s16
	v_add_lshl_u32 v72, s2, v5, 2
	v_cmp_gt_u32_e32 vcc, s7, v72
	s_and_b64 exec, exec, vcc
	s_cbranch_execz .LBB227_70
; %bb.11:
	s_load_dwordx4 s[8:11], s[0:1], 0x28
	s_load_dwordx2 s[14:15], s[0:1], 0x18
	s_cmp_lg_u32 s4, 0
	s_cselect_b64 s[2:3], -1, 0
	s_add_i32 s24, s4, -8
	s_add_i32 s25, s7, -1
	s_waitcnt lgkmcnt(0)
	s_cmp_lg_u64 s[8:9], 0
	s_cselect_b64 s[18:19], -1, 0
	s_abs_i32 s21, s13
	v_cvt_f32_u32_e32 v0, s12
	v_cvt_f32_u32_e32 v1, s21
	s_mul_i32 s20, s16, s17
	s_lshl_b32 s13, s20, 2
	v_rcp_iflag_f32_e32 v0, v0
	v_rcp_iflag_f32_e32 v1, v1
	s_sub_i32 s20, 0, s12
	v_cmp_eq_u32_e64 s[0:1], 31, v4
	v_mul_f32_e32 v0, 0x4f7ffffe, v0
	v_mul_f32_e32 v1, 0x4f7ffffe, v1
	v_cvt_u32_f32_e32 v0, v0
	v_cvt_u32_f32_e32 v1, v1
	s_mov_b64 s[16:17], 0
	v_mov_b32_e32 v75, 0
	v_mul_lo_u32 v2, s20, v0
	s_sub_i32 s20, 0, s21
	v_readfirstlane_b32 s22, v1
	s_mul_i32 s20, s20, s22
	s_mul_hi_u32 s20, s22, s20
	s_add_i32 s22, s22, s20
	s_sub_i32 s20, 1, s21
	s_cmp_lt_u32 s21, 2
	s_cselect_b32 s20, s20, 1
	s_sub_i32 s23, s20, s21
	s_cmp_ge_u32 s20, s21
	s_cselect_b32 s26, s23, s20
	s_lshr_b32 s20, s22, 31
	s_mul_i32 s20, s20, s21
	s_sub_i32 s20, 2, s20
	s_sub_i32 s22, s20, s21
	s_cmp_ge_u32 s20, s21
	s_cselect_b32 s20, s22, s20
	s_sub_i32 s22, s20, s21
	v_mul_hi_u32 v2, v0, v2
	s_cmp_ge_u32 s20, s21
	v_add_u32_e32 v89, v0, v2
	s_cselect_b32 s27, s22, s20
	v_cndmask_b32_e64 v0, 0, 1, s[2:3]
	s_mul_i32 s26, s26, s12
	s_mul_i32 s27, s27, s12
	s_lshl_b32 s28, s6, 2
	v_lshlrev_b32_e32 v90, 4, v4
	s_lshl_b32 s6, s6, 1
	v_cmp_ne_u32_e64 s[2:3], 1, v0
	s_mov_b32 s29, 0x7f800000
	s_movk_i32 s30, 0x7fff
	s_branch .LBB227_14
.LBB227_12:                             ;   in Loop: Header=BB227_14 Depth=1
	s_or_b64 exec, exec, s[22:23]
	v_add_u32_e32 v74, 3, v74
	v_lshl_add_u64 v[2:3], v[74:75], 1, s[10:11]
	global_store_short_d16_hi v[2:3], v0, off
.LBB227_13:                             ;   in Loop: Header=BB227_14 Depth=1
	s_or_b64 exec, exec, s[20:21]
	v_add_u32_e32 v72, s13, v72
	v_cmp_le_u32_e32 vcc, s7, v72
	s_or_b64 s[16:17], vcc, s[16:17]
	s_andn2_b64 exec, exec, s[16:17]
	s_cbranch_execz .LBB227_70
.LBB227_14:                             ; =>This Loop Header: Depth=1
                                        ;     Child Loop BB227_17 Depth 2
	s_and_b64 vcc, exec, s[2:3]
	v_mov_b32_e32 v7, v75
	v_mov_b32_e32 v6, v75
	;; [unrolled: 1-line block ×48, first 2 shown]
	s_cbranch_vccnz .LBB227_19
; %bb.15:                               ;   in Loop: Header=BB227_14 Depth=1
	v_min_u32_e32 v0, s25, v72
	v_mul_lo_u32 v76, v0, s5
	v_or_b32_e32 v0, 1, v72
	v_min_u32_e32 v0, s25, v0
	v_mul_lo_u32 v78, v0, s5
	v_or_b32_e32 v0, 2, v72
	;; [unrolled: 3-line block ×3, first 2 shown]
	v_min_u32_e32 v0, s25, v0
	v_mov_b32_e32 v16, 0
	v_mov_b32_e32 v77, v75
	;; [unrolled: 1-line block ×4, first 2 shown]
	v_mul_lo_u32 v82, v0, s5
	v_mov_b32_e32 v83, v75
	s_mov_b32 s22, 0
	v_mov_b32_e32 v73, v90
	v_mov_b32_e32 v17, v16
	;; [unrolled: 1-line block ×48, first 2 shown]
	s_branch .LBB227_17
.LBB227_16:                             ;   in Loop: Header=BB227_17 Depth=2
	s_or_b64 exec, exec, s[20:21]
	s_waitcnt vmcnt(3) lgkmcnt(1)
	v_mfma_f32_4x4x4_16b_bf16 v[44:47], v[68:69], v[56:57], v[44:47]
	s_addk_i32 s22, 0x100
	s_waitcnt vmcnt(2)
	v_mfma_f32_4x4x4_16b_bf16 v[40:43], v[68:69], v[52:53], v[40:43]
	v_add_u32_e32 v73, 0x200, v73
	s_waitcnt vmcnt(1)
	v_mfma_f32_4x4x4_16b_bf16 v[36:39], v[68:69], v[60:61], v[36:39]
	s_cmp_ge_u32 s22, s4
	s_waitcnt vmcnt(0)
	v_mfma_f32_4x4x4_16b_bf16 v[32:35], v[68:69], v[48:49], v[32:35]
	v_mfma_f32_4x4x4_16b_bf16 v[28:31], v[64:65], v[56:57], v[28:31]
	;; [unrolled: 1-line block ×17, first 2 shown]
	s_waitcnt lgkmcnt(0)
	v_mfma_f32_4x4x4_16b_bf16 v[12:15], v[84:85], v[58:59], v[12:15]
	v_mfma_f32_4x4x4_16b_bf16 v[8:11], v[84:85], v[54:55], v[8:11]
	;; [unrolled: 1-line block ×4, first 2 shown]
	s_cbranch_scc1 .LBB227_19
.LBB227_17:                             ;   Parent Loop BB227_14 Depth=1
                                        ; =>  This Inner Loop Header: Depth=2
	v_add_u32_e32 v68, s22, v88
	v_min_u32_e32 v74, s24, v68
	v_lshl_add_u64 v[48:49], v[74:75], 1, s[14:15]
	v_lshl_add_u64 v[50:51], v[76:77], 1, v[48:49]
	;; [unrolled: 1-line block ×4, first 2 shown]
	global_load_dwordx4 v[56:59], v[50:51], off nt
	global_load_dwordx4 v[52:55], v[60:61], off nt
	v_lshl_add_u64 v[66:67], v[82:83], 1, v[48:49]
	global_load_dwordx4 v[60:63], v[64:65], off nt
	global_load_dwordx4 v[48:51], v[66:67], off nt
	v_cmp_gt_u32_e32 vcc, s4, v68
	v_mov_b32_e32 v84, 0
	v_mov_b32_e32 v85, 0
	;; [unrolled: 1-line block ×12, first 2 shown]
	s_and_saveexec_b64 s[20:21], vcc
	s_cbranch_execz .LBB227_16
; %bb.18:                               ;   in Loop: Header=BB227_17 Depth=2
	v_add_u32_e32 v64, s6, v73
	v_add_u32_e32 v74, s28, v73
	ds_read_b128 v[64:67], v64
	ds_read2_b32 v[86:87], v74 offset1:1
	ds_read_b128 v[68:71], v73
	ds_read2_b32 v[84:85], v74 offset0:2 offset1:3
	s_branch .LBB227_16
.LBB227_19:                             ;   in Loop: Header=BB227_14 Depth=1
	; sched_barrier mask(0x00000000)
	v_cvt_i32_f32_e32 v41, v41
	v_cvt_i32_f32_e32 v42, v42
	;; [unrolled: 1-line block ×6, first 2 shown]
	v_cvt_f32_i32_dpp v41, v41 row_shl:1 row_mask:0xf bank_mask:0xf bound_ctrl:1
	v_cvt_f32_i32_dpp v42, v42 row_shl:2 row_mask:0xf bank_mask:0xf bound_ctrl:1
	;; [unrolled: 1-line block ×6, first 2 shown]
	v_add_f32_e32 v40, v40, v41
	v_add_f32_e32 v40, v40, v42
	;; [unrolled: 1-line block ×5, first 2 shown]
	v_cvt_i32_f32_e32 v41, v40
	v_add_f32_e32 v44, v44, v47
	v_cvt_i32_f32_e32 v45, v44
	v_cvt_i32_f32_e32 v37, v37
	v_cvt_f32_i32_dpp v41, v41 row_shl:4 row_mask:0xf bank_mask:0xf bound_ctrl:1
	v_cvt_i32_f32_e32 v38, v38
	v_cvt_f32_i32_dpp v45, v45 row_shl:4 row_mask:0xf bank_mask:0xf bound_ctrl:1
	v_cvt_i32_f32_e32 v39, v39
	v_add_f32_e32 v40, v40, v41
	v_cvt_i32_f32_e32 v41, v40
	v_add_f32_e32 v42, v44, v45
	v_cvt_i32_f32_e32 v43, v42
	v_cvt_f32_i32_dpp v37, v37 row_shl:1 row_mask:0xf bank_mask:0xf bound_ctrl:1
	v_cvt_f32_i32_dpp v38, v38 row_shl:2 row_mask:0xf bank_mask:0xf bound_ctrl:1
	;; [unrolled: 1-line block ×5, first 2 shown]
	v_add_f32_e32 v36, v36, v37
	v_add_f32_e32 v36, v36, v38
	;; [unrolled: 1-line block ×4, first 2 shown]
	v_cvt_i32_f32_e32 v40, v40
	v_cvt_i32_f32_e32 v36, v37
	v_add_f32_e32 v42, v42, v43
	v_cvt_i32_f32_e32 v42, v42
	v_cvt_i32_f32_e32 v33, v33
	;; [unrolled: 1-line block ×3, first 2 shown]
	v_cvt_f32_i32_dpp v39, v40 row_shr:15 row_mask:0xf bank_mask:0xf bound_ctrl:1
	v_cvt_f32_i32_dpp v40, v36 row_shl:4 row_mask:0xf bank_mask:0xf bound_ctrl:1
	v_cvt_i32_f32_e32 v35, v35
	v_cvt_f32_i32_dpp v42, v42 row_shr:15 row_mask:0xf bank_mask:0xf bound_ctrl:1
	v_cvt_f32_i32_dpp v33, v33 row_shl:1 row_mask:0xf bank_mask:0xf bound_ctrl:1
	v_cvt_f32_i32_dpp v34, v34 row_shl:2 row_mask:0xf bank_mask:0xf bound_ctrl:1
	v_add_f32_e32 v37, v37, v40
	v_cvt_f32_i32_dpp v35, v35 row_shl:3 row_mask:0xf bank_mask:0xf bound_ctrl:1
	v_cvt_i32_f32_e32 v40, v37
	v_cvt_i32_f32_e32 v41, v42
	v_add_f32_e32 v32, v32, v33
	v_add_f32_e32 v32, v32, v34
	;; [unrolled: 1-line block ×3, first 2 shown]
	v_cvt_i32_f32_e32 v29, v29
	v_cvt_f32_i32_dpp v40, v40 row_shl:8 row_mask:0xf bank_mask:0xf bound_ctrl:1
	v_cvt_i32_f32_e32 v32, v34
	v_cvt_i32_f32_e32 v30, v30
	v_cvt_f32_i32_dpp v38, v41 row_bcast:15 row_mask:0xf bank_mask:0xf bound_ctrl:1
	v_cvt_i32_f32_e32 v41, v39
	v_cvt_i32_f32_e32 v31, v31
	v_cvt_f32_i32_dpp v29, v29 row_shl:1 row_mask:0xf bank_mask:0xf bound_ctrl:1
	v_add_f32_e32 v33, v37, v40
	v_cvt_f32_i32_dpp v40, v32 row_shl:4 row_mask:0xf bank_mask:0xf bound_ctrl:1
	v_cvt_f32_i32_dpp v30, v30 row_shl:2 row_mask:0xf bank_mask:0xf bound_ctrl:1
	v_cvt_f32_i32_dpp v35, v41 row_bcast:15 row_mask:0xf bank_mask:0xf bound_ctrl:1
	v_cvt_i32_f32_e32 v37, v33
	v_cvt_f32_i32_dpp v31, v31 row_shl:3 row_mask:0xf bank_mask:0xf bound_ctrl:1
	v_add_f32_e32 v28, v28, v29
	v_add_f32_e32 v34, v34, v40
	;; [unrolled: 1-line block ×4, first 2 shown]
	v_cvt_f32_i32_dpp v35, v37 row_shr:15 row_mask:0xf bank_mask:0xf bound_ctrl:1
	v_cvt_i32_f32_e32 v37, v34
	v_add_f32_e32 v28, v28, v31
	v_cvt_i32_f32_e32 v29, v28
	v_cvt_i32_f32_e32 v30, v35
	v_cvt_f32_i32_dpp v37, v37 row_shl:8 row_mask:0xf bank_mask:0xf bound_ctrl:1
	v_cvt_i32_f32_e32 v25, v25
	v_cvt_f32_i32_dpp v29, v29 row_shl:4 row_mask:0xf bank_mask:0xf bound_ctrl:1
	v_cvt_i32_f32_e32 v26, v26
	v_add_f32_e32 v31, v34, v37
	v_cvt_i32_f32_e32 v31, v31
	v_cvt_f32_i32_dpp v30, v30 row_bcast:15 row_mask:0xf bank_mask:0xf bound_ctrl:1
	v_add_f32_e32 v37, v28, v29
	v_cvt_i32_f32_e32 v27, v27
	v_cvt_i32_f32_e32 v29, v37
	v_cvt_f32_i32_dpp v25, v25 row_shl:1 row_mask:0xf bank_mask:0xf bound_ctrl:1
	v_add_f32_e32 v36, v42, v38
	v_cvt_f32_i32_dpp v26, v26 row_shl:2 row_mask:0xf bank_mask:0xf bound_ctrl:1
	v_cvt_i32_f32_e32 v38, v36
	v_cvt_f32_i32_dpp v31, v31 row_shr:15 row_mask:0xf bank_mask:0xf bound_ctrl:1
	v_add_f32_e32 v28, v35, v30
	v_cvt_f32_i32_dpp v27, v27 row_shl:3 row_mask:0xf bank_mask:0xf bound_ctrl:1
	v_cvt_i32_f32_e32 v35, v28
	v_cvt_f32_i32_dpp v39, v29 row_shl:8 row_mask:0xf bank_mask:0xf bound_ctrl:1
	v_add_f32_e32 v24, v24, v25
	v_cvt_i32_f32_e32 v21, v21
	v_add_f32_e32 v24, v24, v26
	v_cvt_i32_f32_e32 v22, v22
	v_mov_b32_dpp v33, v38 row_bcast:31 row_mask:0xf bank_mask:0xf bound_ctrl:1
	v_cvt_i32_f32_e32 v34, v32
	v_cvt_i32_f32_e32 v38, v31
	v_add_f32_e32 v25, v24, v27
	v_cvt_i32_f32_e32 v23, v23
	v_mov_b32_dpp v29, v35 row_bcast:31 row_mask:0xf bank_mask:0xf bound_ctrl:1
	v_add_f32_e32 v35, v37, v39
	v_cvt_i32_f32_e32 v26, v25
	v_cvt_i32_f32_e32 v35, v35
	v_cvt_f32_i32_dpp v21, v21 row_shl:1 row_mask:0xf bank_mask:0xf bound_ctrl:1
	v_cvt_f32_i32_dpp v22, v22 row_shl:2 row_mask:0xf bank_mask:0xf bound_ctrl:1
	v_mov_b32_dpp v30, v34 row_bcast:31 row_mask:0xf bank_mask:0xf bound_ctrl:1
	v_cvt_f32_i32_dpp v34, v38 row_bcast:15 row_mask:0xf bank_mask:0xf bound_ctrl:1
	v_cvt_f32_i32_dpp v23, v23 row_shl:3 row_mask:0xf bank_mask:0xf bound_ctrl:1
	v_cvt_f32_i32_dpp v26, v26 row_shl:4 row_mask:0xf bank_mask:0xf bound_ctrl:1
	v_cvt_f32_i32_dpp v35, v35 row_shr:15 row_mask:0xf bank_mask:0xf bound_ctrl:1
	v_add_f32_e32 v20, v20, v21
	v_add_f32_e32 v20, v20, v22
	;; [unrolled: 1-line block ×4, first 2 shown]
	v_cvt_i32_f32_e32 v27, v24
	v_add_f32_e32 v25, v25, v26
	v_cvt_i32_f32_e32 v20, v22
	v_cvt_i32_f32_e32 v31, v35
	;; [unrolled: 1-line block ×3, first 2 shown]
	v_mov_b32_dpp v21, v27 row_bcast:31 row_mask:0xf bank_mask:0xf bound_ctrl:1
	v_cvt_f32_i32_dpp v27, v20 row_shl:4 row_mask:0xf bank_mask:0xf bound_ctrl:1
	v_cvt_f32_i32_dpp v23, v31 row_bcast:15 row_mask:0xf bank_mask:0xf bound_ctrl:1
	v_cvt_f32_i32_dpp v26, v26 row_shl:8 row_mask:0xf bank_mask:0xf bound_ctrl:1
	v_cvt_i32_f32_e32 v17, v17
	v_add_f32_e32 v22, v22, v27
	v_cvt_i32_f32_e32 v18, v18
	v_add_f32_e32 v20, v35, v23
	v_add_f32_e32 v23, v25, v26
	v_cvt_i32_f32_e32 v19, v19
	v_cvt_i32_f32_e32 v25, v22
	v_cvt_f32_i32_dpp v17, v17 row_shl:1 row_mask:0xf bank_mask:0xf bound_ctrl:1
	v_cvt_f32_i32_dpp v18, v18 row_shl:2 row_mask:0xf bank_mask:0xf bound_ctrl:1
	;; [unrolled: 1-line block ×4, first 2 shown]
	v_add_f32_e32 v16, v16, v17
	v_add_f32_e32 v16, v16, v18
	;; [unrolled: 1-line block ×4, first 2 shown]
	v_cvt_i32_f32_e32 v17, v16
	v_cvt_i32_f32_e32 v19, v19
	;; [unrolled: 1-line block ×7, first 2 shown]
	v_cvt_f32_i32_dpp v17, v17 row_shl:4 row_mask:0xf bank_mask:0xf bound_ctrl:1
	v_cvt_i32_f32_e32 v22, v20
	v_cvt_f32_i32_dpp v19, v19 row_shr:15 row_mask:0xf bank_mask:0xf bound_ctrl:1
	v_cvt_f32_i32_dpp v1, v1 row_shl:1 row_mask:0xf bank_mask:0xf bound_ctrl:1
	v_cvt_f32_i32_dpp v13, v13 row_shl:1 row_mask:0xf bank_mask:0xf bound_ctrl:1
	v_cvt_i32_f32_e32 v9, v9
	v_cvt_f32_i32_dpp v2, v2 row_shl:2 row_mask:0xf bank_mask:0xf bound_ctrl:1
	v_cvt_i32_f32_e32 v3, v3
	;; [unrolled: 2-line block ×4, first 2 shown]
	v_add_f32_e32 v25, v16, v17
	v_mov_b32_dpp v17, v22 row_bcast:31 row_mask:0xf bank_mask:0xf bound_ctrl:1
	v_cvt_i32_f32_e32 v22, v19
	v_add_f32_e32 v0, v0, v1
	v_add_f32_e32 v12, v12, v13
	v_cvt_f32_i32_dpp v9, v9 row_shl:1 row_mask:0xf bank_mask:0xf bound_ctrl:1
	v_add_f32_e32 v0, v0, v2
	v_cvt_f32_i32_dpp v1, v3 row_shl:3 row_mask:0xf bank_mask:0xf bound_ctrl:1
	v_cvt_i32_f32_e32 v2, v5
	v_add_f32_e32 v12, v12, v14
	v_cvt_f32_i32_dpp v10, v10 row_shl:2 row_mask:0xf bank_mask:0xf bound_ctrl:1
	v_cvt_i32_f32_e32 v3, v6
	;; [unrolled: 3-line block ×3, first 2 shown]
	v_cvt_f32_i32_dpp v22, v22 row_bcast:15 row_mask:0xf bank_mask:0xf bound_ctrl:1
	v_cvt_i32_f32_e32 v12, v15
	v_add_f32_e32 v8, v8, v9
	v_add_f32_e32 v0, v0, v1
	v_cvt_f32_i32_dpp v1, v2 row_shl:1 row_mask:0xf bank_mask:0xf bound_ctrl:1
	v_add_f32_e32 v8, v8, v10
	v_cvt_f32_i32_dpp v2, v3 row_shl:2 row_mask:0xf bank_mask:0xf bound_ctrl:1
	v_add_f32_e32 v9, v8, v11
	v_cvt_f32_i32_dpp v3, v5 row_shl:3 row_mask:0xf bank_mask:0xf bound_ctrl:1
	v_add_f32_e32 v13, v19, v22
	v_cvt_f32_i32_dpp v19, v12 row_shl:4 row_mask:0xf bank_mask:0xf bound_ctrl:1
	v_cvt_i32_f32_e32 v11, v9
	v_add_f32_e32 v1, v4, v1
	v_add_f32_e32 v1, v1, v2
	;; [unrolled: 1-line block ×4, first 2 shown]
	v_cvt_f32_i32_dpp v11, v11 row_shl:4 row_mask:0xf bank_mask:0xf bound_ctrl:1
	v_cvt_i32_f32_e32 v5, v0
	v_cvt_i32_f32_e32 v2, v1
	;; [unrolled: 1-line block ×4, first 2 shown]
	v_add_f32_e32 v9, v9, v11
	v_cvt_f32_i32_dpp v4, v5 row_shl:4 row_mask:0xf bank_mask:0xf bound_ctrl:1
	v_cvt_f32_i32_dpp v2, v2 row_shl:4 row_mask:0xf bank_mask:0xf bound_ctrl:1
	v_cvt_f32_i32_dpp v18, v23 row_shr:15 row_mask:0xf bank_mask:0xf bound_ctrl:1
	v_cvt_f32_i32_dpp v19, v19 row_shl:8 row_mask:0xf bank_mask:0xf bound_ctrl:1
	v_cvt_i32_f32_e32 v11, v9
	v_add_f32_e32 v0, v0, v4
	v_add_f32_e32 v1, v1, v2
	v_cvt_i32_f32_e32 v23, v18
	v_cvt_i32_f32_e32 v16, v25
	v_add_f32_e32 v15, v15, v19
	v_cvt_f32_i32_dpp v3, v11 row_shl:8 row_mask:0xf bank_mask:0xf bound_ctrl:1
	v_cvt_i32_f32_e32 v4, v0
	v_cvt_i32_f32_e32 v2, v1
	;; [unrolled: 1-line block ×3, first 2 shown]
	v_cvt_f32_i32_dpp v23, v23 row_bcast:15 row_mask:0xf bank_mask:0xf bound_ctrl:1
	v_cvt_f32_i32_dpp v26, v16 row_shl:8 row_mask:0xf bank_mask:0xf bound_ctrl:1
	v_add_f32_e32 v3, v9, v3
	v_cvt_f32_i32_dpp v4, v4 row_shl:8 row_mask:0xf bank_mask:0xf bound_ctrl:1
	v_cvt_f32_i32_dpp v2, v2 row_shl:8 row_mask:0xf bank_mask:0xf bound_ctrl:1
	v_cvt_f32_i32_dpp v5, v15 row_shr:15 row_mask:0xf bank_mask:0xf bound_ctrl:1
	v_cvt_i32_f32_e32 v3, v3
	v_add_f32_e32 v16, v18, v23
	v_add_f32_e32 v23, v25, v26
	;; [unrolled: 1-line block ×4, first 2 shown]
	v_cvt_i32_f32_e32 v23, v23
	v_cvt_i32_f32_e32 v6, v5
	v_cvt_f32_i32_dpp v3, v3 row_shr:15 row_mask:0xf bank_mask:0xf bound_ctrl:1
	v_cvt_i32_f32_e32 v0, v0
	v_cvt_i32_f32_e32 v1, v1
	v_cvt_f32_i32_dpp v23, v23 row_shr:15 row_mask:0xf bank_mask:0xf bound_ctrl:1
	v_cvt_f32_i32_dpp v2, v6 row_bcast:15 row_mask:0xf bank_mask:0xf bound_ctrl:1
	v_cvt_f32_i32_dpp v0, v0 row_shr:15 row_mask:0xf bank_mask:0xf bound_ctrl:1
	v_cvt_i32_f32_e32 v4, v3
	v_cvt_f32_i32_dpp v1, v1 row_shr:15 row_mask:0xf bank_mask:0xf bound_ctrl:1
	v_cvt_i32_f32_e32 v18, v16
	v_cvt_i32_f32_e32 v25, v23
	v_add_f32_e32 v9, v5, v2
	v_cvt_i32_f32_e32 v2, v0
	v_cvt_f32_i32_dpp v4, v4 row_bcast:15 row_mask:0xf bank_mask:0xf bound_ctrl:1
	v_cvt_i32_f32_e32 v5, v1
	v_mov_b32_dpp v14, v18 row_bcast:31 row_mask:0xf bank_mask:0xf bound_ctrl:1
	v_cvt_f32_i32_dpp v18, v25 row_bcast:15 row_mask:0xf bank_mask:0xf bound_ctrl:1
	v_cvt_f32_i32_dpp v2, v2 row_bcast:15 row_mask:0xf bank_mask:0xf bound_ctrl:1
	v_add_f32_e32 v6, v3, v4
	v_cvt_f32_i32_dpp v3, v5 row_bcast:15 row_mask:0xf bank_mask:0xf bound_ctrl:1
	v_add_f32_e32 v12, v23, v18
	v_add_f32_e32 v4, v0, v2
	v_cvt_i32_f32_e32 v22, v13
	v_add_f32_e32 v2, v1, v3
	v_cvt_i32_f32_e32 v18, v12
	v_cvt_i32_f32_e32 v7, v9
	;; [unrolled: 1-line block ×5, first 2 shown]
	v_mov_b32_dpp v10, v22 row_bcast:31 row_mask:0xf bank_mask:0xf bound_ctrl:1
	v_mov_b32_dpp v8, v18 row_bcast:31 row_mask:0xf bank_mask:0xf bound_ctrl:1
	;; [unrolled: 1-line block ×6, first 2 shown]
	s_and_saveexec_b64 s[20:21], s[0:1]
	s_cbranch_execz .LBB227_13
; %bb.20:                               ;   in Loop: Header=BB227_14 Depth=1
	s_andn2_b64 vcc, exec, s[18:19]
	v_mov_b32_e32 v0, 0
	v_mov_b32_e32 v35, 0
	;; [unrolled: 1-line block ×12, first 2 shown]
	s_cbranch_vccnz .LBB227_22
; %bb.21:                               ;   in Loop: Header=BB227_14 Depth=1
	v_mul_hi_u32 v0, v72, v89
	v_mul_lo_u32 v0, v0, s12
	v_sub_u32_e32 v0, v72, v0
	v_subrev_u32_e32 v1, s12, v0
	v_cmp_le_u32_e32 vcc, s12, v0
	v_mov_b32_e32 v23, v75
	v_mov_b32_e32 v41, v75
	v_cndmask_b32_e32 v0, v0, v1, vcc
	v_subrev_u32_e32 v1, s12, v0
	v_cmp_le_u32_e32 vcc, s12, v0
	v_mov_b32_e32 v45, v75
	s_nop 0
	v_cndmask_b32_e32 v74, v0, v1, vcc
	v_or_b32_e32 v0, 1, v72
	v_mul_hi_u32 v1, v0, v89
	v_mul_lo_u32 v1, v1, s12
	v_sub_u32_e32 v0, v0, v1
	v_subrev_u32_e32 v1, s12, v0
	v_cmp_le_u32_e32 vcc, s12, v0
	v_lshl_add_u64 v[18:19], v[74:75], 1, s[8:9]
	s_nop 0
	v_cndmask_b32_e32 v0, v0, v1, vcc
	v_subrev_u32_e32 v1, s12, v0
	v_cmp_le_u32_e32 vcc, s12, v0
	s_nop 1
	v_cndmask_b32_e32 v22, v0, v1, vcc
	v_or_b32_e32 v0, 2, v72
	v_mul_hi_u32 v1, v0, v89
	v_mul_lo_u32 v1, v1, s12
	v_sub_u32_e32 v0, v0, v1
	v_subrev_u32_e32 v1, s12, v0
	v_cmp_le_u32_e32 vcc, s12, v0
	v_lshl_add_u64 v[38:39], v[22:23], 1, s[8:9]
	s_nop 0
	v_cndmask_b32_e32 v0, v0, v1, vcc
	v_subrev_u32_e32 v1, s12, v0
	v_cmp_le_u32_e32 vcc, s12, v0
	;; [unrolled: 13-line block ×3, first 2 shown]
	s_nop 1
	v_cndmask_b32_e32 v44, v0, v1, vcc
	v_add_u32_e32 v0, s26, v74
	v_mov_b32_e32 v1, v75
	v_lshl_add_u64 v[48:49], v[0:1], 1, s[8:9]
	v_add_u32_e32 v0, s26, v22
	v_lshl_add_u64 v[50:51], v[0:1], 1, s[8:9]
	v_add_u32_e32 v0, s26, v40
	v_lshl_add_u64 v[52:53], v[0:1], 1, s[8:9]
	v_add_u32_e32 v0, s26, v44
	v_lshl_add_u64 v[46:47], v[44:45], 1, s[8:9]
	v_lshl_add_u64 v[54:55], v[0:1], 1, s[8:9]
	global_load_ushort v0, v[18:19], off
	global_load_ushort v35, v[38:39], off
	global_load_ushort v34, v[42:43], off
	global_load_ushort v31, v[46:47], off
	global_load_ushort v27, v[48:49], off
	global_load_ushort v26, v[50:51], off
	global_load_ushort v25, v[52:53], off
	global_load_ushort v23, v[54:55], off
	v_add_u32_e32 v74, s27, v74
	v_lshl_add_u64 v[38:39], v[74:75], 1, s[8:9]
	v_add_u32_e32 v74, s27, v22
	v_lshl_add_u64 v[42:43], v[74:75], 1, s[8:9]
	;; [unrolled: 2-line block ×4, first 2 shown]
	global_load_ushort v22, v[38:39], off
	global_load_ushort v19, v[42:43], off
	;; [unrolled: 1-line block ×4, first 2 shown]
.LBB227_22:                             ;   in Loop: Header=BB227_14 Depth=1
	v_cvt_f32_i32_e32 v1, v33
	s_waitcnt vmcnt(11)
	v_lshlrev_b32_e32 v0, 16, v0
                                        ; implicit-def: $vgpr33
	v_add_f32_e32 v1, v36, v1
	v_add_f32_e32 v0, v1, v0
	v_and_b32_e32 v1, 0x7f800000, v0
	v_cmp_ne_u32_e32 vcc, s29, v1
	s_and_saveexec_b64 s[22:23], vcc
	s_xor_b64 s[22:23], exec, s[22:23]
; %bb.23:                               ;   in Loop: Header=BB227_14 Depth=1
	v_bfe_u32 v1, v0, 16, 1
	v_add3_u32 v33, v0, v1, s30
                                        ; implicit-def: $vgpr0
; %bb.24:                               ;   in Loop: Header=BB227_14 Depth=1
	s_andn2_saveexec_b64 s[22:23], s[22:23]
; %bb.25:                               ;   in Loop: Header=BB227_14 Depth=1
	v_or_b32_e32 v1, 0x10000, v0
	v_cmp_eq_u32_sdwa vcc, v0, v75 src0_sel:WORD_0 src1_sel:DWORD
	s_nop 1
	v_cndmask_b32_e32 v33, v1, v0, vcc
; %bb.26:                               ;   in Loop: Header=BB227_14 Depth=1
	s_or_b64 exec, exec, s[22:23]
	v_cvt_f32_i32_e32 v30, v30
	v_mov_b32_e32 v73, v75
	v_lshl_add_u64 v[0:1], v[72:73], 1, s[10:11]
	global_store_short_d16_hi v[0:1], v33, off
	v_add_f32_e32 v30, v32, v30
	s_waitcnt vmcnt(11)
	v_lshlrev_b32_e32 v32, 16, v35
	v_add_f32_e32 v30, v30, v32
	v_and_b32_e32 v32, 0x7f800000, v30
	v_cmp_ne_u32_e32 vcc, s29, v32
                                        ; implicit-def: $vgpr32
	s_and_saveexec_b64 s[22:23], vcc
	s_xor_b64 s[22:23], exec, s[22:23]
; %bb.27:                               ;   in Loop: Header=BB227_14 Depth=1
	v_bfe_u32 v32, v30, 16, 1
	v_add3_u32 v32, v30, v32, s30
                                        ; implicit-def: $vgpr30
; %bb.28:                               ;   in Loop: Header=BB227_14 Depth=1
	s_andn2_saveexec_b64 s[22:23], s[22:23]
; %bb.29:                               ;   in Loop: Header=BB227_14 Depth=1
	v_or_b32_e32 v32, 0x10000, v30
	v_cmp_eq_u32_sdwa vcc, v30, v75 src0_sel:WORD_0 src1_sel:DWORD
	s_nop 1
	v_cndmask_b32_e32 v32, v32, v30, vcc
; %bb.30:                               ;   in Loop: Header=BB227_14 Depth=1
	s_or_b64 exec, exec, s[22:23]
	v_cvt_f32_i32_e32 v29, v29
	global_store_short_d16_hi v[0:1], v32, off offset:2
	v_add_f32_e32 v28, v28, v29
	s_waitcnt vmcnt(11)
	v_lshlrev_b32_e32 v29, 16, v34
	v_add_f32_e32 v28, v28, v29
	v_and_b32_e32 v29, 0x7f800000, v28
	v_cmp_ne_u32_e32 vcc, s29, v29
                                        ; implicit-def: $vgpr29
	s_and_saveexec_b64 s[22:23], vcc
	s_xor_b64 s[22:23], exec, s[22:23]
; %bb.31:                               ;   in Loop: Header=BB227_14 Depth=1
	v_bfe_u32 v29, v28, 16, 1
	v_add3_u32 v29, v28, v29, s30
                                        ; implicit-def: $vgpr28
; %bb.32:                               ;   in Loop: Header=BB227_14 Depth=1
	s_andn2_saveexec_b64 s[22:23], s[22:23]
; %bb.33:                               ;   in Loop: Header=BB227_14 Depth=1
	v_or_b32_e32 v29, 0x10000, v28
	v_cmp_eq_u32_sdwa vcc, v28, v75 src0_sel:WORD_0 src1_sel:DWORD
	s_nop 1
	v_cndmask_b32_e32 v29, v29, v28, vcc
; %bb.34:                               ;   in Loop: Header=BB227_14 Depth=1
	s_or_b64 exec, exec, s[22:23]
	v_cvt_f32_i32_e32 v21, v21
	global_store_short_d16_hi v[0:1], v29, off offset:4
	v_add_f32_e32 v21, v24, v21
	s_waitcnt vmcnt(11)
	v_lshlrev_b32_e32 v24, 16, v31
	v_add_f32_e32 v21, v21, v24
	v_and_b32_e32 v24, 0x7f800000, v21
	v_cmp_ne_u32_e32 vcc, s29, v24
                                        ; implicit-def: $vgpr24
	s_and_saveexec_b64 s[22:23], vcc
	s_xor_b64 s[22:23], exec, s[22:23]
; %bb.35:                               ;   in Loop: Header=BB227_14 Depth=1
	v_bfe_u32 v24, v21, 16, 1
	v_add3_u32 v24, v21, v24, s30
                                        ; implicit-def: $vgpr21
; %bb.36:                               ;   in Loop: Header=BB227_14 Depth=1
	s_andn2_saveexec_b64 s[22:23], s[22:23]
; %bb.37:                               ;   in Loop: Header=BB227_14 Depth=1
	v_or_b32_e32 v24, 0x10000, v21
	v_cmp_eq_u32_sdwa vcc, v21, v75 src0_sel:WORD_0 src1_sel:DWORD
	s_nop 1
	v_cndmask_b32_e32 v24, v24, v21, vcc
; %bb.38:                               ;   in Loop: Header=BB227_14 Depth=1
	s_or_b64 exec, exec, s[22:23]
	v_cvt_f32_i32_e32 v17, v17
	global_store_short_d16_hi v[0:1], v24, off offset:6
	s_waitcnt vmcnt(11)
	v_lshlrev_b32_e32 v1, 16, v27
	v_add_f32_e32 v0, v20, v17
	v_add_f32_e32 v1, v0, v1
	v_and_b32_e32 v0, 0x7f800000, v1
	v_cmp_ne_u32_e32 vcc, s29, v0
                                        ; implicit-def: $vgpr0
	s_and_saveexec_b64 s[22:23], vcc
	s_xor_b64 s[22:23], exec, s[22:23]
; %bb.39:                               ;   in Loop: Header=BB227_14 Depth=1
	v_bfe_u32 v0, v1, 16, 1
	v_add3_u32 v0, v1, v0, s30
                                        ; implicit-def: $vgpr1
; %bb.40:                               ;   in Loop: Header=BB227_14 Depth=1
	s_andn2_saveexec_b64 s[22:23], s[22:23]
; %bb.41:                               ;   in Loop: Header=BB227_14 Depth=1
	v_or_b32_e32 v0, 0x10000, v1
	v_cmp_eq_u32_sdwa vcc, v1, v75 src0_sel:WORD_0 src1_sel:DWORD
	s_nop 1
	v_cndmask_b32_e32 v0, v0, v1, vcc
; %bb.42:                               ;   in Loop: Header=BB227_14 Depth=1
	s_or_b64 exec, exec, s[22:23]
	v_cvt_f32_i32_e32 v1, v14
	v_add_u32_e32 v74, s7, v72
	v_lshl_add_u64 v[20:21], v[74:75], 1, s[10:11]
	global_store_short_d16_hi v[20:21], v0, off
	v_add_f32_e32 v0, v16, v1
	s_waitcnt vmcnt(11)
	v_lshlrev_b32_e32 v1, 16, v26
	v_add_f32_e32 v1, v0, v1
	v_and_b32_e32 v0, 0x7f800000, v1
	v_cmp_ne_u32_e32 vcc, s29, v0
                                        ; implicit-def: $vgpr0
	s_and_saveexec_b64 s[22:23], vcc
	s_xor_b64 s[22:23], exec, s[22:23]
; %bb.43:                               ;   in Loop: Header=BB227_14 Depth=1
	v_bfe_u32 v0, v1, 16, 1
	v_add3_u32 v0, v1, v0, s30
                                        ; implicit-def: $vgpr1
; %bb.44:                               ;   in Loop: Header=BB227_14 Depth=1
	s_andn2_saveexec_b64 s[22:23], s[22:23]
; %bb.45:                               ;   in Loop: Header=BB227_14 Depth=1
	v_or_b32_e32 v0, 0x10000, v1
	v_cmp_eq_u32_sdwa vcc, v1, v75 src0_sel:WORD_0 src1_sel:DWORD
	s_nop 1
	v_cndmask_b32_e32 v0, v0, v1, vcc
; %bb.46:                               ;   in Loop: Header=BB227_14 Depth=1
	s_or_b64 exec, exec, s[22:23]
	v_cvt_f32_i32_e32 v1, v10
	v_add_u32_e32 v16, 1, v74
	v_mov_b32_e32 v17, v75
	v_lshl_add_u64 v[16:17], v[16:17], 1, s[10:11]
	v_add_f32_e32 v1, v13, v1
	global_store_short_d16_hi v[16:17], v0, off
	s_waitcnt vmcnt(11)
	v_lshlrev_b32_e32 v0, 16, v25
	v_add_f32_e32 v1, v1, v0
	v_and_b32_e32 v0, 0x7f800000, v1
	v_cmp_ne_u32_e32 vcc, s29, v0
                                        ; implicit-def: $vgpr0
	s_and_saveexec_b64 s[22:23], vcc
	s_xor_b64 s[22:23], exec, s[22:23]
; %bb.47:                               ;   in Loop: Header=BB227_14 Depth=1
	v_bfe_u32 v0, v1, 16, 1
	v_add3_u32 v0, v1, v0, s30
                                        ; implicit-def: $vgpr1
; %bb.48:                               ;   in Loop: Header=BB227_14 Depth=1
	s_andn2_saveexec_b64 s[22:23], s[22:23]
; %bb.49:                               ;   in Loop: Header=BB227_14 Depth=1
	v_or_b32_e32 v0, 0x10000, v1
	v_cmp_eq_u32_sdwa vcc, v1, v75 src0_sel:WORD_0 src1_sel:DWORD
	s_nop 1
	v_cndmask_b32_e32 v0, v0, v1, vcc
; %bb.50:                               ;   in Loop: Header=BB227_14 Depth=1
	s_or_b64 exec, exec, s[22:23]
	v_cvt_f32_i32_e32 v1, v8
	v_add_u32_e32 v16, 2, v74
	v_mov_b32_e32 v17, v75
	v_lshl_add_u64 v[16:17], v[16:17], 1, s[10:11]
	v_add_f32_e32 v1, v12, v1
	global_store_short_d16_hi v[16:17], v0, off
	;; [unrolled: 27-line block ×3, first 2 shown]
	s_waitcnt vmcnt(11)
	v_lshlrev_b32_e32 v0, 16, v22
	v_add_f32_e32 v0, v1, v0
	v_and_b32_e32 v1, 0x7f800000, v0
	v_cmp_ne_u32_e32 vcc, s29, v1
                                        ; implicit-def: $vgpr8
	s_and_saveexec_b64 s[22:23], vcc
	s_xor_b64 s[22:23], exec, s[22:23]
; %bb.55:                               ;   in Loop: Header=BB227_14 Depth=1
	v_bfe_u32 v1, v0, 16, 1
	v_add3_u32 v8, v0, v1, s30
                                        ; implicit-def: $vgpr0
; %bb.56:                               ;   in Loop: Header=BB227_14 Depth=1
	s_andn2_saveexec_b64 s[22:23], s[22:23]
; %bb.57:                               ;   in Loop: Header=BB227_14 Depth=1
	v_or_b32_e32 v1, 0x10000, v0
	v_cmp_eq_u32_sdwa vcc, v0, v75 src0_sel:WORD_0 src1_sel:DWORD
	s_nop 1
	v_cndmask_b32_e32 v8, v1, v0, vcc
; %bb.58:                               ;   in Loop: Header=BB227_14 Depth=1
	s_or_b64 exec, exec, s[22:23]
	v_cvt_f32_i32_e32 v7, v7
	v_add_u32_e32 v74, s7, v74
	v_lshl_add_u64 v[0:1], v[74:75], 1, s[10:11]
	global_store_short_d16_hi v[0:1], v8, off
	v_add_f32_e32 v6, v6, v7
	s_waitcnt vmcnt(11)
	v_lshlrev_b32_e32 v7, 16, v19
	v_add_f32_e32 v6, v6, v7
	v_and_b32_e32 v7, 0x7f800000, v6
	v_cmp_ne_u32_e32 vcc, s29, v7
                                        ; implicit-def: $vgpr7
	s_and_saveexec_b64 s[22:23], vcc
	s_xor_b64 s[22:23], exec, s[22:23]
; %bb.59:                               ;   in Loop: Header=BB227_14 Depth=1
	v_bfe_u32 v7, v6, 16, 1
	v_add3_u32 v7, v6, v7, s30
                                        ; implicit-def: $vgpr6
; %bb.60:                               ;   in Loop: Header=BB227_14 Depth=1
	s_andn2_saveexec_b64 s[22:23], s[22:23]
; %bb.61:                               ;   in Loop: Header=BB227_14 Depth=1
	v_or_b32_e32 v7, 0x10000, v6
	v_cmp_eq_u32_sdwa vcc, v6, v75 src0_sel:WORD_0 src1_sel:DWORD
	s_nop 1
	v_cndmask_b32_e32 v7, v7, v6, vcc
; %bb.62:                               ;   in Loop: Header=BB227_14 Depth=1
	s_or_b64 exec, exec, s[22:23]
	v_cvt_f32_i32_e32 v5, v5
	global_store_short_d16_hi v[0:1], v7, off offset:2
	s_waitcnt vmcnt(11)
	v_lshlrev_b32_e32 v1, 16, v18
	v_add_f32_e32 v0, v4, v5
	v_add_f32_e32 v1, v0, v1
	v_and_b32_e32 v0, 0x7f800000, v1
	v_cmp_ne_u32_e32 vcc, s29, v0
                                        ; implicit-def: $vgpr0
	s_and_saveexec_b64 s[22:23], vcc
	s_xor_b64 s[22:23], exec, s[22:23]
; %bb.63:                               ;   in Loop: Header=BB227_14 Depth=1
	v_bfe_u32 v0, v1, 16, 1
	v_add3_u32 v0, v1, v0, s30
                                        ; implicit-def: $vgpr1
; %bb.64:                               ;   in Loop: Header=BB227_14 Depth=1
	s_andn2_saveexec_b64 s[22:23], s[22:23]
; %bb.65:                               ;   in Loop: Header=BB227_14 Depth=1
	v_or_b32_e32 v0, 0x10000, v1
	v_cmp_eq_u32_sdwa vcc, v1, v75 src0_sel:WORD_0 src1_sel:DWORD
	s_nop 1
	v_cndmask_b32_e32 v0, v0, v1, vcc
; %bb.66:                               ;   in Loop: Header=BB227_14 Depth=1
	s_or_b64 exec, exec, s[22:23]
	v_cvt_f32_i32_e32 v1, v3
	v_add_u32_e32 v4, 2, v74
	v_mov_b32_e32 v5, v75
	v_lshl_add_u64 v[4:5], v[4:5], 1, s[10:11]
	v_add_f32_e32 v1, v2, v1
	global_store_short_d16_hi v[4:5], v0, off
	s_waitcnt vmcnt(11)
	v_lshlrev_b32_e32 v0, 16, v15
	v_add_f32_e32 v1, v1, v0
	v_and_b32_e32 v0, 0x7f800000, v1
	v_cmp_ne_u32_e32 vcc, s29, v0
                                        ; implicit-def: $vgpr0
	s_and_saveexec_b64 s[22:23], vcc
	s_xor_b64 s[22:23], exec, s[22:23]
; %bb.67:                               ;   in Loop: Header=BB227_14 Depth=1
	v_bfe_u32 v0, v1, 16, 1
	v_add3_u32 v0, v1, v0, s30
                                        ; implicit-def: $vgpr1
; %bb.68:                               ;   in Loop: Header=BB227_14 Depth=1
	s_andn2_saveexec_b64 s[22:23], s[22:23]
	s_cbranch_execz .LBB227_12
; %bb.69:                               ;   in Loop: Header=BB227_14 Depth=1
	v_or_b32_e32 v0, 0x10000, v1
	v_cmp_eq_u32_sdwa vcc, v1, v75 src0_sel:WORD_0 src1_sel:DWORD
	s_nop 1
	v_cndmask_b32_e32 v0, v0, v1, vcc
	s_branch .LBB227_12
.LBB227_70:
	s_endpgm
	.section	.rodata,"a",@progbits
	.p2align	6, 0x0
	.amdhsa_kernel _Z16wvSplitK_hf_sml_I14__hip_bfloat16Li32ELi4ELi16ELi8ELi1ELi3EEviiiiiiPKT_S3_S3_PS1_ii
		.amdhsa_group_segment_fixed_size 65536
		.amdhsa_private_segment_fixed_size 0
		.amdhsa_kernarg_size 64
		.amdhsa_user_sgpr_count 2
		.amdhsa_user_sgpr_dispatch_ptr 0
		.amdhsa_user_sgpr_queue_ptr 0
		.amdhsa_user_sgpr_kernarg_segment_ptr 1
		.amdhsa_user_sgpr_dispatch_id 0
		.amdhsa_user_sgpr_kernarg_preload_length 0
		.amdhsa_user_sgpr_kernarg_preload_offset 0
		.amdhsa_user_sgpr_private_segment_size 0
		.amdhsa_uses_dynamic_stack 0
		.amdhsa_enable_private_segment 0
		.amdhsa_system_sgpr_workgroup_id_x 1
		.amdhsa_system_sgpr_workgroup_id_y 0
		.amdhsa_system_sgpr_workgroup_id_z 0
		.amdhsa_system_sgpr_workgroup_info 0
		.amdhsa_system_vgpr_workitem_id 1
		.amdhsa_next_free_vgpr 91
		.amdhsa_next_free_sgpr 31
		.amdhsa_accum_offset 92
		.amdhsa_reserve_vcc 1
		.amdhsa_float_round_mode_32 0
		.amdhsa_float_round_mode_16_64 0
		.amdhsa_float_denorm_mode_32 3
		.amdhsa_float_denorm_mode_16_64 3
		.amdhsa_dx10_clamp 1
		.amdhsa_ieee_mode 1
		.amdhsa_fp16_overflow 0
		.amdhsa_tg_split 0
		.amdhsa_exception_fp_ieee_invalid_op 0
		.amdhsa_exception_fp_denorm_src 0
		.amdhsa_exception_fp_ieee_div_zero 0
		.amdhsa_exception_fp_ieee_overflow 0
		.amdhsa_exception_fp_ieee_underflow 0
		.amdhsa_exception_fp_ieee_inexact 0
		.amdhsa_exception_int_div_zero 0
	.end_amdhsa_kernel
	.section	.text._Z16wvSplitK_hf_sml_I14__hip_bfloat16Li32ELi4ELi16ELi8ELi1ELi3EEviiiiiiPKT_S3_S3_PS1_ii,"axG",@progbits,_Z16wvSplitK_hf_sml_I14__hip_bfloat16Li32ELi4ELi16ELi8ELi1ELi3EEviiiiiiPKT_S3_S3_PS1_ii,comdat
.Lfunc_end227:
	.size	_Z16wvSplitK_hf_sml_I14__hip_bfloat16Li32ELi4ELi16ELi8ELi1ELi3EEviiiiiiPKT_S3_S3_PS1_ii, .Lfunc_end227-_Z16wvSplitK_hf_sml_I14__hip_bfloat16Li32ELi4ELi16ELi8ELi1ELi3EEviiiiiiPKT_S3_S3_PS1_ii
                                        ; -- End function
	.section	.AMDGPU.csdata,"",@progbits
; Kernel info:
; codeLenInByte = 5024
; NumSgprs: 37
; NumVgprs: 91
; NumAgprs: 0
; TotalNumVgprs: 91
; ScratchSize: 0
; MemoryBound: 0
; FloatMode: 240
; IeeeMode: 1
; LDSByteSize: 65536 bytes/workgroup (compile time only)
; SGPRBlocks: 4
; VGPRBlocks: 11
; NumSGPRsForWavesPerEU: 37
; NumVGPRsForWavesPerEU: 91
; AccumOffset: 92
; Occupancy: 2
; WaveLimiterHint : 0
; COMPUTE_PGM_RSRC2:SCRATCH_EN: 0
; COMPUTE_PGM_RSRC2:USER_SGPR: 2
; COMPUTE_PGM_RSRC2:TRAP_HANDLER: 0
; COMPUTE_PGM_RSRC2:TGID_X_EN: 1
; COMPUTE_PGM_RSRC2:TGID_Y_EN: 0
; COMPUTE_PGM_RSRC2:TGID_Z_EN: 0
; COMPUTE_PGM_RSRC2:TIDIG_COMP_CNT: 1
; COMPUTE_PGM_RSRC3_GFX90A:ACCUM_OFFSET: 22
; COMPUTE_PGM_RSRC3_GFX90A:TG_SPLIT: 0
	.section	.text._Z12wvSplitK_hf_I14__hip_bfloat16Li32ELi4ELi16ELi8ELi1ELi3EEviiiiiiPKT_S3_S3_PS1_ii,"axG",@progbits,_Z12wvSplitK_hf_I14__hip_bfloat16Li32ELi4ELi16ELi8ELi1ELi3EEviiiiiiPKT_S3_S3_PS1_ii,comdat
	.protected	_Z12wvSplitK_hf_I14__hip_bfloat16Li32ELi4ELi16ELi8ELi1ELi3EEviiiiiiPKT_S3_S3_PS1_ii ; -- Begin function _Z12wvSplitK_hf_I14__hip_bfloat16Li32ELi4ELi16ELi8ELi1ELi3EEviiiiiiPKT_S3_S3_PS1_ii
	.globl	_Z12wvSplitK_hf_I14__hip_bfloat16Li32ELi4ELi16ELi8ELi1ELi3EEviiiiiiPKT_S3_S3_PS1_ii
	.p2align	8
	.type	_Z12wvSplitK_hf_I14__hip_bfloat16Li32ELi4ELi16ELi8ELi1ELi3EEviiiiiiPKT_S3_S3_PS1_ii,@function
_Z12wvSplitK_hf_I14__hip_bfloat16Li32ELi4ELi16ELi8ELi1ELi3EEviiiiiiPKT_S3_S3_PS1_ii: ; @_Z12wvSplitK_hf_I14__hip_bfloat16Li32ELi4ELi16ELi8ELi1ELi3EEviiiiiiPKT_S3_S3_PS1_ii
; %bb.0:
	s_load_dwordx2 s[8:9], s[0:1], 0x38
	s_load_dwordx2 s[20:21], s[0:1], 0x20
	s_load_dwordx4 s[12:15], s[0:1], 0x0
	s_load_dwordx2 s[22:23], s[0:1], 0x10
	v_bfe_u32 v8, v0, 10, 10
	s_waitcnt lgkmcnt(0)
	s_mul_i32 s2, s2, s8
	v_add_lshl_u32 v82, s2, v8, 2
	s_mov_b32 s4, 1
	v_add_u32_e32 v1, 4, v82
	s_mov_b32 s5, s4
	v_cmp_gt_u32_e32 vcc, s15, v82
	v_cmp_le_u32_e64 s[2:3], s15, v1
	s_mov_b32 s6, s4
	s_mov_b32 s7, s4
	v_mov_b64_e32 v[2:3], s[4:5]
	s_and_b64 s[10:11], vcc, s[2:3]
	v_mov_b64_e32 v[4:5], s[6:7]
	s_and_saveexec_b64 s[2:3], s[10:11]
	s_cbranch_execz .LBB228_6
; %bb.1:
	s_add_i32 s24, s15, -4
	v_mov_b64_e32 v[2:3], s[4:5]
	v_cmp_ne_u32_e32 vcc, s24, v82
	v_mov_b64_e32 v[4:5], s[6:7]
	s_and_saveexec_b64 s[10:11], vcc
	s_cbranch_execz .LBB228_5
; %bb.2:
	v_subrev_u32_e32 v1, s24, v82
	v_cmp_lt_u32_e32 vcc, 1, v1
	s_mov_b64 s[16:17], 0
	s_mov_b64 s[18:19], 0
	v_cndmask_b32_e32 v6, 1, v1, vcc
	s_mov_b32 s5, s4
	s_mov_b32 s6, s4
	;; [unrolled: 1-line block ×3, first 2 shown]
.LBB228_3:                              ; =>This Inner Loop Header: Depth=1
	s_cmp_lg_u32 s18, 3
	s_cselect_b32 s7, s7, 0
	s_cmp_lg_u32 s18, 2
	s_cselect_b32 s6, s6, 0
	;; [unrolled: 2-line block ×4, first 2 shown]
	s_add_u32 s18, s18, 1
	s_addc_u32 s19, s19, 0
	v_cmp_eq_u32_e32 vcc, s18, v6
	v_mov_b64_e32 v[2:3], s[4:5]
	s_or_b64 s[16:17], vcc, s[16:17]
	v_mov_b64_e32 v[4:5], s[6:7]
	s_andn2_b64 exec, exec, s[16:17]
	s_cbranch_execnz .LBB228_3
; %bb.4:
	s_or_b64 exec, exec, s[16:17]
	v_mov_b32_e32 v82, s24
.LBB228_5:
	s_or_b64 exec, exec, s[10:11]
.LBB228_6:
	s_or_b64 exec, exec, s[2:3]
	v_and_b32_e32 v9, 0x3ff, v0
	v_lshlrev_b32_e32 v100, 3, v9
	s_mul_i32 s2, s14, 3
	v_lshl_add_u32 v10, v8, 8, v100
	s_min_u32 s4, s2, 0x8000
	v_cmp_gt_u32_e32 vcc, s4, v10
	s_and_saveexec_b64 s[2:3], vcc
	s_cbranch_execz .LBB228_15
; %bb.7:
	v_lshlrev_b32_e32 v0, 1, v10
	global_load_dwordx4 v[12:15], v0, s[20:21]
	v_add_u32_e32 v1, 0x1000, v10
	v_cmp_gt_u32_e32 vcc, s4, v1
	s_waitcnt vmcnt(0)
	ds_write_b128 v0, v[12:15]
	s_and_saveexec_b64 s[6:7], vcc
	s_xor_b64 s[6:7], exec, s[6:7]
	s_cbranch_execz .LBB228_15
; %bb.8:
	v_mov_b32_e32 v1, 0
	v_lshl_add_u64 v[6:7], s[20:21], 0, v[0:1]
	v_add_co_u32_e32 v12, vcc, 0x2000, v6
	v_add_u32_e32 v1, 0x2000, v10
	s_nop 0
	v_addc_co_u32_e32 v13, vcc, 0, v7, vcc
	global_load_dwordx4 v[12:15], v[12:13], off
	v_cmp_gt_u32_e32 vcc, s4, v1
	s_waitcnt vmcnt(0)
	ds_write_b128 v0, v[12:15] offset:8192
	s_and_saveexec_b64 s[6:7], vcc
	s_xor_b64 s[6:7], exec, s[6:7]
	s_cbranch_execz .LBB228_15
; %bb.9:
	v_add_co_u32_e32 v12, vcc, 0x4000, v6
	v_add_u32_e32 v1, 0x3000, v10
	s_nop 0
	v_addc_co_u32_e32 v13, vcc, 0, v7, vcc
	global_load_dwordx4 v[12:15], v[12:13], off
	v_cmp_gt_u32_e32 vcc, s4, v1
	s_waitcnt vmcnt(0)
	ds_write_b128 v0, v[12:15] offset:16384
	s_and_saveexec_b64 s[6:7], vcc
	s_xor_b64 s[6:7], exec, s[6:7]
	s_cbranch_execz .LBB228_15
; %bb.10:
	;; [unrolled: 12-line block ×6, first 2 shown]
	v_add_co_u32_e32 v6, vcc, 0xe000, v6
	s_nop 1
	v_addc_co_u32_e32 v7, vcc, 0, v7, vcc
	global_load_dwordx4 v[10:13], v[6:7], off
	s_waitcnt vmcnt(0)
	ds_write_b128 v0, v[10:13] offset:57344
.LBB228_15:
	s_or_b64 exec, exec, s[2:3]
	v_cmp_gt_u32_e32 vcc, s8, v8
	v_cmp_gt_u32_e64 s[2:3], s15, v82
	s_and_b64 s[2:3], vcc, s[2:3]
	s_waitcnt lgkmcnt(0)
	s_barrier
	s_and_saveexec_b64 s[4:5], s[2:3]
	s_cbranch_execz .LBB228_116
; %bb.16:
	s_load_dwordx4 s[16:19], s[0:1], 0x28
	s_load_dwordx2 s[24:25], s[0:1], 0x18
	s_cmp_lg_u32 s12, 0
	s_cselect_b64 s[2:3], -1, 0
	s_add_i32 s33, s12, -8
	s_add_i32 s38, s15, -1
	s_mul_i32 s4, s8, s9
	s_waitcnt lgkmcnt(0)
	s_cmp_lg_u64 s[16:17], 0
	s_cselect_b64 s[28:29], -1, 0
	s_lshl_b32 s39, s4, 2
	s_abs_i32 s4, s23
	v_cvt_f32_u32_e32 v0, s22
	v_cvt_f32_u32_e32 v1, s4
	s_sub_i32 s5, 0, s22
	s_add_i32 s23, s15, -4
	v_rcp_iflag_f32_e32 v0, v0
	v_rcp_iflag_f32_e32 v1, v1
	v_cmp_eq_u32_e64 s[0:1], 31, v9
	s_mov_b64 s[26:27], 0
	v_mul_f32_e32 v0, 0x4f7ffffe, v0
	v_mul_f32_e32 v1, 0x4f7ffffe, v1
	v_cvt_u32_f32_e32 v0, v0
	v_cvt_u32_f32_e32 v7, v1
	v_mov_b32_e32 v1, 0
	v_lshlrev_b32_e32 v102, 4, v9
	v_mul_lo_u32 v6, s5, v0
	s_sub_i32 s5, 0, s4
	v_readfirstlane_b32 s6, v7
	s_mul_i32 s5, s5, s6
	s_mul_hi_u32 s5, s6, s5
	s_add_i32 s6, s6, s5
	s_sub_i32 s5, 1, s4
	s_cmp_lt_u32 s4, 2
	s_cselect_b32 s5, s5, 1
	s_sub_i32 s7, s5, s4
	s_cmp_ge_u32 s5, s4
	s_cselect_b32 s40, s7, s5
	s_lshr_b32 s5, s6, 31
	s_mul_i32 s5, s5, s4
	s_sub_i32 s5, 2, s5
	s_sub_i32 s6, s5, s4
	s_cmp_ge_u32 s5, s4
	s_cselect_b32 s5, s6, s5
	s_sub_i32 s6, s5, s4
	v_mul_hi_u32 v6, v0, v6
	s_cmp_ge_u32 s5, s4
	v_add_u32_e32 v101, v0, v6
	s_cselect_b32 s41, s6, s5
	s_lshl_b32 s42, s14, 1
	v_cndmask_b32_e64 v0, 0, 1, s[2:3]
	s_mul_i32 s40, s40, s22
	s_mul_i32 s41, s41, s22
	v_add_u32_e32 v103, s42, v100
	s_lshl_b32 s43, s14, 2
	v_add_u32_e32 v104, s14, v100
	v_cmp_ne_u32_e64 s[2:3], 1, v0
	s_movk_i32 s14, 0x7fff
	s_mov_b32 s44, 0x7f800000
	s_branch .LBB228_19
.LBB228_17:                             ;   in Loop: Header=BB228_19 Depth=1
	s_or_b64 exec, exec, s[8:9]
	v_mov_b32_e32 v82, s23
.LBB228_18:                             ;   in Loop: Header=BB228_19 Depth=1
	s_or_b64 exec, exec, s[6:7]
	v_cmp_le_u32_e32 vcc, s15, v82
	s_or_b64 s[26:27], vcc, s[26:27]
	s_andn2_b64 exec, exec, s[26:27]
	s_cbranch_execz .LBB228_116
.LBB228_19:                             ; =>This Loop Header: Depth=1
                                        ;     Child Loop BB228_23 Depth 2
                                        ;     Child Loop BB228_114 Depth 2
	s_and_b64 vcc, exec, s[2:3]
	v_add_u32_e32 v88, 1, v82
	v_add_u32_e32 v86, 2, v82
	;; [unrolled: 1-line block ×3, first 2 shown]
	v_mov_b32_e32 v13, v1
	s_waitcnt vmcnt(0)
	v_mov_b32_e32 v12, v1
	v_mov_b32_e32 v11, v1
	v_mov_b32_e32 v10, v1
	v_mov_b32_e32 v9, v1
	v_mov_b32_e32 v8, v1
	v_mov_b32_e32 v7, v1
	v_mov_b32_e32 v6, v1
	v_mov_b32_e32 v17, v1
	v_mov_b32_e32 v16, v1
	v_mov_b32_e32 v15, v1
	v_mov_b32_e32 v14, v1
	v_mov_b32_e32 v21, v1
	v_mov_b32_e32 v20, v1
	v_mov_b32_e32 v19, v1
	v_mov_b32_e32 v18, v1
	v_mov_b32_e32 v53, v1
	v_mov_b32_e32 v52, v1
	v_mov_b32_e32 v51, v1
	v_mov_b32_e32 v50, v1
	v_mov_b32_e32 v49, v1
	v_mov_b32_e32 v48, v1
	v_mov_b32_e32 v47, v1
	v_mov_b32_e32 v46, v1
	v_mov_b32_e32 v45, v1
	v_mov_b32_e32 v44, v1
	v_mov_b32_e32 v43, v1
	v_mov_b32_e32 v42, v1
	v_mov_b32_e32 v41, v1
	v_mov_b32_e32 v40, v1
	v_mov_b32_e32 v39, v1
	v_mov_b32_e32 v38, v1
	v_mov_b32_e32 v37, v1
	v_mov_b32_e32 v36, v1
	v_mov_b32_e32 v35, v1
	v_mov_b32_e32 v34, v1
	v_mov_b32_e32 v33, v1
	v_mov_b32_e32 v32, v1
	v_mov_b32_e32 v31, v1
	v_mov_b32_e32 v30, v1
	v_mov_b32_e32 v29, v1
	v_mov_b32_e32 v28, v1
	v_mov_b32_e32 v27, v1
	v_mov_b32_e32 v26, v1
	v_mov_b32_e32 v25, v1
	v_mov_b32_e32 v24, v1
	v_mov_b32_e32 v23, v1
	v_mov_b32_e32 v22, v1
	s_cbranch_vccnz .LBB228_36
; %bb.20:                               ;   in Loop: Header=BB228_19 Depth=1
	v_min_u32_e32 v0, s38, v82
	v_mul_lo_u32 v90, v0, s13
	v_min_u32_e32 v0, s38, v88
	v_mul_lo_u32 v92, v0, s13
	;; [unrolled: 2-line block ×3, first 2 shown]
	v_min_u32_e32 v0, s38, v84
	v_mov_b32_e32 v22, 0
	v_mov_b32_e32 v91, v1
	;; [unrolled: 1-line block ×4, first 2 shown]
	v_mul_lo_u32 v96, v0, s13
	v_mov_b32_e32 v97, v1
	s_mov_b32 s4, 0
	v_mov_b32_e32 v83, v102
	s_mov_b32 s10, 0
	v_mov_b32_e32 v23, v22
	v_mov_b32_e32 v24, v22
	;; [unrolled: 1-line block ×47, first 2 shown]
	s_branch .LBB228_23
.LBB228_21:                             ;   in Loop: Header=BB228_23 Depth=2
	s_or_b64 exec, exec, s[8:9]
.LBB228_22:                             ;   in Loop: Header=BB228_23 Depth=2
	s_or_b64 exec, exec, s[6:7]
	s_waitcnt vmcnt(0) lgkmcnt(0)
	v_mfma_f32_4x4x4_16b_bf16 v[50:53], v[70:71], v[62:63], v[50:53]
	s_addk_i32 s10, 0x100
	v_mfma_f32_4x4x4_16b_bf16 v[46:49], v[70:71], v[58:59], v[46:49]
	v_add_u32_e32 v83, 0x200, v83
	v_mfma_f32_4x4x4_16b_bf16 v[42:45], v[70:71], v[66:67], v[42:45]
	s_cmp_ge_u32 s10, s12
	v_mfma_f32_4x4x4_16b_bf16 v[38:41], v[70:71], v[54:55], v[38:41]
	v_mfma_f32_4x4x4_16b_bf16 v[34:37], v[78:79], v[62:63], v[34:37]
	;; [unrolled: 1-line block ×21, first 2 shown]
	s_cbranch_scc1 .LBB228_36
.LBB228_23:                             ;   Parent Loop BB228_19 Depth=1
                                        ; =>  This Inner Loop Header: Depth=2
	v_add_u32_e32 v98, s10, v100
	v_min_u32_e32 v0, s33, v98
	v_lshl_add_u64 v[54:55], v[0:1], 1, s[24:25]
	v_lshl_add_u64 v[56:57], v[90:91], 1, v[54:55]
	;; [unrolled: 1-line block ×4, first 2 shown]
	global_load_dwordx4 v[62:65], v[56:57], off nt
	global_load_dwordx4 v[58:61], v[66:67], off nt
	v_lshl_add_u64 v[72:73], v[96:97], 1, v[54:55]
	global_load_dwordx4 v[66:69], v[70:71], off nt
	global_load_dwordx4 v[54:57], v[72:73], off nt
	s_mov_b32 s5, s4
	v_cmp_gt_u32_e32 vcc, s12, v98
	v_mov_b64_e32 v[70:71], s[4:5]
	v_mov_b32_e32 v75, 0
	v_mov_b32_e32 v74, 0
	;; [unrolled: 1-line block ×4, first 2 shown]
	v_mov_b64_e32 v[72:73], s[4:5]
	v_mov_b64_e32 v[78:79], s[4:5]
	;; [unrolled: 1-line block ×3, first 2 shown]
	s_and_saveexec_b64 s[6:7], vcc
	s_cbranch_execz .LBB228_22
; %bb.24:                               ;   in Loop: Header=BB228_23 Depth=2
	v_cmp_lt_u32_e32 vcc, s14, v98
                                        ; implicit-def: $vgpr70_vgpr71
	s_and_saveexec_b64 s[8:9], vcc
	s_xor_b64 s[8:9], exec, s[8:9]
	s_cbranch_execz .LBB228_26
; %bb.25:                               ;   in Loop: Header=BB228_23 Depth=2
	v_mov_b32_e32 v99, v1
	v_lshl_add_u64 v[70:71], v[98:99], 1, s[20:21]
	global_load_dwordx4 v[70:73], v[70:71], off
.LBB228_26:                             ;   in Loop: Header=BB228_23 Depth=2
	s_andn2_saveexec_b64 s[8:9], s[8:9]
	s_cbranch_execz .LBB228_28
; %bb.27:                               ;   in Loop: Header=BB228_23 Depth=2
	s_waitcnt vmcnt(0)
	ds_read_b128 v[70:73], v83
.LBB228_28:                             ;   in Loop: Header=BB228_23 Depth=2
	s_or_b64 exec, exec, s[8:9]
	v_add_u32_e32 v0, s10, v104
	v_cmp_lt_u32_e32 vcc, s14, v0
                                        ; implicit-def: $vgpr78_vgpr79
	s_and_saveexec_b64 s[8:9], vcc
	s_xor_b64 s[8:9], exec, s[8:9]
	s_cbranch_execz .LBB228_30
; %bb.29:                               ;   in Loop: Header=BB228_23 Depth=2
	v_lshl_add_u64 v[74:75], v[0:1], 1, s[20:21]
	global_load_dwordx4 v[78:81], v[74:75], off
.LBB228_30:                             ;   in Loop: Header=BB228_23 Depth=2
	s_andn2_saveexec_b64 s[8:9], s[8:9]
	s_cbranch_execz .LBB228_32
; %bb.31:                               ;   in Loop: Header=BB228_23 Depth=2
	v_add_u32_e32 v0, s42, v83
	s_waitcnt vmcnt(0)
	ds_read_b128 v[78:81], v0
.LBB228_32:                             ;   in Loop: Header=BB228_23 Depth=2
	s_or_b64 exec, exec, s[8:9]
	v_add_u32_e32 v0, s10, v103
	v_cmp_lt_u32_e32 vcc, s14, v0
                                        ; implicit-def: $vgpr75
	s_and_saveexec_b64 s[8:9], vcc
	s_xor_b64 s[8:9], exec, s[8:9]
	s_cbranch_execz .LBB228_34
; %bb.33:                               ;   in Loop: Header=BB228_23 Depth=2
	v_lshl_add_u64 v[74:75], v[0:1], 1, s[20:21]
	global_load_dwordx4 v[74:77], v[74:75], off
.LBB228_34:                             ;   in Loop: Header=BB228_23 Depth=2
	s_andn2_saveexec_b64 s[8:9], s[8:9]
	s_cbranch_execz .LBB228_21
; %bb.35:                               ;   in Loop: Header=BB228_23 Depth=2
	v_add_u32_e32 v0, s43, v83
	s_waitcnt vmcnt(0)
	ds_read2_b32 v[74:75], v0 offset1:1
	ds_read2_b32 v[76:77], v0 offset0:2 offset1:3
	s_branch .LBB228_21
.LBB228_36:                             ;   in Loop: Header=BB228_19 Depth=1
	v_cvt_i32_f32_e32 v0, v51
	v_cvt_i32_f32_e32 v51, v52
	;; [unrolled: 1-line block ×4, first 2 shown]
	v_cvt_f32_i32_dpp v0, v0 row_shl:1 row_mask:0xf bank_mask:0xf bound_ctrl:1
	v_cvt_f32_i32_dpp v51, v51 row_shl:2 row_mask:0xf bank_mask:0xf bound_ctrl:1
	;; [unrolled: 1-line block ×3, first 2 shown]
	v_cvt_i32_f32_e32 v48, v48
	v_add_f32_e32 v0, v50, v0
	v_add_f32_e32 v0, v0, v51
	v_cvt_i32_f32_e32 v49, v49
	v_add_f32_e32 v0, v0, v52
	v_cvt_i32_f32_e32 v50, v0
	v_cvt_f32_i32_dpp v47, v47 row_shl:1 row_mask:0xf bank_mask:0xf bound_ctrl:1
	v_cvt_f32_i32_dpp v48, v48 row_shl:2 row_mask:0xf bank_mask:0xf bound_ctrl:1
	;; [unrolled: 1-line block ×4, first 2 shown]
	v_add_f32_e32 v46, v46, v47
	v_add_f32_e32 v46, v46, v48
	;; [unrolled: 1-line block ×3, first 2 shown]
	v_cvt_i32_f32_e32 v47, v46
	v_add_f32_e32 v0, v0, v50
	v_cvt_i32_f32_e32 v48, v0
	v_cvt_i32_f32_e32 v43, v43
	v_cvt_f32_i32_dpp v47, v47 row_shl:4 row_mask:0xf bank_mask:0xf bound_ctrl:1
	v_cvt_i32_f32_e32 v44, v44
	v_cvt_f32_i32_dpp v48, v48 row_shl:8 row_mask:0xf bank_mask:0xf bound_ctrl:1
	v_cvt_i32_f32_e32 v45, v45
	v_add_f32_e32 v46, v46, v47
	v_cvt_i32_f32_e32 v47, v46
	v_add_f32_e32 v0, v0, v48
	v_cvt_i32_f32_e32 v0, v0
	v_cvt_f32_i32_dpp v43, v43 row_shl:1 row_mask:0xf bank_mask:0xf bound_ctrl:1
	v_cvt_f32_i32_dpp v44, v44 row_shl:2 row_mask:0xf bank_mask:0xf bound_ctrl:1
	;; [unrolled: 1-line block ×4, first 2 shown]
	v_cvt_f32_i32_dpp v0, v0 row_shr:15 row_mask:0xf bank_mask:0xf bound_ctrl:1
	v_add_f32_e32 v42, v42, v43
	v_add_f32_e32 v42, v42, v44
	v_cvt_i32_f32_e32 v39, v39
	v_add_f32_e32 v46, v46, v47
	v_add_f32_e32 v43, v42, v45
	v_cvt_i32_f32_e32 v40, v40
	v_cvt_i32_f32_e32 v46, v46
	;; [unrolled: 1-line block ×5, first 2 shown]
	v_cvt_f32_i32_dpp v39, v39 row_shl:1 row_mask:0xf bank_mask:0xf bound_ctrl:1
	v_cvt_f32_i32_dpp v40, v40 row_shl:2 row_mask:0xf bank_mask:0xf bound_ctrl:1
	v_cvt_f32_i32_dpp v45, v46 row_shr:15 row_mask:0xf bank_mask:0xf bound_ctrl:1
	v_cvt_f32_i32_dpp v46, v42 row_shl:4 row_mask:0xf bank_mask:0xf bound_ctrl:1
	v_cvt_f32_i32_dpp v41, v41 row_shl:3 row_mask:0xf bank_mask:0xf bound_ctrl:1
	v_cvt_f32_i32_dpp v44, v47 row_bcast:15 row_mask:0xf bank_mask:0xf bound_ctrl:1
	v_add_f32_e32 v38, v38, v39
	v_add_f32_e32 v38, v38, v40
	v_add_f32_e32 v43, v43, v46
	v_add_f32_e32 v40, v38, v41
	v_add_f32_e32 v42, v0, v44
	v_cvt_i32_f32_e32 v44, v45
	v_cvt_i32_f32_e32 v46, v43
	;; [unrolled: 1-line block ×4, first 2 shown]
	v_cvt_f32_i32_dpp v41, v44 row_bcast:15 row_mask:0xf bank_mask:0xf bound_ctrl:1
	v_cvt_f32_i32_dpp v46, v46 row_shl:8 row_mask:0xf bank_mask:0xf bound_ctrl:1
	v_cvt_f32_i32_dpp v44, v38 row_shl:4 row_mask:0xf bank_mask:0xf bound_ctrl:1
	v_cvt_i32_f32_e32 v36, v36
	v_cvt_i32_f32_e32 v37, v37
	v_add_f32_e32 v39, v43, v46
	v_add_f32_e32 v40, v40, v44
	v_cvt_i32_f32_e32 v0, v42
	v_cvt_i32_f32_e32 v43, v39
	v_add_f32_e32 v38, v45, v41
	v_cvt_i32_f32_e32 v41, v40
	v_cvt_f32_i32_dpp v35, v35 row_shl:1 row_mask:0xf bank_mask:0xf bound_ctrl:1
	v_cvt_f32_i32_dpp v36, v36 row_shl:2 row_mask:0xf bank_mask:0xf bound_ctrl:1
	;; [unrolled: 1-line block ×3, first 2 shown]
	v_mov_b32_dpp v39, v0 row_bcast:31 row_mask:0xf bank_mask:0xf bound_ctrl:1
	v_cvt_f32_i32_dpp v0, v43 row_shr:15 row_mask:0xf bank_mask:0xf bound_ctrl:1
	v_cvt_f32_i32_dpp v41, v41 row_shl:8 row_mask:0xf bank_mask:0xf bound_ctrl:1
	v_add_f32_e32 v34, v34, v35
	v_add_f32_e32 v34, v34, v36
	;; [unrolled: 1-line block ×3, first 2 shown]
	v_cvt_i32_f32_e32 v35, v34
	v_cvt_i32_f32_e32 v36, v0
	v_add_f32_e32 v37, v40, v41
	v_cvt_i32_f32_e32 v37, v37
	v_cvt_f32_i32_dpp v35, v35 row_shl:4 row_mask:0xf bank_mask:0xf bound_ctrl:1
	v_cvt_f32_i32_dpp v36, v36 row_bcast:15 row_mask:0xf bank_mask:0xf bound_ctrl:1
	v_cvt_i32_f32_e32 v31, v31
	v_cvt_f32_i32_dpp v37, v37 row_shr:15 row_mask:0xf bank_mask:0xf bound_ctrl:1
	v_cvt_i32_f32_e32 v27, v27
	v_add_f32_e32 v41, v34, v35
	v_add_f32_e32 v34, v0, v36
	v_cvt_i32_f32_e32 v32, v32
	v_cvt_i32_f32_e32 v28, v28
	;; [unrolled: 1-line block ×7, first 2 shown]
	v_cvt_f32_i32_dpp v31, v31 row_shl:1 row_mask:0xf bank_mask:0xf bound_ctrl:1
	v_cvt_f32_i32_dpp v27, v27 row_shl:1 row_mask:0xf bank_mask:0xf bound_ctrl:1
	;; [unrolled: 1-line block ×5, first 2 shown]
	v_mov_b32_dpp v35, v0 row_bcast:31 row_mask:0xf bank_mask:0xf bound_ctrl:1
	v_cvt_f32_i32_dpp v0, v43 row_bcast:15 row_mask:0xf bank_mask:0xf bound_ctrl:1
	v_cvt_f32_i32_dpp v33, v33 row_shl:3 row_mask:0xf bank_mask:0xf bound_ctrl:1
	v_cvt_f32_i32_dpp v29, v29 row_shl:3 row_mask:0xf bank_mask:0xf bound_ctrl:1
	v_add_f32_e32 v30, v30, v31
	v_add_f32_e32 v26, v26, v27
	;; [unrolled: 1-line block ×7, first 2 shown]
	v_cvt_i32_f32_e32 v40, v38
	v_cvt_i32_f32_e32 v0, v30
	v_cvt_i32_f32_e32 v26, v28
	v_cvt_i32_f32_e32 v32, v31
	v_mov_b32_dpp v36, v40 row_bcast:31 row_mask:0xf bank_mask:0xf bound_ctrl:1
	v_add_f32_e32 v40, v41, v44
	v_mov_b32_dpp v27, v0 row_bcast:31 row_mask:0xf bank_mask:0xf bound_ctrl:1
	v_cvt_f32_i32_dpp v0, v26 row_shl:4 row_mask:0xf bank_mask:0xf bound_ctrl:1
	v_cvt_i32_f32_e32 v40, v40
	v_cvt_i32_f32_e32 v23, v23
	v_cvt_f32_i32_dpp v32, v32 row_shl:4 row_mask:0xf bank_mask:0xf bound_ctrl:1
	v_add_f32_e32 v0, v28, v0
	v_cvt_i32_f32_e32 v24, v24
	v_cvt_f32_i32_dpp v40, v40 row_shr:15 row_mask:0xf bank_mask:0xf bound_ctrl:1
	v_cvt_i32_f32_e32 v25, v25
	v_cvt_i32_f32_e32 v28, v0
	v_cvt_f32_i32_dpp v23, v23 row_shl:1 row_mask:0xf bank_mask:0xf bound_ctrl:1
	v_add_f32_e32 v31, v31, v32
	v_cvt_f32_i32_dpp v24, v24 row_shl:2 row_mask:0xf bank_mask:0xf bound_ctrl:1
	v_cvt_i32_f32_e32 v33, v40
	v_cvt_i32_f32_e32 v32, v31
	v_cvt_f32_i32_dpp v25, v25 row_shl:3 row_mask:0xf bank_mask:0xf bound_ctrl:1
	v_cvt_f32_i32_dpp v28, v28 row_shl:8 row_mask:0xf bank_mask:0xf bound_ctrl:1
	v_add_f32_e32 v22, v22, v23
	v_add_f32_e32 v22, v22, v24
	v_cvt_f32_i32_dpp v29, v33 row_bcast:15 row_mask:0xf bank_mask:0xf bound_ctrl:1
	v_cvt_f32_i32_dpp v32, v32 row_shl:8 row_mask:0xf bank_mask:0xf bound_ctrl:1
	v_add_f32_e32 v22, v22, v25
	v_add_f32_e32 v0, v0, v28
	v_cvt_i32_f32_e32 v23, v22
	v_cvt_i32_f32_e32 v0, v0
	;; [unrolled: 1-line block ×6, first 2 shown]
	v_add_f32_e32 v26, v40, v29
	v_add_f32_e32 v29, v31, v32
	v_cvt_i32_f32_e32 v21, v21
	v_cvt_i32_f32_e32 v29, v29
	v_cvt_f32_i32_dpp v23, v23 row_shl:4 row_mask:0xf bank_mask:0xf bound_ctrl:1
	v_cvt_i32_f32_e32 v25, v26
	v_cvt_f32_i32_dpp v0, v0 row_shr:15 row_mask:0xf bank_mask:0xf bound_ctrl:1
	v_cvt_f32_i32_dpp v7, v7 row_shl:1 row_mask:0xf bank_mask:0xf bound_ctrl:1
	v_cvt_f32_i32_dpp v19, v19 row_shl:1 row_mask:0xf bank_mask:0xf bound_ctrl:1
	v_cvt_i32_f32_e32 v15, v15
	v_cvt_f32_i32_dpp v8, v8 row_shl:2 row_mask:0xf bank_mask:0xf bound_ctrl:1
	v_cvt_i32_f32_e32 v9, v9
	;; [unrolled: 2-line block ×4, first 2 shown]
	v_cvt_f32_i32_dpp v24, v29 row_shr:15 row_mask:0xf bank_mask:0xf bound_ctrl:1
	v_add_f32_e32 v29, v22, v23
	v_mov_b32_dpp v23, v25 row_bcast:31 row_mask:0xf bank_mask:0xf bound_ctrl:1
	v_cvt_i32_f32_e32 v25, v0
	v_add_f32_e32 v6, v6, v7
	v_add_f32_e32 v18, v18, v19
	v_cvt_f32_i32_dpp v15, v15 row_shl:1 row_mask:0xf bank_mask:0xf bound_ctrl:1
	v_add_f32_e32 v6, v6, v8
	v_cvt_f32_i32_dpp v7, v9 row_shl:3 row_mask:0xf bank_mask:0xf bound_ctrl:1
	v_cvt_i32_f32_e32 v8, v11
	v_add_f32_e32 v18, v18, v20
	v_cvt_f32_i32_dpp v16, v16 row_shl:2 row_mask:0xf bank_mask:0xf bound_ctrl:1
	v_cvt_i32_f32_e32 v9, v12
	;; [unrolled: 3-line block ×3, first 2 shown]
	v_cvt_f32_i32_dpp v25, v25 row_bcast:15 row_mask:0xf bank_mask:0xf bound_ctrl:1
	v_cvt_i32_f32_e32 v18, v21
	v_add_f32_e32 v14, v14, v15
	v_add_f32_e32 v6, v6, v7
	v_cvt_f32_i32_dpp v7, v8 row_shl:1 row_mask:0xf bank_mask:0xf bound_ctrl:1
	v_add_f32_e32 v14, v14, v16
	v_cvt_f32_i32_dpp v8, v9 row_shl:2 row_mask:0xf bank_mask:0xf bound_ctrl:1
	;; [unrolled: 2-line block ×4, first 2 shown]
	v_cvt_i32_f32_e32 v17, v15
	v_add_f32_e32 v7, v10, v7
	v_add_f32_e32 v7, v7, v8
	;; [unrolled: 1-line block ×4, first 2 shown]
	v_cvt_f32_i32_dpp v17, v17 row_shl:4 row_mask:0xf bank_mask:0xf bound_ctrl:1
	v_cvt_i32_f32_e32 v11, v6
	v_cvt_i32_f32_e32 v8, v7
	;; [unrolled: 1-line block ×3, first 2 shown]
	v_add_f32_e32 v15, v15, v17
	v_cvt_f32_i32_dpp v10, v11 row_shl:4 row_mask:0xf bank_mask:0xf bound_ctrl:1
	v_cvt_f32_i32_dpp v8, v8 row_shl:4 row_mask:0xf bank_mask:0xf bound_ctrl:1
	;; [unrolled: 1-line block ×3, first 2 shown]
	v_cvt_i32_f32_e32 v17, v15
	v_add_f32_e32 v6, v6, v10
	v_add_f32_e32 v7, v7, v8
	v_cvt_i32_f32_e32 v28, v24
	v_cvt_i32_f32_e32 v22, v29
	v_add_f32_e32 v0, v0, v21
	v_cvt_f32_i32_dpp v9, v17 row_shl:8 row_mask:0xf bank_mask:0xf bound_ctrl:1
	v_cvt_i32_f32_e32 v10, v6
	v_cvt_i32_f32_e32 v8, v7
	;; [unrolled: 1-line block ×3, first 2 shown]
	v_cvt_f32_i32_dpp v28, v28 row_bcast:15 row_mask:0xf bank_mask:0xf bound_ctrl:1
	v_cvt_f32_i32_dpp v31, v22 row_shl:8 row_mask:0xf bank_mask:0xf bound_ctrl:1
	v_add_f32_e32 v9, v15, v9
	v_cvt_f32_i32_dpp v10, v10 row_shl:8 row_mask:0xf bank_mask:0xf bound_ctrl:1
	v_cvt_f32_i32_dpp v8, v8 row_shl:8 row_mask:0xf bank_mask:0xf bound_ctrl:1
	v_cvt_f32_i32_dpp v0, v0 row_shr:15 row_mask:0xf bank_mask:0xf bound_ctrl:1
	v_cvt_i32_f32_e32 v9, v9
	v_add_f32_e32 v22, v24, v28
	v_add_f32_e32 v28, v29, v31
	;; [unrolled: 1-line block ×4, first 2 shown]
	v_cvt_i32_f32_e32 v28, v28
	v_cvt_i32_f32_e32 v11, v0
	v_cvt_f32_i32_dpp v9, v9 row_shr:15 row_mask:0xf bank_mask:0xf bound_ctrl:1
	v_cvt_i32_f32_e32 v6, v6
	v_cvt_i32_f32_e32 v7, v7
	v_cvt_f32_i32_dpp v28, v28 row_shr:15 row_mask:0xf bank_mask:0xf bound_ctrl:1
	v_cvt_f32_i32_dpp v8, v11 row_bcast:15 row_mask:0xf bank_mask:0xf bound_ctrl:1
	v_cvt_f32_i32_dpp v6, v6 row_shr:15 row_mask:0xf bank_mask:0xf bound_ctrl:1
	v_cvt_i32_f32_e32 v10, v9
	v_cvt_f32_i32_dpp v7, v7 row_shr:15 row_mask:0xf bank_mask:0xf bound_ctrl:1
	v_cvt_i32_f32_e32 v24, v22
	v_cvt_i32_f32_e32 v29, v28
	v_add_f32_e32 v13, v0, v8
	v_cvt_i32_f32_e32 v0, v6
	v_cvt_f32_i32_dpp v8, v10 row_bcast:15 row_mask:0xf bank_mask:0xf bound_ctrl:1
	v_cvt_i32_f32_e32 v11, v7
	v_mov_b32_dpp v20, v24 row_bcast:31 row_mask:0xf bank_mask:0xf bound_ctrl:1
	v_cvt_f32_i32_dpp v24, v29 row_bcast:15 row_mask:0xf bank_mask:0xf bound_ctrl:1
	v_cvt_f32_i32_dpp v0, v0 row_bcast:15 row_mask:0xf bank_mask:0xf bound_ctrl:1
	v_add_f32_e32 v10, v9, v8
	v_cvt_f32_i32_dpp v9, v11 row_bcast:15 row_mask:0xf bank_mask:0xf bound_ctrl:1
	v_add_f32_e32 v18, v28, v24
	v_add_f32_e32 v8, v6, v0
	v_cvt_i32_f32_e32 v25, v19
	v_add_f32_e32 v6, v7, v9
	v_cvt_i32_f32_e32 v24, v18
	v_cvt_i32_f32_e32 v12, v13
	;; [unrolled: 1-line block ×5, first 2 shown]
	v_mov_b32_dpp v16, v25 row_bcast:31 row_mask:0xf bank_mask:0xf bound_ctrl:1
	v_mov_b32_dpp v14, v24 row_bcast:31 row_mask:0xf bank_mask:0xf bound_ctrl:1
	;; [unrolled: 1-line block ×6, first 2 shown]
	s_and_saveexec_b64 s[30:31], s[0:1]
	s_cbranch_execz .LBB228_111
; %bb.37:                               ;   in Loop: Header=BB228_19 Depth=1
	s_andn2_b64 vcc, exec, s[28:29]
	v_mov_b32_e32 v40, 0
	v_mov_b32_e32 v37, 0
	;; [unrolled: 1-line block ×12, first 2 shown]
	s_cbranch_vccnz .LBB228_39
; %bb.38:                               ;   in Loop: Header=BB228_19 Depth=1
	v_mul_hi_u32 v0, v82, v101
	v_mul_lo_u32 v0, v0, s22
	v_sub_u32_e32 v0, v82, v0
	v_subrev_u32_e32 v12, s22, v0
	v_cmp_le_u32_e32 vcc, s22, v0
	v_mov_b32_e32 v29, v1
	v_mov_b32_e32 v25, v1
	v_cndmask_b32_e32 v0, v0, v12, vcc
	v_subrev_u32_e32 v12, s22, v0
	v_cmp_le_u32_e32 vcc, s22, v0
	v_mov_b32_e32 v49, v1
	v_mov_b32_e32 v53, v1
	v_cndmask_b32_e32 v0, v0, v12, vcc
	v_mul_hi_u32 v12, v88, v101
	v_mul_lo_u32 v12, v12, s22
	v_sub_u32_e32 v12, v88, v12
	v_subrev_u32_e32 v17, s22, v12
	v_cmp_le_u32_e32 vcc, s22, v12
	v_add_u32_e32 v28, s40, v0
	v_lshl_add_u64 v[56:57], v[28:29], 1, s[16:17]
	v_cndmask_b32_e32 v12, v12, v17, vcc
	v_subrev_u32_e32 v17, s22, v12
	v_cmp_le_u32_e32 vcc, s22, v12
	v_lshl_add_u64 v[44:45], v[0:1], 1, s[16:17]
	v_add_u32_e32 v0, s41, v0
	v_cndmask_b32_e32 v24, v12, v17, vcc
	v_mul_hi_u32 v12, v86, v101
	v_mul_lo_u32 v12, v12, s22
	v_sub_u32_e32 v12, v86, v12
	v_subrev_u32_e32 v17, s22, v12
	v_cmp_le_u32_e32 vcc, s22, v12
	v_add_u32_e32 v28, s40, v24
	v_lshl_add_u64 v[58:59], v[28:29], 1, s[16:17]
	v_cndmask_b32_e32 v12, v12, v17, vcc
	v_subrev_u32_e32 v17, s22, v12
	v_cmp_le_u32_e32 vcc, s22, v12
	v_lshl_add_u64 v[46:47], v[24:25], 1, s[16:17]
	s_nop 0
	v_cndmask_b32_e32 v48, v12, v17, vcc
	v_mul_hi_u32 v12, v84, v101
	v_mul_lo_u32 v12, v12, s22
	v_sub_u32_e32 v12, v84, v12
	v_subrev_u32_e32 v17, s22, v12
	v_cmp_le_u32_e32 vcc, s22, v12
	v_add_u32_e32 v28, s40, v48
	v_lshl_add_u64 v[60:61], v[28:29], 1, s[16:17]
	v_cndmask_b32_e32 v12, v12, v17, vcc
	v_subrev_u32_e32 v17, s22, v12
	v_cmp_le_u32_e32 vcc, s22, v12
	v_lshl_add_u64 v[50:51], v[48:49], 1, s[16:17]
	s_nop 0
	v_cndmask_b32_e32 v52, v12, v17, vcc
	v_add_u32_e32 v28, s40, v52
	v_lshl_add_u64 v[54:55], v[52:53], 1, s[16:17]
	v_lshl_add_u64 v[62:63], v[28:29], 1, s[16:17]
	global_load_ushort v40, v[44:45], off
	global_load_ushort v37, v[46:47], off
	;; [unrolled: 1-line block ×8, first 2 shown]
	v_lshl_add_u64 v[44:45], v[0:1], 1, s[16:17]
	v_add_u32_e32 v0, s41, v24
	v_lshl_add_u64 v[46:47], v[0:1], 1, s[16:17]
	v_add_u32_e32 v0, s41, v48
	;; [unrolled: 2-line block ×3, first 2 shown]
	v_lshl_add_u64 v[50:51], v[0:1], 1, s[16:17]
	global_load_ushort v24, v[44:45], off
	global_load_ushort v21, v[46:47], off
	;; [unrolled: 1-line block ×4, first 2 shown]
.LBB228_39:                             ;   in Loop: Header=BB228_19 Depth=1
	v_cmp_ne_u32_e32 vcc, 0, v2
	s_and_saveexec_b64 s[6:7], vcc
	s_cbranch_execnz .LBB228_51
; %bb.40:                               ;   in Loop: Header=BB228_19 Depth=1
	s_or_b64 exec, exec, s[6:7]
	v_cmp_ne_u32_e64 s[4:5], 0, v3
	s_and_saveexec_b64 s[8:9], s[4:5]
	s_cbranch_execnz .LBB228_56
.LBB228_41:                             ;   in Loop: Header=BB228_19 Depth=1
	s_or_b64 exec, exec, s[8:9]
	v_cmp_ne_u32_e64 s[6:7], 0, v4
	s_and_saveexec_b64 s[10:11], s[6:7]
	s_cbranch_execnz .LBB228_61
.LBB228_42:                             ;   in Loop: Header=BB228_19 Depth=1
	s_or_b64 exec, exec, s[10:11]
	v_cmp_ne_u32_e64 s[8:9], 0, v5
	s_and_saveexec_b64 s[34:35], s[8:9]
	s_cbranch_execnz .LBB228_66
.LBB228_43:                             ;   in Loop: Header=BB228_19 Depth=1
	s_or_b64 exec, exec, s[34:35]
	v_add_u32_e32 v0, s15, v82
	s_and_saveexec_b64 s[34:35], vcc
	s_cbranch_execnz .LBB228_71
.LBB228_44:                             ;   in Loop: Header=BB228_19 Depth=1
	s_or_b64 exec, exec, s[34:35]
	s_and_saveexec_b64 s[34:35], s[4:5]
	s_cbranch_execnz .LBB228_76
.LBB228_45:                             ;   in Loop: Header=BB228_19 Depth=1
	s_or_b64 exec, exec, s[34:35]
	s_and_saveexec_b64 s[34:35], s[6:7]
	s_cbranch_execnz .LBB228_81
.LBB228_46:                             ;   in Loop: Header=BB228_19 Depth=1
	s_or_b64 exec, exec, s[34:35]
	s_and_saveexec_b64 s[34:35], s[8:9]
	s_cbranch_execnz .LBB228_86
.LBB228_47:                             ;   in Loop: Header=BB228_19 Depth=1
	s_or_b64 exec, exec, s[34:35]
	v_add_u32_e32 v0, s15, v0
	s_and_saveexec_b64 s[10:11], vcc
	s_cbranch_execnz .LBB228_91
.LBB228_48:                             ;   in Loop: Header=BB228_19 Depth=1
	s_or_b64 exec, exec, s[10:11]
	s_and_saveexec_b64 s[10:11], s[4:5]
	s_cbranch_execnz .LBB228_96
.LBB228_49:                             ;   in Loop: Header=BB228_19 Depth=1
	s_or_b64 exec, exec, s[10:11]
	s_and_saveexec_b64 s[4:5], s[6:7]
	s_cbranch_execnz .LBB228_101
.LBB228_50:                             ;   in Loop: Header=BB228_19 Depth=1
	s_or_b64 exec, exec, s[4:5]
	s_and_b64 exec, exec, s[8:9]
	s_cbranch_execnz .LBB228_106
	s_branch .LBB228_111
.LBB228_51:                             ;   in Loop: Header=BB228_19 Depth=1
	v_cvt_f32_i32_e32 v0, v39
	s_waitcnt vmcnt(11)
	v_lshlrev_b32_e32 v39, 16, v40
	v_add_f32_e32 v0, v42, v0
	v_add_f32_e32 v39, v0, v39
	v_and_b32_e32 v0, 0x7f800000, v39
	v_cmp_ne_u32_e64 s[4:5], s44, v0
                                        ; implicit-def: $vgpr0
	s_and_saveexec_b64 s[8:9], s[4:5]
	s_xor_b64 s[4:5], exec, s[8:9]
; %bb.52:                               ;   in Loop: Header=BB228_19 Depth=1
	v_bfe_u32 v0, v39, 16, 1
	v_add3_u32 v0, v39, v0, s14
                                        ; implicit-def: $vgpr39
; %bb.53:                               ;   in Loop: Header=BB228_19 Depth=1
	s_andn2_saveexec_b64 s[8:9], s[4:5]
; %bb.54:                               ;   in Loop: Header=BB228_19 Depth=1
	v_or_b32_e32 v0, 0x10000, v39
	v_cmp_eq_u32_sdwa s[4:5], v39, v1 src0_sel:WORD_0 src1_sel:DWORD
	s_nop 1
	v_cndmask_b32_e64 v0, v0, v39, s[4:5]
; %bb.55:                               ;   in Loop: Header=BB228_19 Depth=1
	s_or_b64 exec, exec, s[8:9]
	v_mov_b32_e32 v83, v1
	v_lshl_add_u64 v[40:41], v[82:83], 1, s[18:19]
	global_store_short_d16_hi v[40:41], v0, off
	s_or_b64 exec, exec, s[6:7]
	v_cmp_ne_u32_e64 s[4:5], 0, v3
	s_and_saveexec_b64 s[8:9], s[4:5]
	s_cbranch_execz .LBB228_41
.LBB228_56:                             ;   in Loop: Header=BB228_19 Depth=1
	v_cvt_f32_i32_e32 v0, v36
	s_waitcnt vmcnt(10)
	v_lshlrev_b32_e32 v36, 16, v37
	v_add_f32_e32 v0, v38, v0
	v_add_f32_e32 v36, v0, v36
	v_and_b32_e32 v0, 0x7f800000, v36
	v_cmp_ne_u32_e64 s[6:7], s44, v0
                                        ; implicit-def: $vgpr0
	s_and_saveexec_b64 s[10:11], s[6:7]
	s_xor_b64 s[6:7], exec, s[10:11]
; %bb.57:                               ;   in Loop: Header=BB228_19 Depth=1
	v_bfe_u32 v0, v36, 16, 1
	v_add3_u32 v0, v36, v0, s14
                                        ; implicit-def: $vgpr36
; %bb.58:                               ;   in Loop: Header=BB228_19 Depth=1
	s_andn2_saveexec_b64 s[10:11], s[6:7]
; %bb.59:                               ;   in Loop: Header=BB228_19 Depth=1
	v_or_b32_e32 v0, 0x10000, v36
	v_cmp_eq_u32_sdwa s[6:7], v36, v1 src0_sel:WORD_0 src1_sel:DWORD
	s_nop 1
	v_cndmask_b32_e64 v0, v0, v36, s[6:7]
; %bb.60:                               ;   in Loop: Header=BB228_19 Depth=1
	s_or_b64 exec, exec, s[10:11]
	v_mov_b32_e32 v89, v1
	v_lshl_add_u64 v[36:37], v[88:89], 1, s[18:19]
	global_store_short_d16_hi v[36:37], v0, off
	s_or_b64 exec, exec, s[8:9]
	v_cmp_ne_u32_e64 s[6:7], 0, v4
	s_and_saveexec_b64 s[10:11], s[6:7]
	s_cbranch_execz .LBB228_42
.LBB228_61:                             ;   in Loop: Header=BB228_19 Depth=1
	v_cvt_f32_i32_e32 v0, v35
	s_waitcnt vmcnt(9)
	v_lshlrev_b32_e32 v33, 16, v33
	v_add_f32_e32 v0, v34, v0
	v_add_f32_e32 v33, v0, v33
	v_and_b32_e32 v0, 0x7f800000, v33
	v_cmp_ne_u32_e64 s[8:9], s44, v0
                                        ; implicit-def: $vgpr0
	s_and_saveexec_b64 s[34:35], s[8:9]
	s_xor_b64 s[8:9], exec, s[34:35]
; %bb.62:                               ;   in Loop: Header=BB228_19 Depth=1
	v_bfe_u32 v0, v33, 16, 1
	v_add3_u32 v0, v33, v0, s14
                                        ; implicit-def: $vgpr33
; %bb.63:                               ;   in Loop: Header=BB228_19 Depth=1
	s_andn2_saveexec_b64 s[34:35], s[8:9]
; %bb.64:                               ;   in Loop: Header=BB228_19 Depth=1
	v_or_b32_e32 v0, 0x10000, v33
	v_cmp_eq_u32_sdwa s[8:9], v33, v1 src0_sel:WORD_0 src1_sel:DWORD
	s_nop 1
	v_cndmask_b32_e64 v0, v0, v33, s[8:9]
; %bb.65:                               ;   in Loop: Header=BB228_19 Depth=1
	s_or_b64 exec, exec, s[34:35]
	v_mov_b32_e32 v87, v1
	v_lshl_add_u64 v[34:35], v[86:87], 1, s[18:19]
	global_store_short_d16_hi v[34:35], v0, off
	s_or_b64 exec, exec, s[10:11]
	v_cmp_ne_u32_e64 s[8:9], 0, v5
	s_and_saveexec_b64 s[34:35], s[8:9]
	s_cbranch_execz .LBB228_43
.LBB228_66:                             ;   in Loop: Header=BB228_19 Depth=1
	v_cvt_f32_i32_e32 v0, v27
	s_waitcnt vmcnt(8)
	v_lshlrev_b32_e32 v27, 16, v32
	v_add_f32_e32 v0, v30, v0
	v_add_f32_e32 v27, v0, v27
	v_and_b32_e32 v0, 0x7f800000, v27
	v_cmp_ne_u32_e64 s[10:11], s44, v0
                                        ; implicit-def: $vgpr0
	s_and_saveexec_b64 s[36:37], s[10:11]
	s_xor_b64 s[10:11], exec, s[36:37]
; %bb.67:                               ;   in Loop: Header=BB228_19 Depth=1
	v_bfe_u32 v0, v27, 16, 1
	v_add3_u32 v0, v27, v0, s14
                                        ; implicit-def: $vgpr27
; %bb.68:                               ;   in Loop: Header=BB228_19 Depth=1
	s_andn2_saveexec_b64 s[36:37], s[10:11]
; %bb.69:                               ;   in Loop: Header=BB228_19 Depth=1
	v_or_b32_e32 v0, 0x10000, v27
	v_cmp_eq_u32_sdwa s[10:11], v27, v1 src0_sel:WORD_0 src1_sel:DWORD
	s_nop 1
	v_cndmask_b32_e64 v0, v0, v27, s[10:11]
; %bb.70:                               ;   in Loop: Header=BB228_19 Depth=1
	s_or_b64 exec, exec, s[36:37]
	v_mov_b32_e32 v85, v1
	v_lshl_add_u64 v[32:33], v[84:85], 1, s[18:19]
	global_store_short_d16_hi v[32:33], v0, off
	s_or_b64 exec, exec, s[34:35]
	v_add_u32_e32 v0, s15, v82
	s_and_saveexec_b64 s[34:35], vcc
	s_cbranch_execz .LBB228_44
.LBB228_71:                             ;   in Loop: Header=BB228_19 Depth=1
	v_cvt_f32_i32_e32 v23, v23
	v_add_f32_e32 v23, v26, v23
	s_waitcnt vmcnt(7)
	v_lshlrev_b32_e32 v26, 16, v31
	v_add_f32_e32 v26, v23, v26
	v_and_b32_e32 v23, 0x7f800000, v26
	v_cmp_ne_u32_e64 s[10:11], s44, v23
                                        ; implicit-def: $vgpr23
	s_and_saveexec_b64 s[36:37], s[10:11]
	s_xor_b64 s[10:11], exec, s[36:37]
; %bb.72:                               ;   in Loop: Header=BB228_19 Depth=1
	v_bfe_u32 v23, v26, 16, 1
	v_add3_u32 v23, v26, v23, s14
                                        ; implicit-def: $vgpr26
; %bb.73:                               ;   in Loop: Header=BB228_19 Depth=1
	s_andn2_saveexec_b64 s[36:37], s[10:11]
; %bb.74:                               ;   in Loop: Header=BB228_19 Depth=1
	v_or_b32_e32 v23, 0x10000, v26
	v_cmp_eq_u32_sdwa s[10:11], v26, v1 src0_sel:WORD_0 src1_sel:DWORD
	s_nop 1
	v_cndmask_b32_e64 v23, v23, v26, s[10:11]
; %bb.75:                               ;   in Loop: Header=BB228_19 Depth=1
	s_or_b64 exec, exec, s[36:37]
	v_lshl_add_u64 v[26:27], v[0:1], 1, s[18:19]
	global_store_short_d16_hi v[26:27], v23, off
	s_or_b64 exec, exec, s[34:35]
	s_and_saveexec_b64 s[34:35], s[4:5]
	s_cbranch_execz .LBB228_45
.LBB228_76:                             ;   in Loop: Header=BB228_19 Depth=1
	v_cvt_f32_i32_e32 v20, v20
	v_add_f32_e32 v20, v22, v20
	s_waitcnt vmcnt(6)
	v_lshlrev_b32_e32 v22, 16, v29
	v_add_f32_e32 v22, v20, v22
	v_and_b32_e32 v20, 0x7f800000, v22
	v_cmp_ne_u32_e64 s[10:11], s44, v20
                                        ; implicit-def: $vgpr20
	s_and_saveexec_b64 s[36:37], s[10:11]
	s_xor_b64 s[10:11], exec, s[36:37]
; %bb.77:                               ;   in Loop: Header=BB228_19 Depth=1
	v_bfe_u32 v20, v22, 16, 1
	v_add3_u32 v20, v22, v20, s14
                                        ; implicit-def: $vgpr22
; %bb.78:                               ;   in Loop: Header=BB228_19 Depth=1
	s_andn2_saveexec_b64 s[36:37], s[10:11]
; %bb.79:                               ;   in Loop: Header=BB228_19 Depth=1
	v_or_b32_e32 v20, 0x10000, v22
	v_cmp_eq_u32_sdwa s[10:11], v22, v1 src0_sel:WORD_0 src1_sel:DWORD
	s_nop 1
	v_cndmask_b32_e64 v20, v20, v22, s[10:11]
; %bb.80:                               ;   in Loop: Header=BB228_19 Depth=1
	s_or_b64 exec, exec, s[36:37]
	v_add_u32_e32 v22, 1, v0
	v_mov_b32_e32 v23, v1
	v_lshl_add_u64 v[22:23], v[22:23], 1, s[18:19]
	global_store_short_d16_hi v[22:23], v20, off
	s_or_b64 exec, exec, s[34:35]
	s_and_saveexec_b64 s[34:35], s[6:7]
	s_cbranch_execz .LBB228_46
.LBB228_81:                             ;   in Loop: Header=BB228_19 Depth=1
	v_cvt_f32_i32_e32 v16, v16
	v_add_f32_e32 v16, v19, v16
	s_waitcnt vmcnt(5)
	v_lshlrev_b32_e32 v19, 16, v28
	v_add_f32_e32 v19, v16, v19
	v_and_b32_e32 v16, 0x7f800000, v19
	v_cmp_ne_u32_e64 s[10:11], s44, v16
                                        ; implicit-def: $vgpr16
	s_and_saveexec_b64 s[36:37], s[10:11]
	s_xor_b64 s[10:11], exec, s[36:37]
; %bb.82:                               ;   in Loop: Header=BB228_19 Depth=1
	v_bfe_u32 v16, v19, 16, 1
	v_add3_u32 v16, v19, v16, s14
                                        ; implicit-def: $vgpr19
; %bb.83:                               ;   in Loop: Header=BB228_19 Depth=1
	s_andn2_saveexec_b64 s[36:37], s[10:11]
; %bb.84:                               ;   in Loop: Header=BB228_19 Depth=1
	v_or_b32_e32 v16, 0x10000, v19
	v_cmp_eq_u32_sdwa s[10:11], v19, v1 src0_sel:WORD_0 src1_sel:DWORD
	s_nop 1
	v_cndmask_b32_e64 v16, v16, v19, s[10:11]
; %bb.85:                               ;   in Loop: Header=BB228_19 Depth=1
	s_or_b64 exec, exec, s[36:37]
	v_add_u32_e32 v22, 2, v0
	v_mov_b32_e32 v23, v1
	v_lshl_add_u64 v[22:23], v[22:23], 1, s[18:19]
	global_store_short_d16_hi v[22:23], v16, off
	s_or_b64 exec, exec, s[34:35]
	s_and_saveexec_b64 s[34:35], s[8:9]
	s_cbranch_execz .LBB228_47
.LBB228_86:                             ;   in Loop: Header=BB228_19 Depth=1
	v_cvt_f32_i32_e32 v14, v14
	s_waitcnt vmcnt(4)
	v_lshlrev_b32_e32 v16, 16, v25
	v_add_f32_e32 v14, v18, v14
	v_add_f32_e32 v16, v14, v16
	v_and_b32_e32 v14, 0x7f800000, v16
	v_cmp_ne_u32_e64 s[10:11], s44, v14
                                        ; implicit-def: $vgpr14
	s_and_saveexec_b64 s[36:37], s[10:11]
	s_xor_b64 s[10:11], exec, s[36:37]
; %bb.87:                               ;   in Loop: Header=BB228_19 Depth=1
	v_bfe_u32 v14, v16, 16, 1
	v_add3_u32 v14, v16, v14, s14
                                        ; implicit-def: $vgpr16
; %bb.88:                               ;   in Loop: Header=BB228_19 Depth=1
	s_andn2_saveexec_b64 s[36:37], s[10:11]
; %bb.89:                               ;   in Loop: Header=BB228_19 Depth=1
	v_or_b32_e32 v14, 0x10000, v16
	v_cmp_eq_u32_sdwa s[10:11], v16, v1 src0_sel:WORD_0 src1_sel:DWORD
	s_nop 1
	v_cndmask_b32_e64 v14, v14, v16, s[10:11]
; %bb.90:                               ;   in Loop: Header=BB228_19 Depth=1
	s_or_b64 exec, exec, s[36:37]
	v_add_u32_e32 v18, 3, v0
	v_mov_b32_e32 v19, v1
	v_lshl_add_u64 v[18:19], v[18:19], 1, s[18:19]
	global_store_short_d16_hi v[18:19], v14, off
	s_or_b64 exec, exec, s[34:35]
	v_add_u32_e32 v0, s15, v0
	s_and_saveexec_b64 s[10:11], vcc
	s_cbranch_execz .LBB228_48
.LBB228_91:                             ;   in Loop: Header=BB228_19 Depth=1
	v_cvt_f32_i32_e32 v14, v15
	v_add_f32_e32 v13, v13, v14
	s_waitcnt vmcnt(3)
	v_lshlrev_b32_e32 v14, 16, v24
	v_add_f32_e32 v14, v13, v14
	v_and_b32_e32 v13, 0x7f800000, v14
	v_cmp_ne_u32_e32 vcc, s44, v13
                                        ; implicit-def: $vgpr13
	s_and_saveexec_b64 s[34:35], vcc
	s_xor_b64 s[34:35], exec, s[34:35]
; %bb.92:                               ;   in Loop: Header=BB228_19 Depth=1
	v_bfe_u32 v13, v14, 16, 1
	v_add3_u32 v13, v14, v13, s14
                                        ; implicit-def: $vgpr14
; %bb.93:                               ;   in Loop: Header=BB228_19 Depth=1
	s_andn2_saveexec_b64 s[34:35], s[34:35]
; %bb.94:                               ;   in Loop: Header=BB228_19 Depth=1
	v_or_b32_e32 v13, 0x10000, v14
	v_cmp_eq_u32_sdwa vcc, v14, v1 src0_sel:WORD_0 src1_sel:DWORD
	s_nop 1
	v_cndmask_b32_e32 v13, v13, v14, vcc
; %bb.95:                               ;   in Loop: Header=BB228_19 Depth=1
	s_or_b64 exec, exec, s[34:35]
	v_lshl_add_u64 v[14:15], v[0:1], 1, s[18:19]
	global_store_short_d16_hi v[14:15], v13, off
	s_or_b64 exec, exec, s[10:11]
	s_and_saveexec_b64 s[10:11], s[4:5]
	s_cbranch_execz .LBB228_49
.LBB228_96:                             ;   in Loop: Header=BB228_19 Depth=1
	v_cvt_f32_i32_e32 v11, v11
	v_add_f32_e32 v10, v10, v11
	s_waitcnt vmcnt(2)
	v_lshlrev_b32_e32 v11, 16, v21
	v_add_f32_e32 v11, v10, v11
	v_and_b32_e32 v10, 0x7f800000, v11
	v_cmp_ne_u32_e32 vcc, s44, v10
                                        ; implicit-def: $vgpr10
	s_and_saveexec_b64 s[4:5], vcc
	s_xor_b64 s[4:5], exec, s[4:5]
; %bb.97:                               ;   in Loop: Header=BB228_19 Depth=1
	v_bfe_u32 v10, v11, 16, 1
	v_add3_u32 v10, v11, v10, s14
                                        ; implicit-def: $vgpr11
; %bb.98:                               ;   in Loop: Header=BB228_19 Depth=1
	s_andn2_saveexec_b64 s[4:5], s[4:5]
; %bb.99:                               ;   in Loop: Header=BB228_19 Depth=1
	v_or_b32_e32 v10, 0x10000, v11
	v_cmp_eq_u32_sdwa vcc, v11, v1 src0_sel:WORD_0 src1_sel:DWORD
	s_nop 1
	v_cndmask_b32_e32 v10, v10, v11, vcc
; %bb.100:                              ;   in Loop: Header=BB228_19 Depth=1
	s_or_b64 exec, exec, s[4:5]
	v_add_u32_e32 v14, 1, v0
	v_mov_b32_e32 v15, v1
	v_lshl_add_u64 v[14:15], v[14:15], 1, s[18:19]
	global_store_short_d16_hi v[14:15], v10, off
	s_or_b64 exec, exec, s[10:11]
	s_and_saveexec_b64 s[4:5], s[6:7]
	s_cbranch_execz .LBB228_50
.LBB228_101:                            ;   in Loop: Header=BB228_19 Depth=1
	v_cvt_f32_i32_e32 v9, v9
	v_add_f32_e32 v8, v8, v9
	s_waitcnt vmcnt(1)
	v_lshlrev_b32_e32 v9, 16, v17
	v_add_f32_e32 v9, v8, v9
	v_and_b32_e32 v8, 0x7f800000, v9
	v_cmp_ne_u32_e32 vcc, s44, v8
                                        ; implicit-def: $vgpr8
	s_and_saveexec_b64 s[6:7], vcc
	s_xor_b64 s[6:7], exec, s[6:7]
; %bb.102:                              ;   in Loop: Header=BB228_19 Depth=1
	v_bfe_u32 v8, v9, 16, 1
	v_add3_u32 v8, v9, v8, s14
                                        ; implicit-def: $vgpr9
; %bb.103:                              ;   in Loop: Header=BB228_19 Depth=1
	s_andn2_saveexec_b64 s[6:7], s[6:7]
; %bb.104:                              ;   in Loop: Header=BB228_19 Depth=1
	v_or_b32_e32 v8, 0x10000, v9
	v_cmp_eq_u32_sdwa vcc, v9, v1 src0_sel:WORD_0 src1_sel:DWORD
	s_nop 1
	v_cndmask_b32_e32 v8, v8, v9, vcc
; %bb.105:                              ;   in Loop: Header=BB228_19 Depth=1
	s_or_b64 exec, exec, s[6:7]
	v_add_u32_e32 v10, 2, v0
	v_mov_b32_e32 v11, v1
	v_lshl_add_u64 v[10:11], v[10:11], 1, s[18:19]
	global_store_short_d16_hi v[10:11], v8, off
	s_or_b64 exec, exec, s[4:5]
	s_and_b64 exec, exec, s[8:9]
	s_cbranch_execz .LBB228_111
.LBB228_106:                            ;   in Loop: Header=BB228_19 Depth=1
	v_cvt_f32_i32_e32 v7, v7
	v_add_f32_e32 v6, v6, v7
	s_waitcnt vmcnt(0)
	v_lshlrev_b32_e32 v7, 16, v12
	v_add_f32_e32 v7, v6, v7
	v_and_b32_e32 v6, 0x7f800000, v7
	v_cmp_ne_u32_e32 vcc, s44, v6
                                        ; implicit-def: $vgpr6
	s_and_saveexec_b64 s[4:5], vcc
	s_xor_b64 s[4:5], exec, s[4:5]
; %bb.107:                              ;   in Loop: Header=BB228_19 Depth=1
	v_bfe_u32 v6, v7, 16, 1
	v_add3_u32 v6, v7, v6, s14
                                        ; implicit-def: $vgpr7
; %bb.108:                              ;   in Loop: Header=BB228_19 Depth=1
	s_andn2_saveexec_b64 s[4:5], s[4:5]
; %bb.109:                              ;   in Loop: Header=BB228_19 Depth=1
	v_or_b32_e32 v6, 0x10000, v7
	v_cmp_eq_u32_sdwa vcc, v7, v1 src0_sel:WORD_0 src1_sel:DWORD
	s_nop 1
	v_cndmask_b32_e32 v6, v6, v7, vcc
; %bb.110:                              ;   in Loop: Header=BB228_19 Depth=1
	s_or_b64 exec, exec, s[4:5]
	v_add_u32_e32 v0, 3, v0
	v_lshl_add_u64 v[8:9], v[0:1], 1, s[18:19]
	global_store_short_d16_hi v[8:9], v6, off
.LBB228_111:                            ;   in Loop: Header=BB228_19 Depth=1
	s_or_b64 exec, exec, s[30:31]
	v_add_u32_e32 v82, s39, v82
	v_add_u32_e32 v0, 4, v82
	v_cmp_gt_u32_e32 vcc, s15, v82
	v_cmp_le_u32_e64 s[4:5], s15, v0
	s_and_b64 s[4:5], vcc, s[4:5]
	s_and_saveexec_b64 s[6:7], s[4:5]
	s_cbranch_execz .LBB228_18
; %bb.112:                              ;   in Loop: Header=BB228_19 Depth=1
	v_cmp_ne_u32_e32 vcc, s23, v82
	s_and_saveexec_b64 s[8:9], vcc
	s_cbranch_execz .LBB228_17
; %bb.113:                              ;   in Loop: Header=BB228_19 Depth=1
	v_subrev_u32_e32 v0, s23, v82
	v_cmp_lt_u32_e32 vcc, 1, v0
	s_mov_b64 s[10:11], 0
	s_mov_b64 s[30:31], 0
	v_cndmask_b32_e32 v0, 1, v0, vcc
.LBB228_114:                            ;   Parent Loop BB228_19 Depth=1
                                        ; =>  This Inner Loop Header: Depth=2
	s_cmp_lg_u32 s30, 3
	s_cselect_b64 vcc, -1, 0
	s_cmp_lg_u32 s30, 2
	v_cndmask_b32_e32 v5, 0, v5, vcc
	s_cselect_b64 vcc, -1, 0
	s_cmp_lg_u32 s30, 1
	v_cndmask_b32_e32 v4, 0, v4, vcc
	;; [unrolled: 3-line block ×3, first 2 shown]
	s_cselect_b64 vcc, -1, 0
	s_add_u32 s30, s30, 1
	s_addc_u32 s31, s31, 0
	v_cmp_eq_u32_e64 s[4:5], s30, v0
	s_or_b64 s[10:11], s[4:5], s[10:11]
	v_cndmask_b32_e32 v2, 0, v2, vcc
	s_andn2_b64 exec, exec, s[10:11]
	s_cbranch_execnz .LBB228_114
; %bb.115:                              ;   in Loop: Header=BB228_19 Depth=1
	s_or_b64 exec, exec, s[10:11]
	s_branch .LBB228_17
.LBB228_116:
	s_endpgm
	.section	.rodata,"a",@progbits
	.p2align	6, 0x0
	.amdhsa_kernel _Z12wvSplitK_hf_I14__hip_bfloat16Li32ELi4ELi16ELi8ELi1ELi3EEviiiiiiPKT_S3_S3_PS1_ii
		.amdhsa_group_segment_fixed_size 65536
		.amdhsa_private_segment_fixed_size 0
		.amdhsa_kernarg_size 64
		.amdhsa_user_sgpr_count 2
		.amdhsa_user_sgpr_dispatch_ptr 0
		.amdhsa_user_sgpr_queue_ptr 0
		.amdhsa_user_sgpr_kernarg_segment_ptr 1
		.amdhsa_user_sgpr_dispatch_id 0
		.amdhsa_user_sgpr_kernarg_preload_length 0
		.amdhsa_user_sgpr_kernarg_preload_offset 0
		.amdhsa_user_sgpr_private_segment_size 0
		.amdhsa_uses_dynamic_stack 0
		.amdhsa_enable_private_segment 0
		.amdhsa_system_sgpr_workgroup_id_x 1
		.amdhsa_system_sgpr_workgroup_id_y 0
		.amdhsa_system_sgpr_workgroup_id_z 0
		.amdhsa_system_sgpr_workgroup_info 0
		.amdhsa_system_vgpr_workitem_id 1
		.amdhsa_next_free_vgpr 105
		.amdhsa_next_free_sgpr 45
		.amdhsa_accum_offset 108
		.amdhsa_reserve_vcc 1
		.amdhsa_float_round_mode_32 0
		.amdhsa_float_round_mode_16_64 0
		.amdhsa_float_denorm_mode_32 3
		.amdhsa_float_denorm_mode_16_64 3
		.amdhsa_dx10_clamp 1
		.amdhsa_ieee_mode 1
		.amdhsa_fp16_overflow 0
		.amdhsa_tg_split 0
		.amdhsa_exception_fp_ieee_invalid_op 0
		.amdhsa_exception_fp_denorm_src 0
		.amdhsa_exception_fp_ieee_div_zero 0
		.amdhsa_exception_fp_ieee_overflow 0
		.amdhsa_exception_fp_ieee_underflow 0
		.amdhsa_exception_fp_ieee_inexact 0
		.amdhsa_exception_int_div_zero 0
	.end_amdhsa_kernel
	.section	.text._Z12wvSplitK_hf_I14__hip_bfloat16Li32ELi4ELi16ELi8ELi1ELi3EEviiiiiiPKT_S3_S3_PS1_ii,"axG",@progbits,_Z12wvSplitK_hf_I14__hip_bfloat16Li32ELi4ELi16ELi8ELi1ELi3EEviiiiiiPKT_S3_S3_PS1_ii,comdat
.Lfunc_end228:
	.size	_Z12wvSplitK_hf_I14__hip_bfloat16Li32ELi4ELi16ELi8ELi1ELi3EEviiiiiiPKT_S3_S3_PS1_ii, .Lfunc_end228-_Z12wvSplitK_hf_I14__hip_bfloat16Li32ELi4ELi16ELi8ELi1ELi3EEviiiiiiPKT_S3_S3_PS1_ii
                                        ; -- End function
	.section	.AMDGPU.csdata,"",@progbits
; Kernel info:
; codeLenInByte = 5924
; NumSgprs: 51
; NumVgprs: 105
; NumAgprs: 0
; TotalNumVgprs: 105
; ScratchSize: 0
; MemoryBound: 1
; FloatMode: 240
; IeeeMode: 1
; LDSByteSize: 65536 bytes/workgroup (compile time only)
; SGPRBlocks: 6
; VGPRBlocks: 13
; NumSGPRsForWavesPerEU: 51
; NumVGPRsForWavesPerEU: 105
; AccumOffset: 108
; Occupancy: 2
; WaveLimiterHint : 0
; COMPUTE_PGM_RSRC2:SCRATCH_EN: 0
; COMPUTE_PGM_RSRC2:USER_SGPR: 2
; COMPUTE_PGM_RSRC2:TRAP_HANDLER: 0
; COMPUTE_PGM_RSRC2:TGID_X_EN: 1
; COMPUTE_PGM_RSRC2:TGID_Y_EN: 0
; COMPUTE_PGM_RSRC2:TGID_Z_EN: 0
; COMPUTE_PGM_RSRC2:TIDIG_COMP_CNT: 1
; COMPUTE_PGM_RSRC3_GFX90A:ACCUM_OFFSET: 26
; COMPUTE_PGM_RSRC3_GFX90A:TG_SPLIT: 0
	.section	.text._Z16wvSplitK_hf_big_I14__hip_bfloat16Li32ELi4ELi16ELi8ELi1ELi3EEviiiiiiPKT_S3_S3_PS1_ii,"axG",@progbits,_Z16wvSplitK_hf_big_I14__hip_bfloat16Li32ELi4ELi16ELi8ELi1ELi3EEviiiiiiPKT_S3_S3_PS1_ii,comdat
	.protected	_Z16wvSplitK_hf_big_I14__hip_bfloat16Li32ELi4ELi16ELi8ELi1ELi3EEviiiiiiPKT_S3_S3_PS1_ii ; -- Begin function _Z16wvSplitK_hf_big_I14__hip_bfloat16Li32ELi4ELi16ELi8ELi1ELi3EEviiiiiiPKT_S3_S3_PS1_ii
	.globl	_Z16wvSplitK_hf_big_I14__hip_bfloat16Li32ELi4ELi16ELi8ELi1ELi3EEviiiiiiPKT_S3_S3_PS1_ii
	.p2align	8
	.type	_Z16wvSplitK_hf_big_I14__hip_bfloat16Li32ELi4ELi16ELi8ELi1ELi3EEviiiiiiPKT_S3_S3_PS1_ii,@function
_Z16wvSplitK_hf_big_I14__hip_bfloat16Li32ELi4ELi16ELi8ELi1ELi3EEviiiiiiPKT_S3_S3_PS1_ii: ; @_Z16wvSplitK_hf_big_I14__hip_bfloat16Li32ELi4ELi16ELi8ELi1ELi3EEviiiiiiPKT_S3_S3_PS1_ii
; %bb.0:
	s_load_dwordx2 s[8:9], s[0:1], 0x38
	v_bfe_u32 v7, v0, 10, 10
	s_waitcnt lgkmcnt(0)
	v_cmp_gt_u32_e32 vcc, s8, v7
	s_and_saveexec_b64 s[4:5], vcc
	s_cbranch_execz .LBB229_110
; %bb.1:
	s_load_dwordx4 s[24:27], s[0:1], 0x0
	s_mul_i32 s2, s2, s8
	v_add_lshl_u32 v82, s2, v7, 2
	s_mov_b32 s4, 1
	v_add_u32_e32 v1, 4, v82
	s_mov_b32 s5, s4
	s_waitcnt lgkmcnt(0)
	v_cmp_gt_u32_e32 vcc, s27, v82
	v_cmp_le_u32_e64 s[2:3], s27, v1
	s_mov_b32 s6, s4
	s_mov_b32 s7, s4
	v_mov_b64_e32 v[2:3], s[4:5]
	s_and_b64 s[10:11], vcc, s[2:3]
	v_mov_b64_e32 v[4:5], s[6:7]
	s_and_saveexec_b64 s[2:3], s[10:11]
	s_cbranch_execz .LBB229_7
; %bb.2:
	s_add_i32 s16, s27, -4
	v_mov_b64_e32 v[2:3], s[4:5]
	v_cmp_ne_u32_e32 vcc, s16, v82
	v_mov_b64_e32 v[4:5], s[6:7]
	s_and_saveexec_b64 s[10:11], vcc
	s_cbranch_execz .LBB229_6
; %bb.3:
	v_subrev_u32_e32 v1, s16, v82
	v_cmp_lt_u32_e32 vcc, 1, v1
	s_mov_b64 s[12:13], 0
	s_mov_b64 s[14:15], 0
	v_cndmask_b32_e32 v6, 1, v1, vcc
	s_mov_b32 s5, s4
	s_mov_b32 s6, s4
	;; [unrolled: 1-line block ×3, first 2 shown]
.LBB229_4:                              ; =>This Inner Loop Header: Depth=1
	s_cmp_lg_u32 s14, 3
	s_cselect_b32 s7, s7, 0
	s_cmp_lg_u32 s14, 2
	s_cselect_b32 s6, s6, 0
	;; [unrolled: 2-line block ×4, first 2 shown]
	s_add_u32 s14, s14, 1
	s_addc_u32 s15, s15, 0
	v_cmp_eq_u32_e32 vcc, s14, v6
	v_mov_b64_e32 v[2:3], s[4:5]
	s_or_b64 s[12:13], vcc, s[12:13]
	v_mov_b64_e32 v[4:5], s[6:7]
	s_andn2_b64 exec, exec, s[12:13]
	s_cbranch_execnz .LBB229_4
; %bb.5:
	s_or_b64 exec, exec, s[12:13]
	v_mov_b32_e32 v82, s16
.LBB229_6:
	s_or_b64 exec, exec, s[10:11]
.LBB229_7:
	s_or_b64 exec, exec, s[2:3]
	s_lshl_b32 s2, s8, 2
	s_abs_i32 s3, s2
	v_cvt_f32_u32_e32 v1, s3
	s_sub_i32 s6, 0, s3
	s_abs_i32 s5, s27
	s_ashr_i32 s4, s27, 31
	v_rcp_iflag_f32_e32 v1, v1
	s_nop 0
	v_mul_f32_e32 v1, 0x4f7ffffe, v1
	v_cvt_u32_f32_e32 v1, v1
	s_nop 0
	v_readfirstlane_b32 s7, v1
	s_mul_i32 s6, s6, s7
	s_mul_hi_u32 s6, s7, s6
	s_add_i32 s7, s7, s6
	s_mul_hi_u32 s6, s5, s7
	s_mul_i32 s6, s6, s3
	s_sub_i32 s5, s5, s6
	s_sub_i32 s6, s5, s3
	s_cmp_ge_u32 s5, s3
	s_cselect_b32 s5, s6, s5
	s_sub_i32 s6, s5, s3
	s_cmp_ge_u32 s5, s3
	s_cselect_b32 s3, s6, s5
	s_xor_b32 s3, s3, s4
	s_sub_i32 s3, s3, s4
	s_add_i32 s2, s2, s27
	s_sub_i32 s2, s2, s3
	s_cmp_eq_u32 s3, 0
	s_cselect_b32 s33, s27, s2
	v_cmp_gt_u32_e32 vcc, s33, v82
	s_and_b64 exec, exec, vcc
	s_cbranch_execz .LBB229_110
; %bb.8:
	s_load_dwordx8 s[16:23], s[0:1], 0x10
	s_min_u32 s44, s26, 0x2a00
	s_cmp_lg_u32 s24, 0
	s_load_dwordx2 s[14:15], s[0:1], 0x30
	s_cselect_b64 s[2:3], -1, 0
	s_cmp_lg_u32 s26, 0
	s_mul_i32 s0, s9, s8
	s_cselect_b64 s[4:5], -1, 0
	s_lshl_b32 s45, s8, 8
	s_add_i32 s46, s24, -8
	s_add_i32 s47, s27, -1
	s_lshl_b32 s48, s0, 2
	s_waitcnt lgkmcnt(0)
	s_cmp_lg_u64 s[22:23], 0
	s_cselect_b64 s[30:31], -1, 0
	s_abs_i32 s6, s17
	v_cvt_f32_u32_e32 v1, s16
	v_cvt_f32_u32_e32 v6, s6
	s_sub_i32 s7, 0, s16
	s_add_i32 s17, s27, -4
	v_rcp_iflag_f32_e32 v1, v1
	v_rcp_iflag_f32_e32 v6, v6
	v_and_b32_e32 v0, 0x3ff, v0
	v_lshlrev_b32_e32 v92, 3, v0
	v_mul_f32_e32 v1, 0x4f7ffffe, v1
	v_mul_f32_e32 v6, 0x4f7ffffe, v6
	v_cvt_u32_f32_e32 v1, v1
	v_cvt_u32_f32_e32 v6, v6
	v_cmp_eq_u32_e64 s[0:1], 31, v0
	v_lshlrev_b32_e32 v0, 4, v0
	v_mul_lo_u32 v8, s7, v1
	s_sub_i32 s7, 0, s6
	v_readfirstlane_b32 s9, v6
	s_mul_i32 s7, s7, s9
	s_mul_hi_u32 s7, s9, s7
	s_add_i32 s9, s9, s7
	s_sub_i32 s7, 1, s6
	s_cmp_lt_u32 s6, 2
	s_cselect_b32 s7, s7, 1
	s_sub_i32 s10, s7, s6
	s_cmp_ge_u32 s7, s6
	s_cselect_b32 s49, s10, s7
	s_lshr_b32 s7, s9, 31
	s_mul_i32 s7, s7, s6
	s_sub_i32 s7, 2, s7
	s_sub_i32 s9, s7, s6
	s_cmp_ge_u32 s7, s6
	s_cselect_b32 s7, s9, s7
	s_sub_i32 s9, s7, s6
	s_cmp_ge_u32 s7, s6
	v_lshl_add_u32 v94, v7, 9, v0
	v_cndmask_b32_e64 v0, 0, 1, s[2:3]
	v_mul_hi_u32 v8, v1, v8
	s_cselect_b32 s50, s9, s7
	s_add_u32 s34, s14, 2
	v_lshl_add_u32 v95, v7, 8, v92
	v_cmp_ne_u32_e64 s[2:3], 1, v0
	v_cndmask_b32_e64 v0, 0, 1, s[4:5]
	s_mov_b64 s[28:29], 0
	v_add_u32_e32 v93, v1, v8
	v_mov_b32_e32 v1, 0
	s_mul_i32 s49, s49, s16
	s_mul_i32 s50, s50, s16
	s_addc_u32 s35, s15, 0
	s_lshl_b32 s51, s44, 2
	s_lshl_b32 s52, s8, 9
	;; [unrolled: 1-line block ×3, first 2 shown]
	v_lshl_add_u32 v96, s26, 1, v95
	v_add_u32_e32 v97, s26, v95
	v_cmp_ne_u32_e64 s[4:5], 1, v0
	s_mov_b32 s54, 0x7f800000
	s_movk_i32 s55, 0x7fff
	s_branch .LBB229_12
.LBB229_9:                              ;   in Loop: Header=BB229_12 Depth=1
	s_or_b64 exec, exec, s[10:11]
	v_mov_b32_e32 v82, s17
.LBB229_10:                             ;   in Loop: Header=BB229_12 Depth=1
	s_or_b64 exec, exec, s[8:9]
.LBB229_11:                             ;   in Loop: Header=BB229_12 Depth=1
	s_or_b64 exec, exec, s[36:37]
	v_cmp_le_u32_e32 vcc, s33, v82
	s_or_b64 s[28:29], vcc, s[28:29]
	s_andn2_b64 exec, exec, s[28:29]
	s_cbranch_execz .LBB229_110
.LBB229_12:                             ; =>This Loop Header: Depth=1
                                        ;     Child Loop BB229_16 Depth 2
                                        ;       Child Loop BB229_21 Depth 3
                                        ;     Child Loop BB229_108 Depth 2
	s_and_b64 vcc, exec, s[2:3]
	v_mov_b32_e32 v9, v1
	v_mov_b32_e32 v8, v1
	s_waitcnt vmcnt(8)
	v_mov_b32_e32 v7, v1
	v_mov_b32_e32 v6, v1
	;; [unrolled: 1-line block ×8, first 2 shown]
	s_waitcnt vmcnt(0)
	v_mov_b32_e32 v15, v1
	v_mov_b32_e32 v14, v1
	;; [unrolled: 1-line block ×38, first 2 shown]
	s_cbranch_vccnz .LBB229_27
; %bb.13:                               ;   in Loop: Header=BB229_12 Depth=1
	v_min_u32_e32 v0, s47, v82
	v_mul_lo_u32 v84, v0, s25
	v_add_u32_e32 v0, 1, v82
	v_min_u32_e32 v0, s47, v0
	v_mul_lo_u32 v86, v0, s25
	v_add_u32_e32 v0, 2, v82
	;; [unrolled: 3-line block ×3, first 2 shown]
	v_min_u32_e32 v0, s47, v0
	v_mov_b32_e32 v22, 0
	v_cmp_gt_u32_e64 s[6:7], s27, v82
	v_mov_b32_e32 v85, v1
	v_mov_b32_e32 v87, v1
	;; [unrolled: 1-line block ×3, first 2 shown]
	v_mul_lo_u32 v90, v0, s25
	v_mov_b32_e32 v91, v1
	s_mov_b32 s36, 0
	s_mov_b32 s37, 0
	v_mov_b32_e32 v23, v22
	v_mov_b32_e32 v24, v22
	;; [unrolled: 1-line block ×47, first 2 shown]
	s_branch .LBB229_16
.LBB229_14:                             ;   in Loop: Header=BB229_16 Depth=2
	s_or_b64 exec, exec, s[10:11]
	s_waitcnt vmcnt(3) lgkmcnt(2)
	v_mfma_f32_4x4x4_16b_bf16 v[50:53], v[78:79], v[58:59], v[50:53]
	s_waitcnt vmcnt(2)
	v_mfma_f32_4x4x4_16b_bf16 v[46:49], v[78:79], v[54:55], v[46:49]
	s_waitcnt vmcnt(1)
	;; [unrolled: 2-line block ×3, first 2 shown]
	v_mfma_f32_4x4x4_16b_bf16 v[38:41], v[78:79], v[62:63], v[38:41]
	s_waitcnt lgkmcnt(1)
	v_mfma_f32_4x4x4_16b_bf16 v[34:37], v[74:75], v[58:59], v[34:37]
	v_mfma_f32_4x4x4_16b_bf16 v[30:33], v[74:75], v[54:55], v[30:33]
	;; [unrolled: 1-line block ×4, first 2 shown]
	s_waitcnt lgkmcnt(0)
	v_mfma_f32_4x4x4_16b_bf16 v[18:21], v[70:71], v[58:59], v[18:21]
	v_mfma_f32_4x4x4_16b_bf16 v[14:17], v[70:71], v[54:55], v[14:17]
	;; [unrolled: 1-line block ×16, first 2 shown]
.LBB229_15:                             ;   in Loop: Header=BB229_16 Depth=2
	s_or_b64 exec, exec, s[8:9]
	s_addk_i32 s37, 0x100
	s_cmp_ge_u32 s37, s24
	s_cbranch_scc1 .LBB229_27
.LBB229_16:                             ;   Parent Loop BB229_12 Depth=1
                                        ; =>  This Loop Header: Depth=2
                                        ;       Child Loop BB229_21 Depth 3
	s_cmp_eq_u32 s37, 0
	s_cselect_b64 s[8:9], -1, 0
	s_add_i32 s10, s36, s44
	s_cmp_eq_u32 s37, s10
	s_cselect_b64 s[12:13], -1, 0
	s_or_b64 s[12:13], s[8:9], s[12:13]
	s_andn2_b64 vcc, exec, s[12:13]
	s_cbranch_vccz .LBB229_18
; %bb.17:                               ;   in Loop: Header=BB229_16 Depth=2
	s_and_saveexec_b64 s[8:9], s[6:7]
	s_cbranch_execz .LBB229_15
	s_branch .LBB229_25
.LBB229_18:                             ;   in Loop: Header=BB229_16 Depth=2
	s_and_b64 s[8:9], s[8:9], exec
	s_cselect_b32 s36, s36, s10
	s_and_b64 vcc, exec, s[4:5]
	s_barrier
	s_cbranch_vccnz .LBB229_24
; %bb.19:                               ;   in Loop: Header=BB229_16 Depth=2
	v_add_u32_e32 v54, s36, v96
	v_add_u32_e32 v55, s36, v97
	;; [unrolled: 1-line block ×3, first 2 shown]
	s_mov_b32 s38, 0
	s_mov_b64 s[10:11], 0
	v_mov_b32_e32 v57, v94
                                        ; implicit-def: $sgpr12_sgpr13
	s_branch .LBB229_21
.LBB229_20:                             ;   in Loop: Header=BB229_21 Depth=3
	s_or_b64 exec, exec, s[8:9]
	s_and_b64 s[8:9], exec, s[12:13]
	s_or_b64 s[10:11], s[8:9], s[10:11]
	s_andn2_b64 exec, exec, s[10:11]
	s_cbranch_execz .LBB229_23
.LBB229_21:                             ;   Parent Loop BB229_12 Depth=1
                                        ;     Parent Loop BB229_16 Depth=2
                                        ; =>    This Inner Loop Header: Depth=3
	v_add_u32_e32 v58, s38, v95
	v_add_u32_e32 v0, s38, v56
	v_cmp_gt_u32_e32 vcc, s26, v0
	v_cmp_gt_u32_e64 s[8:9], s44, v58
	s_and_b64 s[40:41], s[8:9], vcc
	s_or_b64 s[12:13], s[12:13], exec
	s_and_saveexec_b64 s[8:9], s[40:41]
	s_cbranch_execz .LBB229_20
; %bb.22:                               ;   in Loop: Header=BB229_21 Depth=3
	v_lshl_add_u64 v[58:59], v[0:1], 1, s[20:21]
	v_add_u32_e32 v0, s38, v55
	v_lshl_add_u64 v[62:63], v[0:1], 1, s[20:21]
	v_add_u32_e32 v0, s38, v54
	global_load_dwordx4 v[58:61], v[58:59], off
	s_nop 0
	global_load_dwordx4 v[62:65], v[62:63], off
	v_lshl_add_u64 v[66:67], v[0:1], 1, s[20:21]
	global_load_dwordx4 v[66:69], v[66:67], off
	s_add_i32 s38, s38, s45
	s_cmp_ge_u32 s38, s44
	s_cselect_b64 s[40:41], -1, 0
	s_andn2_b64 s[12:13], s[12:13], exec
	s_and_b64 s[40:41], s[40:41], exec
	v_add_u32_e32 v0, s53, v57
	v_add_u32_e32 v70, s51, v57
	s_or_b64 s[12:13], s[12:13], s[40:41]
	s_waitcnt vmcnt(2)
	ds_write_b128 v57, v[58:61]
	v_add_u32_e32 v57, s52, v57
	s_waitcnt vmcnt(1)
	ds_write2_b64 v0, v[62:63], v[64:65] offset1:1
	s_waitcnt vmcnt(0)
	ds_write2_b32 v70, v66, v67 offset1:1
	ds_write2_b32 v70, v68, v69 offset0:2 offset1:3
	s_branch .LBB229_20
.LBB229_23:                             ;   in Loop: Header=BB229_16 Depth=2
	s_or_b64 exec, exec, s[10:11]
.LBB229_24:                             ;   in Loop: Header=BB229_16 Depth=2
	s_waitcnt lgkmcnt(0)
	s_barrier
	s_and_saveexec_b64 s[8:9], s[6:7]
	s_cbranch_execz .LBB229_15
.LBB229_25:                             ;   in Loop: Header=BB229_16 Depth=2
	v_add_u32_e32 v83, s37, v92
	v_min_u32_e32 v0, s46, v83
	v_lshl_add_u64 v[62:63], v[0:1], 1, s[18:19]
	v_lshl_add_u64 v[64:65], v[84:85], 1, v[62:63]
	;; [unrolled: 1-line block ×4, first 2 shown]
	global_load_dwordx4 v[58:61], v[64:65], off nt
	global_load_dwordx4 v[54:57], v[66:67], off nt
	v_lshl_add_u64 v[72:73], v[90:91], 1, v[62:63]
	global_load_dwordx4 v[66:69], v[70:71], off nt
	global_load_dwordx4 v[62:65], v[72:73], off nt
	v_cmp_gt_u32_e32 vcc, s24, v83
	v_mov_b32_e32 v72, 0
	v_mov_b32_e32 v73, 0
	;; [unrolled: 1-line block ×12, first 2 shown]
	s_and_saveexec_b64 s[10:11], vcc
	s_cbranch_execz .LBB229_14
; %bb.26:                               ;   in Loop: Header=BB229_16 Depth=2
	v_subrev_u32_e32 v0, s36, v83
	v_lshlrev_b32_e32 v0, 1, v0
	v_add_u32_e32 v70, s53, v0
	ds_read_b128 v[78:81], v0
	ds_read_b128 v[74:77], v70
	v_add_u32_e32 v0, s53, v70
	ds_read_b128 v[70:73], v0
	s_branch .LBB229_14
.LBB229_27:                             ;   in Loop: Header=BB229_12 Depth=1
	v_cmp_le_u32_e32 vcc, s27, v82
	s_and_saveexec_b64 s[6:7], vcc
	s_xor_b64 s[6:7], exec, s[6:7]
; %bb.28:                               ;   in Loop: Header=BB229_12 Depth=1
	v_add_u32_e32 v82, s48, v82
                                        ; implicit-def: $vgpr9
                                        ; implicit-def: $vgpr13
                                        ; implicit-def: $vgpr17
                                        ; implicit-def: $vgpr21
                                        ; implicit-def: $vgpr53
                                        ; implicit-def: $vgpr49
                                        ; implicit-def: $vgpr45
                                        ; implicit-def: $vgpr41
                                        ; implicit-def: $vgpr37
                                        ; implicit-def: $vgpr33
                                        ; implicit-def: $vgpr29
                                        ; implicit-def: $vgpr25
; %bb.29:                               ;   in Loop: Header=BB229_12 Depth=1
	s_andn2_saveexec_b64 s[36:37], s[6:7]
	s_cbranch_execz .LBB229_11
; %bb.30:                               ;   in Loop: Header=BB229_12 Depth=1
	v_cvt_i32_f32_e32 v0, v51
	v_cvt_i32_f32_e32 v51, v52
	v_cvt_i32_f32_e32 v52, v53
	v_cvt_i32_f32_e32 v47, v47
	v_cvt_f32_i32_dpp v0, v0 row_shl:1 row_mask:0xf bank_mask:0xf bound_ctrl:1
	v_cvt_f32_i32_dpp v51, v51 row_shl:2 row_mask:0xf bank_mask:0xf bound_ctrl:1
	v_cvt_f32_i32_dpp v52, v52 row_shl:3 row_mask:0xf bank_mask:0xf bound_ctrl:1
	v_cvt_i32_f32_e32 v48, v48
	v_add_f32_e32 v0, v50, v0
	v_add_f32_e32 v0, v0, v51
	v_cvt_i32_f32_e32 v49, v49
	v_add_f32_e32 v0, v0, v52
	v_cvt_i32_f32_e32 v50, v0
	v_cvt_f32_i32_dpp v47, v47 row_shl:1 row_mask:0xf bank_mask:0xf bound_ctrl:1
	v_cvt_f32_i32_dpp v48, v48 row_shl:2 row_mask:0xf bank_mask:0xf bound_ctrl:1
	;; [unrolled: 1-line block ×4, first 2 shown]
	v_add_f32_e32 v46, v46, v47
	v_add_f32_e32 v46, v46, v48
	;; [unrolled: 1-line block ×3, first 2 shown]
	v_cvt_i32_f32_e32 v47, v46
	v_add_f32_e32 v0, v0, v50
	v_cvt_i32_f32_e32 v48, v0
	v_cvt_i32_f32_e32 v43, v43
	v_cvt_f32_i32_dpp v47, v47 row_shl:4 row_mask:0xf bank_mask:0xf bound_ctrl:1
	v_cvt_i32_f32_e32 v44, v44
	v_cvt_f32_i32_dpp v48, v48 row_shl:8 row_mask:0xf bank_mask:0xf bound_ctrl:1
	v_cvt_i32_f32_e32 v45, v45
	v_add_f32_e32 v46, v46, v47
	v_cvt_i32_f32_e32 v47, v46
	v_add_f32_e32 v0, v0, v48
	v_cvt_i32_f32_e32 v0, v0
	v_cvt_f32_i32_dpp v43, v43 row_shl:1 row_mask:0xf bank_mask:0xf bound_ctrl:1
	v_cvt_f32_i32_dpp v44, v44 row_shl:2 row_mask:0xf bank_mask:0xf bound_ctrl:1
	;; [unrolled: 1-line block ×4, first 2 shown]
	v_cvt_f32_i32_dpp v0, v0 row_shr:15 row_mask:0xf bank_mask:0xf bound_ctrl:1
	v_add_f32_e32 v42, v42, v43
	v_add_f32_e32 v42, v42, v44
	v_cvt_i32_f32_e32 v39, v39
	v_add_f32_e32 v46, v46, v47
	v_add_f32_e32 v43, v42, v45
	v_cvt_i32_f32_e32 v40, v40
	v_cvt_i32_f32_e32 v46, v46
	;; [unrolled: 1-line block ×5, first 2 shown]
	v_cvt_f32_i32_dpp v39, v39 row_shl:1 row_mask:0xf bank_mask:0xf bound_ctrl:1
	v_cvt_f32_i32_dpp v40, v40 row_shl:2 row_mask:0xf bank_mask:0xf bound_ctrl:1
	v_cvt_f32_i32_dpp v45, v46 row_shr:15 row_mask:0xf bank_mask:0xf bound_ctrl:1
	v_cvt_f32_i32_dpp v46, v42 row_shl:4 row_mask:0xf bank_mask:0xf bound_ctrl:1
	v_cvt_f32_i32_dpp v41, v41 row_shl:3 row_mask:0xf bank_mask:0xf bound_ctrl:1
	v_cvt_f32_i32_dpp v44, v47 row_bcast:15 row_mask:0xf bank_mask:0xf bound_ctrl:1
	v_add_f32_e32 v38, v38, v39
	v_add_f32_e32 v38, v38, v40
	;; [unrolled: 1-line block ×5, first 2 shown]
	v_cvt_i32_f32_e32 v44, v45
	v_cvt_i32_f32_e32 v46, v43
	;; [unrolled: 1-line block ×4, first 2 shown]
	v_cvt_f32_i32_dpp v41, v44 row_bcast:15 row_mask:0xf bank_mask:0xf bound_ctrl:1
	v_cvt_f32_i32_dpp v46, v46 row_shl:8 row_mask:0xf bank_mask:0xf bound_ctrl:1
	v_cvt_f32_i32_dpp v44, v38 row_shl:4 row_mask:0xf bank_mask:0xf bound_ctrl:1
	v_cvt_i32_f32_e32 v36, v36
	v_cvt_i32_f32_e32 v37, v37
	v_cvt_f32_i32_dpp v35, v35 row_shl:1 row_mask:0xf bank_mask:0xf bound_ctrl:1
	v_add_f32_e32 v39, v43, v46
	v_add_f32_e32 v40, v40, v44
	v_cvt_f32_i32_dpp v36, v36 row_shl:2 row_mask:0xf bank_mask:0xf bound_ctrl:1
	v_cvt_i32_f32_e32 v0, v42
	v_cvt_i32_f32_e32 v43, v39
	v_add_f32_e32 v38, v45, v41
	v_cvt_i32_f32_e32 v41, v40
	v_cvt_f32_i32_dpp v37, v37 row_shl:3 row_mask:0xf bank_mask:0xf bound_ctrl:1
	v_add_f32_e32 v34, v34, v35
	v_add_f32_e32 v34, v34, v36
	v_mov_b32_dpp v39, v0 row_bcast:31 row_mask:0xf bank_mask:0xf bound_ctrl:1
	v_cvt_f32_i32_dpp v0, v43 row_shr:15 row_mask:0xf bank_mask:0xf bound_ctrl:1
	v_cvt_f32_i32_dpp v41, v41 row_shl:8 row_mask:0xf bank_mask:0xf bound_ctrl:1
	v_add_f32_e32 v34, v34, v37
	v_cvt_i32_f32_e32 v35, v34
	v_cvt_i32_f32_e32 v36, v0
	v_add_f32_e32 v37, v40, v41
	v_cvt_i32_f32_e32 v37, v37
	v_cvt_f32_i32_dpp v35, v35 row_shl:4 row_mask:0xf bank_mask:0xf bound_ctrl:1
	v_cvt_i32_f32_e32 v31, v31
	v_cvt_f32_i32_dpp v36, v36 row_bcast:15 row_mask:0xf bank_mask:0xf bound_ctrl:1
	v_cvt_i32_f32_e32 v32, v32
	v_cvt_f32_i32_dpp v37, v37 row_shr:15 row_mask:0xf bank_mask:0xf bound_ctrl:1
	v_add_f32_e32 v41, v34, v35
	v_cvt_i32_f32_e32 v33, v33
	v_cvt_i32_f32_e32 v35, v41
	v_cvt_f32_i32_dpp v31, v31 row_shl:1 row_mask:0xf bank_mask:0xf bound_ctrl:1
	v_cvt_i32_f32_e32 v27, v27
	v_add_f32_e32 v34, v0, v36
	v_cvt_f32_i32_dpp v32, v32 row_shl:2 row_mask:0xf bank_mask:0xf bound_ctrl:1
	v_cvt_i32_f32_e32 v28, v28
	v_cvt_i32_f32_e32 v0, v34
	;; [unrolled: 1-line block ×3, first 2 shown]
	v_cvt_f32_i32_dpp v33, v33 row_shl:3 row_mask:0xf bank_mask:0xf bound_ctrl:1
	v_cvt_i32_f32_e32 v29, v29
	v_cvt_i32_f32_e32 v40, v38
	v_cvt_f32_i32_dpp v44, v35 row_shl:8 row_mask:0xf bank_mask:0xf bound_ctrl:1
	v_add_f32_e32 v30, v30, v31
	v_cvt_f32_i32_dpp v27, v27 row_shl:1 row_mask:0xf bank_mask:0xf bound_ctrl:1
	v_add_f32_e32 v30, v30, v32
	v_cvt_f32_i32_dpp v28, v28 row_shl:2 row_mask:0xf bank_mask:0xf bound_ctrl:1
	v_mov_b32_dpp v35, v0 row_bcast:31 row_mask:0xf bank_mask:0xf bound_ctrl:1
	v_cvt_f32_i32_dpp v0, v43 row_bcast:15 row_mask:0xf bank_mask:0xf bound_ctrl:1
	v_add_f32_e32 v31, v30, v33
	v_cvt_f32_i32_dpp v29, v29 row_shl:3 row_mask:0xf bank_mask:0xf bound_ctrl:1
	v_mov_b32_dpp v36, v40 row_bcast:31 row_mask:0xf bank_mask:0xf bound_ctrl:1
	v_add_f32_e32 v40, v41, v44
	v_cvt_i32_f32_e32 v32, v31
	v_cvt_i32_f32_e32 v40, v40
	v_add_f32_e32 v26, v26, v27
	v_add_f32_e32 v26, v26, v28
	v_cvt_i32_f32_e32 v23, v23
	v_add_f32_e32 v30, v37, v0
	v_add_f32_e32 v28, v26, v29
	v_cvt_i32_f32_e32 v24, v24
	v_cvt_i32_f32_e32 v0, v30
	v_cvt_f32_i32_dpp v32, v32 row_shl:4 row_mask:0xf bank_mask:0xf bound_ctrl:1
	v_cvt_i32_f32_e32 v26, v28
	v_cvt_i32_f32_e32 v25, v25
	v_cvt_f32_i32_dpp v40, v40 row_shr:15 row_mask:0xf bank_mask:0xf bound_ctrl:1
	v_cvt_f32_i32_dpp v23, v23 row_shl:1 row_mask:0xf bank_mask:0xf bound_ctrl:1
	v_cvt_f32_i32_dpp v24, v24 row_shl:2 row_mask:0xf bank_mask:0xf bound_ctrl:1
	v_add_f32_e32 v31, v31, v32
	v_mov_b32_dpp v27, v0 row_bcast:31 row_mask:0xf bank_mask:0xf bound_ctrl:1
	v_cvt_f32_i32_dpp v0, v26 row_shl:4 row_mask:0xf bank_mask:0xf bound_ctrl:1
	v_cvt_f32_i32_dpp v25, v25 row_shl:3 row_mask:0xf bank_mask:0xf bound_ctrl:1
	v_cvt_i32_f32_e32 v33, v40
	v_cvt_i32_f32_e32 v32, v31
	v_add_f32_e32 v22, v22, v23
	v_add_f32_e32 v22, v22, v24
	;; [unrolled: 1-line block ×4, first 2 shown]
	v_cvt_f32_i32_dpp v29, v33 row_bcast:15 row_mask:0xf bank_mask:0xf bound_ctrl:1
	v_cvt_f32_i32_dpp v32, v32 row_shl:8 row_mask:0xf bank_mask:0xf bound_ctrl:1
	v_cvt_i32_f32_e32 v28, v0
	v_cvt_i32_f32_e32 v23, v22
	v_add_f32_e32 v26, v40, v29
	v_add_f32_e32 v29, v31, v32
	v_cvt_f32_i32_dpp v28, v28 row_shl:8 row_mask:0xf bank_mask:0xf bound_ctrl:1
	v_cvt_f32_i32_dpp v23, v23 row_shl:4 row_mask:0xf bank_mask:0xf bound_ctrl:1
	v_cvt_i32_f32_e32 v29, v29
	v_cvt_i32_f32_e32 v19, v19
	v_add_f32_e32 v0, v0, v28
	v_add_f32_e32 v23, v22, v23
	v_cvt_f32_i32_dpp v25, v29 row_shr:15 row_mask:0xf bank_mask:0xf bound_ctrl:1
	v_cvt_i32_f32_e32 v0, v0
	v_cvt_i32_f32_e32 v22, v23
	;; [unrolled: 1-line block ×5, first 2 shown]
	v_cvt_f32_i32_dpp v0, v0 row_shr:15 row_mask:0xf bank_mask:0xf bound_ctrl:1
	v_cvt_f32_i32_dpp v31, v22 row_shl:8 row_mask:0xf bank_mask:0xf bound_ctrl:1
	v_cvt_f32_i32_dpp v19, v19 row_shl:1 row_mask:0xf bank_mask:0xf bound_ctrl:1
	v_cvt_i32_f32_e32 v15, v15
	v_cvt_f32_i32_dpp v20, v20 row_shl:2 row_mask:0xf bank_mask:0xf bound_ctrl:1
	v_cvt_i32_f32_e32 v16, v16
	;; [unrolled: 2-line block ×3, first 2 shown]
	v_cvt_i32_f32_e32 v11, v11
	v_cvt_f32_i32_dpp v28, v28 row_bcast:15 row_mask:0xf bank_mask:0xf bound_ctrl:1
	v_cvt_i32_f32_e32 v29, v0
	v_add_f32_e32 v23, v23, v31
	v_cvt_i32_f32_e32 v23, v23
	v_add_f32_e32 v18, v18, v19
	v_cvt_f32_i32_dpp v15, v15 row_shl:1 row_mask:0xf bank_mask:0xf bound_ctrl:1
	v_cvt_i32_f32_e32 v7, v7
	v_add_f32_e32 v18, v18, v20
	v_cvt_f32_i32_dpp v16, v16 row_shl:2 row_mask:0xf bank_mask:0xf bound_ctrl:1
	v_cvt_i32_f32_e32 v12, v12
	v_cvt_i32_f32_e32 v8, v8
	v_add_f32_e32 v20, v18, v21
	v_cvt_f32_i32_dpp v17, v17 row_shl:3 row_mask:0xf bank_mask:0xf bound_ctrl:1
	v_cvt_f32_i32_dpp v11, v11 row_shl:1 row_mask:0xf bank_mask:0xf bound_ctrl:1
	v_cvt_i32_f32_e32 v13, v13
	v_cvt_i32_f32_e32 v9, v9
	v_add_f32_e32 v22, v25, v28
	v_cvt_f32_i32_dpp v28, v29 row_bcast:15 row_mask:0xf bank_mask:0xf bound_ctrl:1
	v_cvt_i32_f32_e32 v18, v20
	v_cvt_f32_i32_dpp v23, v23 row_shr:15 row_mask:0xf bank_mask:0xf bound_ctrl:1
	v_add_f32_e32 v14, v14, v15
	v_cvt_f32_i32_dpp v7, v7 row_shl:1 row_mask:0xf bank_mask:0xf bound_ctrl:1
	v_add_f32_e32 v14, v14, v16
	v_cvt_f32_i32_dpp v12, v12 row_shl:2 row_mask:0xf bank_mask:0xf bound_ctrl:1
	v_cvt_f32_i32_dpp v8, v8 row_shl:2 row_mask:0xf bank_mask:0xf bound_ctrl:1
	v_add_f32_e32 v15, v14, v17
	v_add_f32_e32 v10, v10, v11
	v_cvt_f32_i32_dpp v11, v13 row_shl:3 row_mask:0xf bank_mask:0xf bound_ctrl:1
	v_cvt_f32_i32_dpp v9, v9 row_shl:3 row_mask:0xf bank_mask:0xf bound_ctrl:1
	v_add_f32_e32 v19, v0, v28
	v_cvt_f32_i32_dpp v0, v18 row_shl:4 row_mask:0xf bank_mask:0xf bound_ctrl:1
	v_cvt_i32_f32_e32 v16, v15
	v_cvt_i32_f32_e32 v25, v22
	;; [unrolled: 1-line block ×3, first 2 shown]
	v_add_f32_e32 v6, v6, v7
	v_add_f32_e32 v10, v10, v12
	;; [unrolled: 1-line block ×6, first 2 shown]
	v_cvt_f32_i32_dpp v16, v16 row_shl:4 row_mask:0xf bank_mask:0xf bound_ctrl:1
	v_cvt_i32_f32_e32 v11, v10
	v_cvt_i32_f32_e32 v7, v6
	v_mov_b32_dpp v21, v25 row_bcast:31 row_mask:0xf bank_mask:0xf bound_ctrl:1
	v_cvt_f32_i32_dpp v25, v29 row_bcast:15 row_mask:0xf bank_mask:0xf bound_ctrl:1
	v_cvt_i32_f32_e32 v20, v0
	v_add_f32_e32 v15, v15, v16
	v_cvt_f32_i32_dpp v9, v11 row_shl:4 row_mask:0xf bank_mask:0xf bound_ctrl:1
	v_cvt_f32_i32_dpp v7, v7 row_shl:4 row_mask:0xf bank_mask:0xf bound_ctrl:1
	v_add_f32_e32 v18, v23, v25
	v_cvt_f32_i32_dpp v25, v20 row_shl:8 row_mask:0xf bank_mask:0xf bound_ctrl:1
	v_cvt_i32_f32_e32 v16, v15
	v_add_f32_e32 v9, v10, v9
	v_add_f32_e32 v6, v6, v7
	;; [unrolled: 1-line block ×3, first 2 shown]
	v_cvt_f32_i32_dpp v8, v16 row_shl:8 row_mask:0xf bank_mask:0xf bound_ctrl:1
	v_cvt_i32_f32_e32 v10, v9
	v_cvt_i32_f32_e32 v7, v6
	v_cvt_i32_f32_e32 v0, v0
	v_add_f32_e32 v8, v15, v8
	v_cvt_f32_i32_dpp v10, v10 row_shl:8 row_mask:0xf bank_mask:0xf bound_ctrl:1
	v_cvt_f32_i32_dpp v7, v7 row_shl:8 row_mask:0xf bank_mask:0xf bound_ctrl:1
	v_cvt_f32_i32_dpp v0, v0 row_shr:15 row_mask:0xf bank_mask:0xf bound_ctrl:1
	v_cvt_i32_f32_e32 v8, v8
	v_add_f32_e32 v9, v9, v10
	v_add_f32_e32 v6, v6, v7
	v_cvt_i32_f32_e32 v11, v0
	v_cvt_f32_i32_dpp v8, v8 row_shr:15 row_mask:0xf bank_mask:0xf bound_ctrl:1
	v_cvt_i32_f32_e32 v9, v9
	v_cvt_i32_f32_e32 v6, v6
	v_cvt_f32_i32_dpp v7, v11 row_bcast:15 row_mask:0xf bank_mask:0xf bound_ctrl:1
	v_cvt_i32_f32_e32 v10, v8
	v_cvt_f32_i32_dpp v9, v9 row_shr:15 row_mask:0xf bank_mask:0xf bound_ctrl:1
	v_cvt_f32_i32_dpp v6, v6 row_shr:15 row_mask:0xf bank_mask:0xf bound_ctrl:1
	v_add_f32_e32 v16, v0, v7
	v_cvt_f32_i32_dpp v7, v10 row_bcast:15 row_mask:0xf bank_mask:0xf bound_ctrl:1
	v_cvt_i32_f32_e32 v0, v9
	v_cvt_i32_f32_e32 v10, v6
	;; [unrolled: 1-line block ×3, first 2 shown]
	v_add_f32_e32 v12, v8, v7
	v_cvt_f32_i32_dpp v0, v0 row_bcast:15 row_mask:0xf bank_mask:0xf bound_ctrl:1
	v_cvt_f32_i32_dpp v7, v10 row_bcast:15 row_mask:0xf bank_mask:0xf bound_ctrl:1
	v_cvt_i32_f32_e32 v28, v19
	v_cvt_i32_f32_e32 v23, v18
	v_add_f32_e32 v10, v9, v0
	v_add_f32_e32 v8, v6, v7
	v_cvt_i32_f32_e32 v11, v16
	v_cvt_i32_f32_e32 v13, v12
	;; [unrolled: 1-line block ×4, first 2 shown]
	v_mov_b32_dpp v24, v24 row_bcast:31 row_mask:0xf bank_mask:0xf bound_ctrl:1
	v_mov_b32_dpp v20, v28 row_bcast:31 row_mask:0xf bank_mask:0xf bound_ctrl:1
	;; [unrolled: 1-line block ×7, first 2 shown]
	s_and_saveexec_b64 s[38:39], s[0:1]
	s_cbranch_execz .LBB229_105
; %bb.31:                               ;   in Loop: Header=BB229_12 Depth=1
	s_andn2_b64 vcc, exec, s[30:31]
	v_mov_b32_e32 v41, 0
	v_add_u32_e32 v0, 2, v82
	v_add_u32_e32 v6, 3, v82
	v_mov_b32_e32 v40, 0
	v_mov_b32_e32 v37, 0
	;; [unrolled: 1-line block ×11, first 2 shown]
	s_cbranch_vccnz .LBB229_33
; %bb.32:                               ;   in Loop: Header=BB229_12 Depth=1
	v_mul_hi_u32 v7, v82, v93
	v_mul_lo_u32 v7, v7, s16
	v_sub_u32_e32 v7, v82, v7
	v_subrev_u32_e32 v15, s16, v7
	v_cmp_le_u32_e32 vcc, s16, v7
	v_mov_b32_e32 v33, v1
	v_mov_b32_e32 v29, v1
	v_cndmask_b32_e32 v7, v7, v15, vcc
	v_subrev_u32_e32 v15, s16, v7
	v_cmp_le_u32_e32 vcc, s16, v7
	v_mov_b32_e32 v47, v1
	v_mov_b32_e32 v51, v1
	v_cndmask_b32_e32 v28, v7, v15, vcc
	v_add_u32_e32 v7, 1, v82
	v_mul_hi_u32 v15, v7, v93
	v_mul_lo_u32 v15, v15, s16
	v_sub_u32_e32 v7, v7, v15
	v_subrev_u32_e32 v15, s16, v7
	v_cmp_le_u32_e32 vcc, s16, v7
	v_add_u32_e32 v32, s49, v28
	v_lshl_add_u64 v[58:59], v[32:33], 1, s[22:23]
	v_cndmask_b32_e32 v7, v7, v15, vcc
	v_subrev_u32_e32 v15, s16, v7
	v_cmp_le_u32_e32 vcc, s16, v7
	v_lshl_add_u64 v[44:45], v[28:29], 1, s[22:23]
	v_mov_b32_e32 v55, v1
	v_cndmask_b32_e32 v46, v7, v15, vcc
	v_mul_hi_u32 v7, v0, v93
	v_mul_lo_u32 v7, v7, s16
	v_sub_u32_e32 v7, v0, v7
	v_subrev_u32_e32 v15, s16, v7
	v_cmp_le_u32_e32 vcc, s16, v7
	v_add_u32_e32 v32, s49, v46
	v_lshl_add_u64 v[60:61], v[32:33], 1, s[22:23]
	v_cndmask_b32_e32 v7, v7, v15, vcc
	v_subrev_u32_e32 v15, s16, v7
	v_cmp_le_u32_e32 vcc, s16, v7
	v_lshl_add_u64 v[48:49], v[46:47], 1, s[22:23]
	v_add_u32_e32 v46, s50, v46
	v_cndmask_b32_e32 v50, v7, v15, vcc
	v_mul_hi_u32 v7, v6, v93
	v_mul_lo_u32 v7, v7, s16
	v_sub_u32_e32 v7, v6, v7
	v_subrev_u32_e32 v15, s16, v7
	v_cmp_le_u32_e32 vcc, s16, v7
	v_add_u32_e32 v32, s49, v50
	v_lshl_add_u64 v[62:63], v[32:33], 1, s[22:23]
	v_cndmask_b32_e32 v7, v7, v15, vcc
	v_subrev_u32_e32 v15, s16, v7
	v_cmp_le_u32_e32 vcc, s16, v7
	v_lshl_add_u64 v[52:53], v[50:51], 1, s[22:23]
	v_lshl_add_u64 v[46:47], v[46:47], 1, s[22:23]
	v_cndmask_b32_e32 v54, v7, v15, vcc
	v_add_u32_e32 v32, s49, v54
	v_lshl_add_u64 v[56:57], v[54:55], 1, s[22:23]
	v_lshl_add_u64 v[64:65], v[32:33], 1, s[22:23]
	global_load_ushort v41, v[44:45], off
	global_load_ushort v40, v[48:49], off
	;; [unrolled: 1-line block ×8, first 2 shown]
	v_add_u32_e32 v44, s50, v28
	v_mov_b32_e32 v45, v1
	v_lshl_add_u64 v[44:45], v[44:45], 1, s[22:23]
	v_add_u32_e32 v48, s50, v50
	v_mov_b32_e32 v49, v1
	v_add_u32_e32 v50, s50, v54
	v_lshl_add_u64 v[48:49], v[48:49], 1, s[22:23]
	v_lshl_add_u64 v[50:51], v[50:51], 1, s[22:23]
	global_load_ushort v28, v[44:45], off
	global_load_ushort v25, v[46:47], off
	;; [unrolled: 1-line block ×4, first 2 shown]
.LBB229_33:                             ;   in Loop: Header=BB229_12 Depth=1
	v_cmp_ne_u32_e32 vcc, 0, v2
	s_and_saveexec_b64 s[8:9], vcc
	s_cbranch_execnz .LBB229_45
; %bb.34:                               ;   in Loop: Header=BB229_12 Depth=1
	s_or_b64 exec, exec, s[8:9]
	v_cmp_ne_u32_e64 s[6:7], 0, v3
	s_and_saveexec_b64 s[10:11], s[6:7]
	s_cbranch_execnz .LBB229_50
.LBB229_35:                             ;   in Loop: Header=BB229_12 Depth=1
	s_or_b64 exec, exec, s[10:11]
	v_cmp_ne_u32_e64 s[8:9], 0, v4
	s_and_saveexec_b64 s[12:13], s[8:9]
	s_cbranch_execnz .LBB229_55
.LBB229_36:                             ;   in Loop: Header=BB229_12 Depth=1
	s_or_b64 exec, exec, s[12:13]
	v_cmp_ne_u32_e64 s[10:11], 0, v5
	s_and_saveexec_b64 s[40:41], s[10:11]
	s_cbranch_execnz .LBB229_60
.LBB229_37:                             ;   in Loop: Header=BB229_12 Depth=1
	s_or_b64 exec, exec, s[40:41]
	v_add_u32_e32 v0, s27, v82
	s_and_saveexec_b64 s[40:41], vcc
	s_cbranch_execnz .LBB229_65
.LBB229_38:                             ;   in Loop: Header=BB229_12 Depth=1
	s_or_b64 exec, exec, s[40:41]
	s_and_saveexec_b64 s[40:41], s[6:7]
	s_cbranch_execnz .LBB229_70
.LBB229_39:                             ;   in Loop: Header=BB229_12 Depth=1
	s_or_b64 exec, exec, s[40:41]
	s_and_saveexec_b64 s[40:41], s[8:9]
	s_cbranch_execnz .LBB229_75
.LBB229_40:                             ;   in Loop: Header=BB229_12 Depth=1
	s_or_b64 exec, exec, s[40:41]
	s_and_saveexec_b64 s[40:41], s[10:11]
	s_cbranch_execnz .LBB229_80
.LBB229_41:                             ;   in Loop: Header=BB229_12 Depth=1
	s_or_b64 exec, exec, s[40:41]
	v_add_u32_e32 v0, s27, v0
	s_and_saveexec_b64 s[12:13], vcc
	s_cbranch_execnz .LBB229_85
.LBB229_42:                             ;   in Loop: Header=BB229_12 Depth=1
	s_or_b64 exec, exec, s[12:13]
	s_and_saveexec_b64 s[12:13], s[6:7]
	s_cbranch_execnz .LBB229_90
.LBB229_43:                             ;   in Loop: Header=BB229_12 Depth=1
	s_or_b64 exec, exec, s[12:13]
	s_and_saveexec_b64 s[6:7], s[8:9]
	s_cbranch_execnz .LBB229_95
.LBB229_44:                             ;   in Loop: Header=BB229_12 Depth=1
	s_or_b64 exec, exec, s[6:7]
	s_and_b64 exec, exec, s[10:11]
	s_cbranch_execnz .LBB229_100
	s_branch .LBB229_105
.LBB229_45:                             ;   in Loop: Header=BB229_12 Depth=1
	v_cvt_f32_i32_e32 v39, v39
	s_waitcnt vmcnt(11)
	v_lshlrev_b32_e32 v41, 16, v41
	v_add_f32_e32 v39, v42, v39
	v_add_f32_e32 v41, v39, v41
	v_and_b32_e32 v39, 0x7f800000, v41
	v_cmp_ne_u32_e64 s[6:7], s54, v39
                                        ; implicit-def: $vgpr39
	s_and_saveexec_b64 s[10:11], s[6:7]
	s_xor_b64 s[6:7], exec, s[10:11]
; %bb.46:                               ;   in Loop: Header=BB229_12 Depth=1
	v_bfe_u32 v39, v41, 16, 1
	v_add3_u32 v39, v41, v39, s55
                                        ; implicit-def: $vgpr41
; %bb.47:                               ;   in Loop: Header=BB229_12 Depth=1
	s_andn2_saveexec_b64 s[10:11], s[6:7]
; %bb.48:                               ;   in Loop: Header=BB229_12 Depth=1
	v_or_b32_e32 v39, 0x10000, v41
	v_cmp_eq_u32_sdwa s[6:7], v41, v1 src0_sel:WORD_0 src1_sel:DWORD
	s_nop 1
	v_cndmask_b32_e64 v39, v39, v41, s[6:7]
; %bb.49:                               ;   in Loop: Header=BB229_12 Depth=1
	s_or_b64 exec, exec, s[10:11]
	v_mov_b32_e32 v83, v1
	v_lshl_add_u64 v[42:43], v[82:83], 1, s[14:15]
	global_store_short_d16_hi v[42:43], v39, off
	s_or_b64 exec, exec, s[8:9]
	v_cmp_ne_u32_e64 s[6:7], 0, v3
	s_and_saveexec_b64 s[10:11], s[6:7]
	s_cbranch_execz .LBB229_35
.LBB229_50:                             ;   in Loop: Header=BB229_12 Depth=1
	v_cvt_f32_i32_e32 v36, v36
	v_add_f32_e32 v36, v38, v36
	s_waitcnt vmcnt(10)
	v_lshlrev_b32_e32 v38, 16, v40
	v_add_f32_e32 v38, v36, v38
	v_and_b32_e32 v36, 0x7f800000, v38
	v_cmp_ne_u32_e64 s[8:9], s54, v36
                                        ; implicit-def: $vgpr36
	s_and_saveexec_b64 s[12:13], s[8:9]
	s_xor_b64 s[8:9], exec, s[12:13]
; %bb.51:                               ;   in Loop: Header=BB229_12 Depth=1
	v_bfe_u32 v36, v38, 16, 1
	v_add3_u32 v36, v38, v36, s55
                                        ; implicit-def: $vgpr38
; %bb.52:                               ;   in Loop: Header=BB229_12 Depth=1
	s_andn2_saveexec_b64 s[12:13], s[8:9]
; %bb.53:                               ;   in Loop: Header=BB229_12 Depth=1
	v_or_b32_e32 v36, 0x10000, v38
	v_cmp_eq_u32_sdwa s[8:9], v38, v1 src0_sel:WORD_0 src1_sel:DWORD
	s_nop 1
	v_cndmask_b32_e64 v36, v36, v38, s[8:9]
; %bb.54:                               ;   in Loop: Header=BB229_12 Depth=1
	s_or_b64 exec, exec, s[12:13]
	v_mov_b32_e32 v83, v1
	v_lshl_add_u64 v[38:39], v[82:83], 1, s[34:35]
	global_store_short_d16_hi v[38:39], v36, off
	s_or_b64 exec, exec, s[10:11]
	v_cmp_ne_u32_e64 s[8:9], 0, v4
	s_and_saveexec_b64 s[12:13], s[8:9]
	s_cbranch_execz .LBB229_36
.LBB229_55:                             ;   in Loop: Header=BB229_12 Depth=1
	v_cvt_f32_i32_e32 v35, v35
	v_add_f32_e32 v34, v34, v35
	s_waitcnt vmcnt(9)
	v_lshlrev_b32_e32 v35, 16, v37
	v_add_f32_e32 v35, v34, v35
	v_and_b32_e32 v34, 0x7f800000, v35
	v_cmp_ne_u32_e64 s[10:11], s54, v34
                                        ; implicit-def: $vgpr34
	s_and_saveexec_b64 s[40:41], s[10:11]
	s_xor_b64 s[10:11], exec, s[40:41]
; %bb.56:                               ;   in Loop: Header=BB229_12 Depth=1
	v_bfe_u32 v34, v35, 16, 1
	v_add3_u32 v34, v35, v34, s55
                                        ; implicit-def: $vgpr35
; %bb.57:                               ;   in Loop: Header=BB229_12 Depth=1
	s_andn2_saveexec_b64 s[40:41], s[10:11]
; %bb.58:                               ;   in Loop: Header=BB229_12 Depth=1
	v_or_b32_e32 v34, 0x10000, v35
	v_cmp_eq_u32_sdwa s[10:11], v35, v1 src0_sel:WORD_0 src1_sel:DWORD
	s_nop 1
	v_cndmask_b32_e64 v34, v34, v35, s[10:11]
; %bb.59:                               ;   in Loop: Header=BB229_12 Depth=1
	s_or_b64 exec, exec, s[40:41]
	v_lshl_add_u64 v[36:37], v[0:1], 1, s[14:15]
	global_store_short_d16_hi v[36:37], v34, off
	s_or_b64 exec, exec, s[12:13]
	v_cmp_ne_u32_e64 s[10:11], 0, v5
	s_and_saveexec_b64 s[40:41], s[10:11]
	s_cbranch_execz .LBB229_37
.LBB229_60:                             ;   in Loop: Header=BB229_12 Depth=1
	v_cvt_f32_i32_e32 v0, v27
	s_waitcnt vmcnt(8)
	v_lshlrev_b32_e32 v7, 16, v7
	v_add_f32_e32 v0, v30, v0
	v_add_f32_e32 v7, v0, v7
	v_and_b32_e32 v0, 0x7f800000, v7
	v_cmp_ne_u32_e64 s[12:13], s54, v0
                                        ; implicit-def: $vgpr0
	s_and_saveexec_b64 s[42:43], s[12:13]
	s_xor_b64 s[12:13], exec, s[42:43]
; %bb.61:                               ;   in Loop: Header=BB229_12 Depth=1
	v_bfe_u32 v0, v7, 16, 1
	v_add3_u32 v0, v7, v0, s55
                                        ; implicit-def: $vgpr7
; %bb.62:                               ;   in Loop: Header=BB229_12 Depth=1
	s_andn2_saveexec_b64 s[42:43], s[12:13]
; %bb.63:                               ;   in Loop: Header=BB229_12 Depth=1
	v_or_b32_e32 v0, 0x10000, v7
	v_cmp_eq_u32_sdwa s[12:13], v7, v1 src0_sel:WORD_0 src1_sel:DWORD
	s_nop 1
	v_cndmask_b32_e64 v0, v0, v7, s[12:13]
; %bb.64:                               ;   in Loop: Header=BB229_12 Depth=1
	s_or_b64 exec, exec, s[42:43]
	v_mov_b32_e32 v7, v1
	v_lshl_add_u64 v[6:7], v[6:7], 1, s[14:15]
	global_store_short_d16_hi v[6:7], v0, off
	s_or_b64 exec, exec, s[40:41]
	v_add_u32_e32 v0, s27, v82
	s_and_saveexec_b64 s[40:41], vcc
	s_cbranch_execz .LBB229_38
.LBB229_65:                             ;   in Loop: Header=BB229_12 Depth=1
	v_cvt_f32_i32_e32 v6, v24
	s_waitcnt vmcnt(7)
	v_lshlrev_b32_e32 v7, 16, v33
	v_add_f32_e32 v6, v26, v6
	v_add_f32_e32 v7, v6, v7
	v_and_b32_e32 v6, 0x7f800000, v7
	v_cmp_ne_u32_e64 s[12:13], s54, v6
                                        ; implicit-def: $vgpr6
	s_and_saveexec_b64 s[42:43], s[12:13]
	s_xor_b64 s[12:13], exec, s[42:43]
; %bb.66:                               ;   in Loop: Header=BB229_12 Depth=1
	v_bfe_u32 v6, v7, 16, 1
	v_add3_u32 v6, v7, v6, s55
                                        ; implicit-def: $vgpr7
; %bb.67:                               ;   in Loop: Header=BB229_12 Depth=1
	s_andn2_saveexec_b64 s[42:43], s[12:13]
; %bb.68:                               ;   in Loop: Header=BB229_12 Depth=1
	v_or_b32_e32 v6, 0x10000, v7
	v_cmp_eq_u32_sdwa s[12:13], v7, v1 src0_sel:WORD_0 src1_sel:DWORD
	s_nop 1
	v_cndmask_b32_e64 v6, v6, v7, s[12:13]
; %bb.69:                               ;   in Loop: Header=BB229_12 Depth=1
	s_or_b64 exec, exec, s[42:43]
	v_lshl_add_u64 v[26:27], v[0:1], 1, s[14:15]
	global_store_short_d16_hi v[26:27], v6, off
	s_or_b64 exec, exec, s[40:41]
	s_and_saveexec_b64 s[40:41], s[6:7]
	s_cbranch_execz .LBB229_39
.LBB229_70:                             ;   in Loop: Header=BB229_12 Depth=1
	v_cvt_f32_i32_e32 v6, v21
	s_waitcnt vmcnt(6)
	v_lshlrev_b32_e32 v7, 16, v32
	v_add_f32_e32 v6, v22, v6
	v_add_f32_e32 v7, v6, v7
	v_and_b32_e32 v6, 0x7f800000, v7
	v_cmp_ne_u32_e64 s[12:13], s54, v6
                                        ; implicit-def: $vgpr6
	s_and_saveexec_b64 s[42:43], s[12:13]
	s_xor_b64 s[12:13], exec, s[42:43]
; %bb.71:                               ;   in Loop: Header=BB229_12 Depth=1
	v_bfe_u32 v6, v7, 16, 1
	v_add3_u32 v6, v7, v6, s55
                                        ; implicit-def: $vgpr7
; %bb.72:                               ;   in Loop: Header=BB229_12 Depth=1
	s_andn2_saveexec_b64 s[42:43], s[12:13]
; %bb.73:                               ;   in Loop: Header=BB229_12 Depth=1
	v_or_b32_e32 v6, 0x10000, v7
	v_cmp_eq_u32_sdwa s[12:13], v7, v1 src0_sel:WORD_0 src1_sel:DWORD
	s_nop 1
	v_cndmask_b32_e64 v6, v6, v7, s[12:13]
; %bb.74:                               ;   in Loop: Header=BB229_12 Depth=1
	s_or_b64 exec, exec, s[42:43]
	v_add_u32_e32 v26, 1, v0
	v_mov_b32_e32 v27, v1
	v_lshl_add_u64 v[26:27], v[26:27], 1, s[14:15]
	global_store_short_d16_hi v[26:27], v6, off
	s_or_b64 exec, exec, s[40:41]
	s_and_saveexec_b64 s[40:41], s[8:9]
	s_cbranch_execz .LBB229_40
.LBB229_75:                             ;   in Loop: Header=BB229_12 Depth=1
	v_cvt_f32_i32_e32 v6, v20
	s_waitcnt vmcnt(5)
	v_lshlrev_b32_e32 v7, 16, v31
	v_add_f32_e32 v6, v19, v6
	v_add_f32_e32 v7, v6, v7
	v_and_b32_e32 v6, 0x7f800000, v7
	v_cmp_ne_u32_e64 s[12:13], s54, v6
                                        ; implicit-def: $vgpr6
	s_and_saveexec_b64 s[42:43], s[12:13]
	s_xor_b64 s[12:13], exec, s[42:43]
; %bb.76:                               ;   in Loop: Header=BB229_12 Depth=1
	v_bfe_u32 v6, v7, 16, 1
	v_add3_u32 v6, v7, v6, s55
                                        ; implicit-def: $vgpr7
; %bb.77:                               ;   in Loop: Header=BB229_12 Depth=1
	s_andn2_saveexec_b64 s[42:43], s[12:13]
; %bb.78:                               ;   in Loop: Header=BB229_12 Depth=1
	v_or_b32_e32 v6, 0x10000, v7
	v_cmp_eq_u32_sdwa s[12:13], v7, v1 src0_sel:WORD_0 src1_sel:DWORD
	s_nop 1
	v_cndmask_b32_e64 v6, v6, v7, s[12:13]
; %bb.79:                               ;   in Loop: Header=BB229_12 Depth=1
	s_or_b64 exec, exec, s[42:43]
	v_add_u32_e32 v20, 2, v0
	v_mov_b32_e32 v21, v1
	v_lshl_add_u64 v[20:21], v[20:21], 1, s[14:15]
	global_store_short_d16_hi v[20:21], v6, off
	s_or_b64 exec, exec, s[40:41]
	s_and_saveexec_b64 s[40:41], s[10:11]
	s_cbranch_execz .LBB229_41
.LBB229_80:                             ;   in Loop: Header=BB229_12 Depth=1
	v_cvt_f32_i32_e32 v6, v14
	s_waitcnt vmcnt(4)
	v_lshlrev_b32_e32 v7, 16, v29
	v_add_f32_e32 v6, v18, v6
	v_add_f32_e32 v7, v6, v7
	v_and_b32_e32 v6, 0x7f800000, v7
	v_cmp_ne_u32_e64 s[12:13], s54, v6
                                        ; implicit-def: $vgpr6
	s_and_saveexec_b64 s[42:43], s[12:13]
	s_xor_b64 s[12:13], exec, s[42:43]
; %bb.81:                               ;   in Loop: Header=BB229_12 Depth=1
	v_bfe_u32 v6, v7, 16, 1
	v_add3_u32 v6, v7, v6, s55
                                        ; implicit-def: $vgpr7
; %bb.82:                               ;   in Loop: Header=BB229_12 Depth=1
	s_andn2_saveexec_b64 s[42:43], s[12:13]
; %bb.83:                               ;   in Loop: Header=BB229_12 Depth=1
	v_or_b32_e32 v6, 0x10000, v7
	v_cmp_eq_u32_sdwa s[12:13], v7, v1 src0_sel:WORD_0 src1_sel:DWORD
	s_nop 1
	v_cndmask_b32_e64 v6, v6, v7, s[12:13]
; %bb.84:                               ;   in Loop: Header=BB229_12 Depth=1
	s_or_b64 exec, exec, s[42:43]
	v_add_u32_e32 v18, 3, v0
	v_mov_b32_e32 v19, v1
	v_lshl_add_u64 v[18:19], v[18:19], 1, s[14:15]
	global_store_short_d16_hi v[18:19], v6, off
	s_or_b64 exec, exec, s[40:41]
	v_add_u32_e32 v0, s27, v0
	s_and_saveexec_b64 s[12:13], vcc
	s_cbranch_execz .LBB229_42
.LBB229_85:                             ;   in Loop: Header=BB229_12 Depth=1
	v_cvt_f32_i32_e32 v6, v17
	s_waitcnt vmcnt(3)
	v_lshlrev_b32_e32 v7, 16, v28
	v_add_f32_e32 v6, v16, v6
	v_add_f32_e32 v7, v6, v7
	v_and_b32_e32 v6, 0x7f800000, v7
	v_cmp_ne_u32_e32 vcc, s54, v6
                                        ; implicit-def: $vgpr6
	s_and_saveexec_b64 s[40:41], vcc
	s_xor_b64 s[40:41], exec, s[40:41]
; %bb.86:                               ;   in Loop: Header=BB229_12 Depth=1
	v_bfe_u32 v6, v7, 16, 1
	v_add3_u32 v6, v7, v6, s55
                                        ; implicit-def: $vgpr7
; %bb.87:                               ;   in Loop: Header=BB229_12 Depth=1
	s_andn2_saveexec_b64 s[40:41], s[40:41]
; %bb.88:                               ;   in Loop: Header=BB229_12 Depth=1
	v_or_b32_e32 v6, 0x10000, v7
	v_cmp_eq_u32_sdwa vcc, v7, v1 src0_sel:WORD_0 src1_sel:DWORD
	s_nop 1
	v_cndmask_b32_e32 v6, v6, v7, vcc
; %bb.89:                               ;   in Loop: Header=BB229_12 Depth=1
	s_or_b64 exec, exec, s[40:41]
	v_lshl_add_u64 v[16:17], v[0:1], 1, s[14:15]
	global_store_short_d16_hi v[16:17], v6, off
	s_or_b64 exec, exec, s[12:13]
	s_and_saveexec_b64 s[12:13], s[6:7]
	s_cbranch_execz .LBB229_43
.LBB229_90:                             ;   in Loop: Header=BB229_12 Depth=1
	v_cvt_f32_i32_e32 v6, v13
	s_waitcnt vmcnt(2)
	v_lshlrev_b32_e32 v7, 16, v25
	v_add_f32_e32 v6, v12, v6
	v_add_f32_e32 v7, v6, v7
	v_and_b32_e32 v6, 0x7f800000, v7
	v_cmp_ne_u32_e32 vcc, s54, v6
                                        ; implicit-def: $vgpr6
	s_and_saveexec_b64 s[6:7], vcc
	s_xor_b64 s[6:7], exec, s[6:7]
; %bb.91:                               ;   in Loop: Header=BB229_12 Depth=1
	v_bfe_u32 v6, v7, 16, 1
	v_add3_u32 v6, v7, v6, s55
                                        ; implicit-def: $vgpr7
; %bb.92:                               ;   in Loop: Header=BB229_12 Depth=1
	s_andn2_saveexec_b64 s[6:7], s[6:7]
; %bb.93:                               ;   in Loop: Header=BB229_12 Depth=1
	v_or_b32_e32 v6, 0x10000, v7
	v_cmp_eq_u32_sdwa vcc, v7, v1 src0_sel:WORD_0 src1_sel:DWORD
	s_nop 1
	v_cndmask_b32_e32 v6, v6, v7, vcc
; %bb.94:                               ;   in Loop: Header=BB229_12 Depth=1
	s_or_b64 exec, exec, s[6:7]
	v_add_u32_e32 v12, 1, v0
	v_mov_b32_e32 v13, v1
	v_lshl_add_u64 v[12:13], v[12:13], 1, s[14:15]
	global_store_short_d16_hi v[12:13], v6, off
	s_or_b64 exec, exec, s[12:13]
	s_and_saveexec_b64 s[6:7], s[8:9]
	s_cbranch_execz .LBB229_44
.LBB229_95:                             ;   in Loop: Header=BB229_12 Depth=1
	v_cvt_f32_i32_e32 v6, v11
	s_waitcnt vmcnt(1)
	v_lshlrev_b32_e32 v7, 16, v23
	v_add_f32_e32 v6, v10, v6
	v_add_f32_e32 v7, v6, v7
	v_and_b32_e32 v6, 0x7f800000, v7
	v_cmp_ne_u32_e32 vcc, s54, v6
                                        ; implicit-def: $vgpr6
	s_and_saveexec_b64 s[8:9], vcc
	s_xor_b64 s[8:9], exec, s[8:9]
; %bb.96:                               ;   in Loop: Header=BB229_12 Depth=1
	v_bfe_u32 v6, v7, 16, 1
	v_add3_u32 v6, v7, v6, s55
                                        ; implicit-def: $vgpr7
; %bb.97:                               ;   in Loop: Header=BB229_12 Depth=1
	s_andn2_saveexec_b64 s[8:9], s[8:9]
; %bb.98:                               ;   in Loop: Header=BB229_12 Depth=1
	v_or_b32_e32 v6, 0x10000, v7
	v_cmp_eq_u32_sdwa vcc, v7, v1 src0_sel:WORD_0 src1_sel:DWORD
	s_nop 1
	v_cndmask_b32_e32 v6, v6, v7, vcc
; %bb.99:                               ;   in Loop: Header=BB229_12 Depth=1
	s_or_b64 exec, exec, s[8:9]
	v_add_u32_e32 v10, 2, v0
	v_mov_b32_e32 v11, v1
	v_lshl_add_u64 v[10:11], v[10:11], 1, s[14:15]
	global_store_short_d16_hi v[10:11], v6, off
	s_or_b64 exec, exec, s[6:7]
	s_and_b64 exec, exec, s[10:11]
	s_cbranch_execz .LBB229_105
.LBB229_100:                            ;   in Loop: Header=BB229_12 Depth=1
	v_cvt_f32_i32_e32 v6, v9
	s_waitcnt vmcnt(0)
	v_lshlrev_b32_e32 v7, 16, v15
	v_add_f32_e32 v6, v8, v6
	v_add_f32_e32 v7, v6, v7
	v_and_b32_e32 v6, 0x7f800000, v7
	v_cmp_ne_u32_e32 vcc, s54, v6
                                        ; implicit-def: $vgpr6
	s_and_saveexec_b64 s[6:7], vcc
	s_xor_b64 s[6:7], exec, s[6:7]
; %bb.101:                              ;   in Loop: Header=BB229_12 Depth=1
	v_bfe_u32 v6, v7, 16, 1
	v_add3_u32 v6, v7, v6, s55
                                        ; implicit-def: $vgpr7
; %bb.102:                              ;   in Loop: Header=BB229_12 Depth=1
	s_andn2_saveexec_b64 s[6:7], s[6:7]
; %bb.103:                              ;   in Loop: Header=BB229_12 Depth=1
	v_or_b32_e32 v6, 0x10000, v7
	v_cmp_eq_u32_sdwa vcc, v7, v1 src0_sel:WORD_0 src1_sel:DWORD
	s_nop 1
	v_cndmask_b32_e32 v6, v6, v7, vcc
; %bb.104:                              ;   in Loop: Header=BB229_12 Depth=1
	s_or_b64 exec, exec, s[6:7]
	v_add_u32_e32 v0, 3, v0
	v_lshl_add_u64 v[8:9], v[0:1], 1, s[14:15]
	global_store_short_d16_hi v[8:9], v6, off
.LBB229_105:                            ;   in Loop: Header=BB229_12 Depth=1
	s_or_b64 exec, exec, s[38:39]
	v_add_u32_e32 v82, s48, v82
	v_add_u32_e32 v0, 4, v82
	v_cmp_gt_u32_e32 vcc, s27, v82
	v_cmp_le_u32_e64 s[6:7], s27, v0
	s_and_b64 s[6:7], vcc, s[6:7]
	s_and_saveexec_b64 s[8:9], s[6:7]
	s_cbranch_execz .LBB229_10
; %bb.106:                              ;   in Loop: Header=BB229_12 Depth=1
	v_cmp_ne_u32_e32 vcc, s17, v82
	s_and_saveexec_b64 s[10:11], vcc
	s_cbranch_execz .LBB229_9
; %bb.107:                              ;   in Loop: Header=BB229_12 Depth=1
	v_subrev_u32_e32 v0, s17, v82
	v_cmp_lt_u32_e32 vcc, 1, v0
	s_mov_b64 s[12:13], 0
	s_mov_b64 s[38:39], 0
	v_cndmask_b32_e32 v0, 1, v0, vcc
.LBB229_108:                            ;   Parent Loop BB229_12 Depth=1
                                        ; =>  This Inner Loop Header: Depth=2
	s_cmp_lg_u32 s38, 3
	s_cselect_b64 vcc, -1, 0
	s_cmp_lg_u32 s38, 2
	v_cndmask_b32_e32 v5, 0, v5, vcc
	s_cselect_b64 vcc, -1, 0
	s_cmp_lg_u32 s38, 1
	v_cndmask_b32_e32 v4, 0, v4, vcc
	s_cselect_b64 vcc, -1, 0
	s_cmp_lg_u32 s38, 0
	v_cndmask_b32_e32 v3, 0, v3, vcc
	s_cselect_b64 vcc, -1, 0
	s_add_u32 s38, s38, 1
	s_addc_u32 s39, s39, 0
	v_cmp_eq_u32_e64 s[6:7], s38, v0
	s_or_b64 s[12:13], s[6:7], s[12:13]
	v_cndmask_b32_e32 v2, 0, v2, vcc
	s_andn2_b64 exec, exec, s[12:13]
	s_cbranch_execnz .LBB229_108
; %bb.109:                              ;   in Loop: Header=BB229_12 Depth=1
	s_or_b64 exec, exec, s[12:13]
	s_branch .LBB229_9
.LBB229_110:
	s_endpgm
	.section	.rodata,"a",@progbits
	.p2align	6, 0x0
	.amdhsa_kernel _Z16wvSplitK_hf_big_I14__hip_bfloat16Li32ELi4ELi16ELi8ELi1ELi3EEviiiiiiPKT_S3_S3_PS1_ii
		.amdhsa_group_segment_fixed_size 65536
		.amdhsa_private_segment_fixed_size 0
		.amdhsa_kernarg_size 64
		.amdhsa_user_sgpr_count 2
		.amdhsa_user_sgpr_dispatch_ptr 0
		.amdhsa_user_sgpr_queue_ptr 0
		.amdhsa_user_sgpr_kernarg_segment_ptr 1
		.amdhsa_user_sgpr_dispatch_id 0
		.amdhsa_user_sgpr_kernarg_preload_length 0
		.amdhsa_user_sgpr_kernarg_preload_offset 0
		.amdhsa_user_sgpr_private_segment_size 0
		.amdhsa_uses_dynamic_stack 0
		.amdhsa_enable_private_segment 0
		.amdhsa_system_sgpr_workgroup_id_x 1
		.amdhsa_system_sgpr_workgroup_id_y 0
		.amdhsa_system_sgpr_workgroup_id_z 0
		.amdhsa_system_sgpr_workgroup_info 0
		.amdhsa_system_vgpr_workitem_id 1
		.amdhsa_next_free_vgpr 98
		.amdhsa_next_free_sgpr 56
		.amdhsa_accum_offset 100
		.amdhsa_reserve_vcc 1
		.amdhsa_float_round_mode_32 0
		.amdhsa_float_round_mode_16_64 0
		.amdhsa_float_denorm_mode_32 3
		.amdhsa_float_denorm_mode_16_64 3
		.amdhsa_dx10_clamp 1
		.amdhsa_ieee_mode 1
		.amdhsa_fp16_overflow 0
		.amdhsa_tg_split 0
		.amdhsa_exception_fp_ieee_invalid_op 0
		.amdhsa_exception_fp_denorm_src 0
		.amdhsa_exception_fp_ieee_div_zero 0
		.amdhsa_exception_fp_ieee_overflow 0
		.amdhsa_exception_fp_ieee_underflow 0
		.amdhsa_exception_fp_ieee_inexact 0
		.amdhsa_exception_int_div_zero 0
	.end_amdhsa_kernel
	.section	.text._Z16wvSplitK_hf_big_I14__hip_bfloat16Li32ELi4ELi16ELi8ELi1ELi3EEviiiiiiPKT_S3_S3_PS1_ii,"axG",@progbits,_Z16wvSplitK_hf_big_I14__hip_bfloat16Li32ELi4ELi16ELi8ELi1ELi3EEviiiiiiPKT_S3_S3_PS1_ii,comdat
.Lfunc_end229:
	.size	_Z16wvSplitK_hf_big_I14__hip_bfloat16Li32ELi4ELi16ELi8ELi1ELi3EEviiiiiiPKT_S3_S3_PS1_ii, .Lfunc_end229-_Z16wvSplitK_hf_big_I14__hip_bfloat16Li32ELi4ELi16ELi8ELi1ELi3EEviiiiiiPKT_S3_S3_PS1_ii
                                        ; -- End function
	.section	.AMDGPU.csdata,"",@progbits
; Kernel info:
; codeLenInByte = 5836
; NumSgprs: 62
; NumVgprs: 98
; NumAgprs: 0
; TotalNumVgprs: 98
; ScratchSize: 0
; MemoryBound: 0
; FloatMode: 240
; IeeeMode: 1
; LDSByteSize: 65536 bytes/workgroup (compile time only)
; SGPRBlocks: 7
; VGPRBlocks: 12
; NumSGPRsForWavesPerEU: 62
; NumVGPRsForWavesPerEU: 98
; AccumOffset: 100
; Occupancy: 2
; WaveLimiterHint : 0
; COMPUTE_PGM_RSRC2:SCRATCH_EN: 0
; COMPUTE_PGM_RSRC2:USER_SGPR: 2
; COMPUTE_PGM_RSRC2:TRAP_HANDLER: 0
; COMPUTE_PGM_RSRC2:TGID_X_EN: 1
; COMPUTE_PGM_RSRC2:TGID_Y_EN: 0
; COMPUTE_PGM_RSRC2:TGID_Z_EN: 0
; COMPUTE_PGM_RSRC2:TIDIG_COMP_CNT: 1
; COMPUTE_PGM_RSRC3_GFX90A:ACCUM_OFFSET: 24
; COMPUTE_PGM_RSRC3_GFX90A:TG_SPLIT: 0
	.section	.text._Z16wvSplitK_hf_sml_I14__hip_bfloat16Li32ELi4ELi16ELi8ELi2ELi3EEviiiiiiPKT_S3_S3_PS1_ii,"axG",@progbits,_Z16wvSplitK_hf_sml_I14__hip_bfloat16Li32ELi4ELi16ELi8ELi2ELi3EEviiiiiiPKT_S3_S3_PS1_ii,comdat
	.protected	_Z16wvSplitK_hf_sml_I14__hip_bfloat16Li32ELi4ELi16ELi8ELi2ELi3EEviiiiiiPKT_S3_S3_PS1_ii ; -- Begin function _Z16wvSplitK_hf_sml_I14__hip_bfloat16Li32ELi4ELi16ELi8ELi2ELi3EEviiiiiiPKT_S3_S3_PS1_ii
	.globl	_Z16wvSplitK_hf_sml_I14__hip_bfloat16Li32ELi4ELi16ELi8ELi2ELi3EEviiiiiiPKT_S3_S3_PS1_ii
	.p2align	8
	.type	_Z16wvSplitK_hf_sml_I14__hip_bfloat16Li32ELi4ELi16ELi8ELi2ELi3EEviiiiiiPKT_S3_S3_PS1_ii,@function
_Z16wvSplitK_hf_sml_I14__hip_bfloat16Li32ELi4ELi16ELi8ELi2ELi3EEviiiiiiPKT_S3_S3_PS1_ii: ; @_Z16wvSplitK_hf_sml_I14__hip_bfloat16Li32ELi4ELi16ELi8ELi2ELi3EEviiiiiiPKT_S3_S3_PS1_ii
; %bb.0:
	s_load_dwordx4 s[4:7], s[0:1], 0x0
	v_and_b32_e32 v4, 0x3ff, v0
	v_bfe_u32 v5, v0, 10, 10
	v_lshlrev_b32_e32 v116, 3, v4
	v_lshl_add_u32 v6, v5, 8, v116
	s_waitcnt lgkmcnt(0)
	s_mul_i32 s3, s6, 3
	s_min_u32 s3, s3, 0x8000
	v_cmp_gt_u32_e32 vcc, s3, v6
	s_and_saveexec_b64 s[8:9], vcc
	s_cbranch_execz .LBB230_9
; %bb.1:
	s_load_dwordx2 s[10:11], s[0:1], 0x20
	v_lshlrev_b32_e32 v0, 1, v6
	v_add_u32_e32 v1, 0x1000, v6
	v_cmp_gt_u32_e32 vcc, s3, v1
	s_waitcnt lgkmcnt(0)
	global_load_dwordx4 v[8:11], v0, s[10:11]
	s_waitcnt vmcnt(0)
	ds_write_b128 v0, v[8:11]
	s_and_saveexec_b64 s[12:13], vcc
	s_xor_b64 s[12:13], exec, s[12:13]
	s_cbranch_execz .LBB230_9
; %bb.2:
	v_mov_b32_e32 v1, 0
	v_lshl_add_u64 v[2:3], s[10:11], 0, v[0:1]
	v_add_co_u32_e32 v8, vcc, 0x2000, v2
	v_add_u32_e32 v1, 0x2000, v6
	s_nop 0
	v_addc_co_u32_e32 v9, vcc, 0, v3, vcc
	global_load_dwordx4 v[8:11], v[8:9], off
	v_cmp_gt_u32_e32 vcc, s3, v1
	s_waitcnt vmcnt(0)
	ds_write_b128 v0, v[8:11] offset:8192
	s_and_saveexec_b64 s[10:11], vcc
	s_xor_b64 s[10:11], exec, s[10:11]
	s_cbranch_execz .LBB230_9
; %bb.3:
	v_add_co_u32_e32 v8, vcc, 0x4000, v2
	v_add_u32_e32 v1, 0x3000, v6
	s_nop 0
	v_addc_co_u32_e32 v9, vcc, 0, v3, vcc
	global_load_dwordx4 v[8:11], v[8:9], off
	v_cmp_gt_u32_e32 vcc, s3, v1
	s_waitcnt vmcnt(0)
	ds_write_b128 v0, v[8:11] offset:16384
	s_and_saveexec_b64 s[10:11], vcc
	s_xor_b64 s[10:11], exec, s[10:11]
	s_cbranch_execz .LBB230_9
; %bb.4:
	;; [unrolled: 12-line block ×6, first 2 shown]
	v_add_co_u32_e32 v2, vcc, 0xe000, v2
	s_nop 1
	v_addc_co_u32_e32 v3, vcc, 0, v3, vcc
	global_load_dwordx4 v[6:9], v[2:3], off
	s_waitcnt vmcnt(0)
	ds_write_b128 v0, v[6:9] offset:57344
.LBB230_9:
	s_or_b64 exec, exec, s[8:9]
	s_load_dwordx2 s[16:17], s[0:1], 0x38
	s_waitcnt lgkmcnt(0)
	s_barrier
	v_cmp_gt_u32_e32 vcc, s16, v5
	s_and_saveexec_b64 s[8:9], vcc
	s_cbranch_execz .LBB230_72
; %bb.10:
	s_load_dwordx2 s[12:13], s[0:1], 0x10
	s_mul_i32 s2, s2, s16
	v_add_lshl_u32 v96, s2, v5, 2
	v_cmp_gt_u32_e32 vcc, s7, v96
	s_and_b64 exec, exec, vcc
	s_cbranch_execz .LBB230_72
; %bb.11:
	s_load_dwordx4 s[8:11], s[0:1], 0x28
	s_load_dwordx2 s[14:15], s[0:1], 0x18
	s_cmp_lg_u32 s4, 0
	s_cselect_b64 s[2:3], -1, 0
	s_add_i32 s24, s4, -8
	s_add_i32 s25, s7, -1
	s_waitcnt lgkmcnt(0)
	s_cmp_lg_u64 s[8:9], 0
	s_cselect_b64 s[18:19], -1, 0
	s_abs_i32 s21, s13
	v_cvt_f32_u32_e32 v0, s12
	v_cvt_f32_u32_e32 v1, s21
	s_mul_i32 s20, s16, s17
	s_lshl_b32 s13, s20, 2
	v_rcp_iflag_f32_e32 v0, v0
	v_rcp_iflag_f32_e32 v1, v1
	s_sub_i32 s20, 0, s12
	v_cmp_eq_u32_e64 s[0:1], 31, v4
	v_mul_f32_e32 v0, 0x4f7ffffe, v0
	v_mul_f32_e32 v1, 0x4f7ffffe, v1
	v_cvt_u32_f32_e32 v0, v0
	v_cvt_u32_f32_e32 v1, v1
	s_mov_b64 s[16:17], 0
	v_mov_b32_e32 v99, 0
	v_mul_lo_u32 v2, s20, v0
	s_sub_i32 s20, 0, s21
	v_readfirstlane_b32 s22, v1
	s_mul_i32 s20, s20, s22
	s_mul_hi_u32 s20, s22, s20
	s_add_i32 s22, s22, s20
	s_sub_i32 s20, 1, s21
	s_cmp_lt_u32 s21, 2
	s_cselect_b32 s20, s20, 1
	s_sub_i32 s23, s20, s21
	s_cmp_ge_u32 s20, s21
	s_cselect_b32 s26, s23, s20
	s_lshr_b32 s20, s22, 31
	s_mul_i32 s20, s20, s21
	s_sub_i32 s20, 2, s20
	s_sub_i32 s22, s20, s21
	s_cmp_ge_u32 s20, s21
	s_cselect_b32 s20, s22, s20
	s_sub_i32 s22, s20, s21
	v_mul_hi_u32 v2, v0, v2
	s_cmp_ge_u32 s20, s21
	v_add_u32_e32 v117, v0, v2
	s_cselect_b32 s27, s22, s20
	v_cndmask_b32_e64 v0, 0, 1, s[2:3]
	s_mul_i32 s26, s26, s12
	s_mul_i32 s27, s27, s12
	s_lshl_b32 s28, s6, 2
	v_lshlrev_b32_e32 v118, 4, v4
	s_lshl_b32 s6, s6, 1
	v_cmp_ne_u32_e64 s[2:3], 1, v0
	s_mov_b32 s29, 0x7f800000
	s_movk_i32 s30, 0x7fff
	s_branch .LBB230_14
.LBB230_12:                             ;   in Loop: Header=BB230_14 Depth=1
	s_or_b64 exec, exec, s[22:23]
	v_add_u32_e32 v98, 3, v98
	v_lshl_add_u64 v[2:3], v[98:99], 1, s[10:11]
	global_store_short_d16_hi v[2:3], v0, off
.LBB230_13:                             ;   in Loop: Header=BB230_14 Depth=1
	s_or_b64 exec, exec, s[20:21]
	v_add_u32_e32 v96, s13, v96
	v_cmp_le_u32_e32 vcc, s7, v96
	s_or_b64 s[16:17], vcc, s[16:17]
	s_andn2_b64 exec, exec, s[16:17]
	s_cbranch_execz .LBB230_72
.LBB230_14:                             ; =>This Loop Header: Depth=1
                                        ;     Child Loop BB230_18 Depth 2
	s_and_b64 vcc, exec, s[2:3]
	v_mov_b32_e32 v7, v99
	v_mov_b32_e32 v6, v99
	;; [unrolled: 1-line block ×48, first 2 shown]
	s_cbranch_vccnz .LBB230_21
; %bb.15:                               ;   in Loop: Header=BB230_14 Depth=1
	v_min_u32_e32 v0, s25, v96
	v_mul_lo_u32 v98, v0, s5
	v_or_b32_e32 v0, 1, v96
	v_or_b32_e32 v2, 2, v96
	;; [unrolled: 1-line block ×3, first 2 shown]
	v_min_u32_e32 v0, s25, v0
	v_min_u32_e32 v2, s25, v2
	;; [unrolled: 1-line block ×3, first 2 shown]
	v_mul_lo_u32 v0, v0, s5
	v_mov_b32_e32 v1, v99
	v_mul_lo_u32 v2, v2, s5
	v_mov_b32_e32 v3, v99
	;; [unrolled: 2-line block ×3, first 2 shown]
	v_mov_b32_e32 v32, 0
	s_mov_b32 s31, 0
	v_lshlrev_b64 v[100:101], 1, v[98:99]
	v_lshlrev_b64 v[102:103], 1, v[0:1]
	;; [unrolled: 1-line block ×4, first 2 shown]
	v_mov_b32_e32 v97, v118
	v_mov_b32_e32 v33, v32
	;; [unrolled: 1-line block ×48, first 2 shown]
	s_branch .LBB230_18
.LBB230_16:                             ;   in Loop: Header=BB230_18 Depth=2
	s_or_b64 exec, exec, s[22:23]
.LBB230_17:                             ;   in Loop: Header=BB230_18 Depth=2
	s_or_b64 exec, exec, s[20:21]
	s_waitcnt vmcnt(7) lgkmcnt(1)
	v_mfma_f32_4x4x4_16b_bf16 v[44:47], v[92:93], v[68:69], v[44:47]
	s_addk_i32 s31, 0x200
	s_waitcnt vmcnt(6)
	v_mfma_f32_4x4x4_16b_bf16 v[40:43], v[92:93], v[64:65], v[40:43]
	v_add_u32_e32 v97, 0x400, v97
	s_waitcnt vmcnt(5)
	v_mfma_f32_4x4x4_16b_bf16 v[36:39], v[92:93], v[76:77], v[36:39]
	s_cmp_ge_u32 s31, s4
	s_waitcnt vmcnt(4)
	v_mfma_f32_4x4x4_16b_bf16 v[32:35], v[92:93], v[72:73], v[32:35]
	v_mfma_f32_4x4x4_16b_bf16 v[28:31], v[88:89], v[68:69], v[28:31]
	;; [unrolled: 1-line block ×17, first 2 shown]
	s_waitcnt lgkmcnt(0)
	v_mfma_f32_4x4x4_16b_bf16 v[12:15], v[112:113], v[70:71], v[12:15]
	v_mfma_f32_4x4x4_16b_bf16 v[8:11], v[112:113], v[66:67], v[8:11]
	;; [unrolled: 1-line block ×4, first 2 shown]
	s_waitcnt vmcnt(3)
	v_mfma_f32_4x4x4_16b_bf16 v[44:47], v[84:85], v[56:57], v[44:47]
	s_waitcnt vmcnt(2)
	v_mfma_f32_4x4x4_16b_bf16 v[40:43], v[84:85], v[52:53], v[40:43]
	;; [unrolled: 2-line block ×4, first 2 shown]
	v_mfma_f32_4x4x4_16b_bf16 v[28:31], v[80:81], v[56:57], v[28:31]
	v_mfma_f32_4x4x4_16b_bf16 v[24:27], v[80:81], v[52:53], v[24:27]
	;; [unrolled: 1-line block ×20, first 2 shown]
	s_cbranch_scc1 .LBB230_21
.LBB230_18:                             ;   Parent Loop BB230_14 Depth=1
                                        ; =>  This Inner Loop Header: Depth=2
	v_add_u32_e32 v84, s31, v116
	v_min_u32_e32 v98, s24, v84
	v_lshl_add_u64 v[48:49], v[98:99], 1, s[14:15]
	v_lshl_add_u64 v[50:51], v[48:49], 0, v[100:101]
	v_add_u32_e32 v119, 0x100, v84
	v_lshl_add_u64 v[52:53], v[48:49], 0, v[102:103]
	global_load_dwordx4 v[68:71], v[50:51], off nt
	global_load_dwordx4 v[64:67], v[52:53], off nt
	v_lshl_add_u64 v[50:51], v[48:49], 0, v[104:105]
	v_lshl_add_u64 v[48:49], v[48:49], 0, v[106:107]
	v_min_u32_e32 v98, s24, v119
	global_load_dwordx4 v[76:79], v[50:51], off nt
	global_load_dwordx4 v[72:75], v[48:49], off nt
	v_lshl_add_u64 v[48:49], v[98:99], 1, s[14:15]
	v_lshl_add_u64 v[50:51], v[48:49], 0, v[100:101]
	;; [unrolled: 1-line block ×4, first 2 shown]
	global_load_dwordx4 v[56:59], v[50:51], off nt
	global_load_dwordx4 v[52:55], v[60:61], off nt
	v_lshl_add_u64 v[82:83], v[48:49], 0, v[106:107]
	global_load_dwordx4 v[60:63], v[80:81], off nt
	global_load_dwordx4 v[48:51], v[82:83], off nt
	v_cmp_gt_u32_e32 vcc, s4, v84
	v_mov_b32_e32 v108, 0
	v_mov_b32_e32 v109, 0
	;; [unrolled: 1-line block ×24, first 2 shown]
	s_and_saveexec_b64 s[20:21], vcc
	s_cbranch_execz .LBB230_17
; %bb.19:                               ;   in Loop: Header=BB230_18 Depth=2
	v_add_u32_e32 v120, s6, v97
	v_add_u32_e32 v98, s28, v97
	ds_read_b128 v[88:91], v120
	ds_read2_b32 v[114:115], v98 offset1:1
	ds_read_b128 v[92:95], v97
	ds_read2_b32 v[112:113], v98 offset0:2 offset1:3
	v_cmp_gt_u32_e32 vcc, s4, v119
	v_mov_b32_e32 v85, 0
	v_mov_b32_e32 v84, 0
	;; [unrolled: 1-line block ×12, first 2 shown]
	s_and_saveexec_b64 s[22:23], vcc
	s_cbranch_execz .LBB230_16
; %bb.20:                               ;   in Loop: Header=BB230_18 Depth=2
	ds_read_b128 v[80:83], v120 offset:512
	ds_read2_b32 v[110:111], v98 offset0:128 offset1:129
	ds_read_b128 v[84:87], v97 offset:512
	ds_read2_b32 v[108:109], v98 offset0:130 offset1:131
	s_branch .LBB230_16
.LBB230_21:                             ;   in Loop: Header=BB230_14 Depth=1
	; sched_barrier mask(0x00000000)
	v_cvt_i32_f32_e32 v41, v41
	v_cvt_i32_f32_e32 v42, v42
	;; [unrolled: 1-line block ×6, first 2 shown]
	v_cvt_f32_i32_dpp v41, v41 row_shl:1 row_mask:0xf bank_mask:0xf bound_ctrl:1
	v_cvt_f32_i32_dpp v42, v42 row_shl:2 row_mask:0xf bank_mask:0xf bound_ctrl:1
	;; [unrolled: 1-line block ×6, first 2 shown]
	v_add_f32_e32 v40, v40, v41
	v_add_f32_e32 v40, v40, v42
	;; [unrolled: 1-line block ×5, first 2 shown]
	v_cvt_i32_f32_e32 v41, v40
	v_add_f32_e32 v44, v44, v47
	v_cvt_i32_f32_e32 v45, v44
	v_cvt_i32_f32_e32 v37, v37
	v_cvt_f32_i32_dpp v41, v41 row_shl:4 row_mask:0xf bank_mask:0xf bound_ctrl:1
	v_cvt_i32_f32_e32 v38, v38
	v_cvt_f32_i32_dpp v45, v45 row_shl:4 row_mask:0xf bank_mask:0xf bound_ctrl:1
	v_cvt_i32_f32_e32 v39, v39
	v_add_f32_e32 v40, v40, v41
	v_cvt_i32_f32_e32 v41, v40
	v_add_f32_e32 v42, v44, v45
	v_cvt_i32_f32_e32 v43, v42
	v_cvt_f32_i32_dpp v37, v37 row_shl:1 row_mask:0xf bank_mask:0xf bound_ctrl:1
	v_cvt_f32_i32_dpp v38, v38 row_shl:2 row_mask:0xf bank_mask:0xf bound_ctrl:1
	;; [unrolled: 1-line block ×5, first 2 shown]
	v_add_f32_e32 v36, v36, v37
	v_add_f32_e32 v36, v36, v38
	;; [unrolled: 1-line block ×4, first 2 shown]
	v_cvt_i32_f32_e32 v40, v40
	v_cvt_i32_f32_e32 v36, v37
	v_add_f32_e32 v42, v42, v43
	v_cvt_i32_f32_e32 v42, v42
	v_cvt_i32_f32_e32 v33, v33
	v_cvt_i32_f32_e32 v34, v34
	v_cvt_f32_i32_dpp v39, v40 row_shr:15 row_mask:0xf bank_mask:0xf bound_ctrl:1
	v_cvt_f32_i32_dpp v40, v36 row_shl:4 row_mask:0xf bank_mask:0xf bound_ctrl:1
	v_cvt_i32_f32_e32 v35, v35
	v_cvt_f32_i32_dpp v42, v42 row_shr:15 row_mask:0xf bank_mask:0xf bound_ctrl:1
	v_cvt_f32_i32_dpp v33, v33 row_shl:1 row_mask:0xf bank_mask:0xf bound_ctrl:1
	v_cvt_f32_i32_dpp v34, v34 row_shl:2 row_mask:0xf bank_mask:0xf bound_ctrl:1
	v_add_f32_e32 v37, v37, v40
	v_cvt_f32_i32_dpp v35, v35 row_shl:3 row_mask:0xf bank_mask:0xf bound_ctrl:1
	v_cvt_i32_f32_e32 v40, v37
	v_cvt_i32_f32_e32 v41, v42
	v_add_f32_e32 v32, v32, v33
	v_add_f32_e32 v32, v32, v34
	;; [unrolled: 1-line block ×3, first 2 shown]
	v_cvt_i32_f32_e32 v29, v29
	v_cvt_f32_i32_dpp v40, v40 row_shl:8 row_mask:0xf bank_mask:0xf bound_ctrl:1
	v_cvt_i32_f32_e32 v32, v34
	v_cvt_i32_f32_e32 v30, v30
	v_cvt_f32_i32_dpp v38, v41 row_bcast:15 row_mask:0xf bank_mask:0xf bound_ctrl:1
	v_cvt_i32_f32_e32 v41, v39
	v_cvt_i32_f32_e32 v31, v31
	v_cvt_f32_i32_dpp v29, v29 row_shl:1 row_mask:0xf bank_mask:0xf bound_ctrl:1
	v_add_f32_e32 v33, v37, v40
	v_cvt_f32_i32_dpp v40, v32 row_shl:4 row_mask:0xf bank_mask:0xf bound_ctrl:1
	v_cvt_f32_i32_dpp v30, v30 row_shl:2 row_mask:0xf bank_mask:0xf bound_ctrl:1
	v_cvt_f32_i32_dpp v35, v41 row_bcast:15 row_mask:0xf bank_mask:0xf bound_ctrl:1
	v_cvt_i32_f32_e32 v37, v33
	v_cvt_f32_i32_dpp v31, v31 row_shl:3 row_mask:0xf bank_mask:0xf bound_ctrl:1
	v_add_f32_e32 v28, v28, v29
	v_add_f32_e32 v34, v34, v40
	;; [unrolled: 1-line block ×4, first 2 shown]
	v_cvt_f32_i32_dpp v35, v37 row_shr:15 row_mask:0xf bank_mask:0xf bound_ctrl:1
	v_cvt_i32_f32_e32 v37, v34
	v_add_f32_e32 v28, v28, v31
	v_cvt_i32_f32_e32 v29, v28
	v_cvt_i32_f32_e32 v30, v35
	v_cvt_f32_i32_dpp v37, v37 row_shl:8 row_mask:0xf bank_mask:0xf bound_ctrl:1
	v_cvt_i32_f32_e32 v25, v25
	v_cvt_f32_i32_dpp v29, v29 row_shl:4 row_mask:0xf bank_mask:0xf bound_ctrl:1
	v_cvt_i32_f32_e32 v26, v26
	v_add_f32_e32 v31, v34, v37
	v_cvt_i32_f32_e32 v31, v31
	v_cvt_f32_i32_dpp v30, v30 row_bcast:15 row_mask:0xf bank_mask:0xf bound_ctrl:1
	v_add_f32_e32 v37, v28, v29
	v_cvt_i32_f32_e32 v27, v27
	v_cvt_i32_f32_e32 v29, v37
	v_cvt_f32_i32_dpp v25, v25 row_shl:1 row_mask:0xf bank_mask:0xf bound_ctrl:1
	v_add_f32_e32 v36, v42, v38
	v_cvt_f32_i32_dpp v26, v26 row_shl:2 row_mask:0xf bank_mask:0xf bound_ctrl:1
	v_cvt_i32_f32_e32 v38, v36
	v_cvt_f32_i32_dpp v31, v31 row_shr:15 row_mask:0xf bank_mask:0xf bound_ctrl:1
	v_add_f32_e32 v28, v35, v30
	v_cvt_f32_i32_dpp v27, v27 row_shl:3 row_mask:0xf bank_mask:0xf bound_ctrl:1
	v_cvt_i32_f32_e32 v35, v28
	v_cvt_f32_i32_dpp v39, v29 row_shl:8 row_mask:0xf bank_mask:0xf bound_ctrl:1
	v_add_f32_e32 v24, v24, v25
	v_cvt_i32_f32_e32 v21, v21
	v_add_f32_e32 v24, v24, v26
	v_cvt_i32_f32_e32 v22, v22
	v_mov_b32_dpp v33, v38 row_bcast:31 row_mask:0xf bank_mask:0xf bound_ctrl:1
	v_cvt_i32_f32_e32 v34, v32
	v_cvt_i32_f32_e32 v38, v31
	v_add_f32_e32 v25, v24, v27
	v_cvt_i32_f32_e32 v23, v23
	v_mov_b32_dpp v29, v35 row_bcast:31 row_mask:0xf bank_mask:0xf bound_ctrl:1
	v_add_f32_e32 v35, v37, v39
	v_cvt_i32_f32_e32 v26, v25
	v_cvt_i32_f32_e32 v35, v35
	v_cvt_f32_i32_dpp v21, v21 row_shl:1 row_mask:0xf bank_mask:0xf bound_ctrl:1
	v_cvt_f32_i32_dpp v22, v22 row_shl:2 row_mask:0xf bank_mask:0xf bound_ctrl:1
	v_mov_b32_dpp v30, v34 row_bcast:31 row_mask:0xf bank_mask:0xf bound_ctrl:1
	v_cvt_f32_i32_dpp v34, v38 row_bcast:15 row_mask:0xf bank_mask:0xf bound_ctrl:1
	v_cvt_f32_i32_dpp v23, v23 row_shl:3 row_mask:0xf bank_mask:0xf bound_ctrl:1
	v_cvt_f32_i32_dpp v26, v26 row_shl:4 row_mask:0xf bank_mask:0xf bound_ctrl:1
	v_cvt_f32_i32_dpp v35, v35 row_shr:15 row_mask:0xf bank_mask:0xf bound_ctrl:1
	v_add_f32_e32 v20, v20, v21
	v_add_f32_e32 v20, v20, v22
	v_add_f32_e32 v24, v31, v34
	v_add_f32_e32 v22, v20, v23
	v_cvt_i32_f32_e32 v27, v24
	v_add_f32_e32 v25, v25, v26
	v_cvt_i32_f32_e32 v20, v22
	v_cvt_i32_f32_e32 v31, v35
	;; [unrolled: 1-line block ×3, first 2 shown]
	v_mov_b32_dpp v21, v27 row_bcast:31 row_mask:0xf bank_mask:0xf bound_ctrl:1
	v_cvt_f32_i32_dpp v27, v20 row_shl:4 row_mask:0xf bank_mask:0xf bound_ctrl:1
	v_cvt_f32_i32_dpp v23, v31 row_bcast:15 row_mask:0xf bank_mask:0xf bound_ctrl:1
	v_cvt_f32_i32_dpp v26, v26 row_shl:8 row_mask:0xf bank_mask:0xf bound_ctrl:1
	v_cvt_i32_f32_e32 v17, v17
	v_add_f32_e32 v22, v22, v27
	v_cvt_i32_f32_e32 v18, v18
	v_add_f32_e32 v20, v35, v23
	v_add_f32_e32 v23, v25, v26
	v_cvt_i32_f32_e32 v19, v19
	v_cvt_i32_f32_e32 v25, v22
	v_cvt_f32_i32_dpp v17, v17 row_shl:1 row_mask:0xf bank_mask:0xf bound_ctrl:1
	v_cvt_f32_i32_dpp v18, v18 row_shl:2 row_mask:0xf bank_mask:0xf bound_ctrl:1
	;; [unrolled: 1-line block ×4, first 2 shown]
	v_add_f32_e32 v16, v16, v17
	v_add_f32_e32 v16, v16, v18
	;; [unrolled: 1-line block ×4, first 2 shown]
	v_cvt_i32_f32_e32 v17, v16
	v_cvt_i32_f32_e32 v19, v19
	;; [unrolled: 1-line block ×7, first 2 shown]
	v_cvt_f32_i32_dpp v17, v17 row_shl:4 row_mask:0xf bank_mask:0xf bound_ctrl:1
	v_cvt_i32_f32_e32 v22, v20
	v_cvt_f32_i32_dpp v19, v19 row_shr:15 row_mask:0xf bank_mask:0xf bound_ctrl:1
	v_cvt_f32_i32_dpp v1, v1 row_shl:1 row_mask:0xf bank_mask:0xf bound_ctrl:1
	v_cvt_f32_i32_dpp v13, v13 row_shl:1 row_mask:0xf bank_mask:0xf bound_ctrl:1
	v_cvt_i32_f32_e32 v9, v9
	v_cvt_f32_i32_dpp v2, v2 row_shl:2 row_mask:0xf bank_mask:0xf bound_ctrl:1
	v_cvt_i32_f32_e32 v3, v3
	;; [unrolled: 2-line block ×4, first 2 shown]
	v_add_f32_e32 v25, v16, v17
	v_mov_b32_dpp v17, v22 row_bcast:31 row_mask:0xf bank_mask:0xf bound_ctrl:1
	v_cvt_i32_f32_e32 v22, v19
	v_add_f32_e32 v0, v0, v1
	v_add_f32_e32 v12, v12, v13
	v_cvt_f32_i32_dpp v9, v9 row_shl:1 row_mask:0xf bank_mask:0xf bound_ctrl:1
	v_add_f32_e32 v0, v0, v2
	v_cvt_f32_i32_dpp v1, v3 row_shl:3 row_mask:0xf bank_mask:0xf bound_ctrl:1
	v_cvt_i32_f32_e32 v2, v5
	v_add_f32_e32 v12, v12, v14
	v_cvt_f32_i32_dpp v10, v10 row_shl:2 row_mask:0xf bank_mask:0xf bound_ctrl:1
	v_cvt_i32_f32_e32 v3, v6
	;; [unrolled: 3-line block ×3, first 2 shown]
	v_cvt_f32_i32_dpp v22, v22 row_bcast:15 row_mask:0xf bank_mask:0xf bound_ctrl:1
	v_cvt_i32_f32_e32 v12, v15
	v_add_f32_e32 v8, v8, v9
	v_add_f32_e32 v0, v0, v1
	v_cvt_f32_i32_dpp v1, v2 row_shl:1 row_mask:0xf bank_mask:0xf bound_ctrl:1
	v_add_f32_e32 v8, v8, v10
	v_cvt_f32_i32_dpp v2, v3 row_shl:2 row_mask:0xf bank_mask:0xf bound_ctrl:1
	;; [unrolled: 2-line block ×4, first 2 shown]
	v_cvt_i32_f32_e32 v11, v9
	v_add_f32_e32 v1, v4, v1
	v_add_f32_e32 v1, v1, v2
	;; [unrolled: 1-line block ×4, first 2 shown]
	v_cvt_f32_i32_dpp v11, v11 row_shl:4 row_mask:0xf bank_mask:0xf bound_ctrl:1
	v_cvt_i32_f32_e32 v5, v0
	v_cvt_i32_f32_e32 v2, v1
	v_cvt_i32_f32_e32 v23, v23
	v_cvt_i32_f32_e32 v19, v15
	v_add_f32_e32 v9, v9, v11
	v_cvt_f32_i32_dpp v4, v5 row_shl:4 row_mask:0xf bank_mask:0xf bound_ctrl:1
	v_cvt_f32_i32_dpp v2, v2 row_shl:4 row_mask:0xf bank_mask:0xf bound_ctrl:1
	v_cvt_f32_i32_dpp v18, v23 row_shr:15 row_mask:0xf bank_mask:0xf bound_ctrl:1
	v_cvt_f32_i32_dpp v19, v19 row_shl:8 row_mask:0xf bank_mask:0xf bound_ctrl:1
	v_cvt_i32_f32_e32 v11, v9
	v_add_f32_e32 v0, v0, v4
	v_add_f32_e32 v1, v1, v2
	v_cvt_i32_f32_e32 v23, v18
	v_cvt_i32_f32_e32 v16, v25
	v_add_f32_e32 v15, v15, v19
	v_cvt_f32_i32_dpp v3, v11 row_shl:8 row_mask:0xf bank_mask:0xf bound_ctrl:1
	v_cvt_i32_f32_e32 v4, v0
	v_cvt_i32_f32_e32 v2, v1
	;; [unrolled: 1-line block ×3, first 2 shown]
	v_cvt_f32_i32_dpp v23, v23 row_bcast:15 row_mask:0xf bank_mask:0xf bound_ctrl:1
	v_cvt_f32_i32_dpp v26, v16 row_shl:8 row_mask:0xf bank_mask:0xf bound_ctrl:1
	v_add_f32_e32 v3, v9, v3
	v_cvt_f32_i32_dpp v4, v4 row_shl:8 row_mask:0xf bank_mask:0xf bound_ctrl:1
	v_cvt_f32_i32_dpp v2, v2 row_shl:8 row_mask:0xf bank_mask:0xf bound_ctrl:1
	v_cvt_f32_i32_dpp v5, v15 row_shr:15 row_mask:0xf bank_mask:0xf bound_ctrl:1
	v_cvt_i32_f32_e32 v3, v3
	v_add_f32_e32 v16, v18, v23
	v_add_f32_e32 v23, v25, v26
	;; [unrolled: 1-line block ×4, first 2 shown]
	v_cvt_i32_f32_e32 v23, v23
	v_cvt_i32_f32_e32 v6, v5
	v_cvt_f32_i32_dpp v3, v3 row_shr:15 row_mask:0xf bank_mask:0xf bound_ctrl:1
	v_cvt_i32_f32_e32 v0, v0
	v_cvt_i32_f32_e32 v1, v1
	v_cvt_f32_i32_dpp v23, v23 row_shr:15 row_mask:0xf bank_mask:0xf bound_ctrl:1
	v_cvt_f32_i32_dpp v2, v6 row_bcast:15 row_mask:0xf bank_mask:0xf bound_ctrl:1
	v_cvt_f32_i32_dpp v0, v0 row_shr:15 row_mask:0xf bank_mask:0xf bound_ctrl:1
	v_cvt_i32_f32_e32 v4, v3
	v_cvt_f32_i32_dpp v1, v1 row_shr:15 row_mask:0xf bank_mask:0xf bound_ctrl:1
	v_cvt_i32_f32_e32 v18, v16
	v_cvt_i32_f32_e32 v25, v23
	v_add_f32_e32 v9, v5, v2
	v_cvt_i32_f32_e32 v2, v0
	v_cvt_f32_i32_dpp v4, v4 row_bcast:15 row_mask:0xf bank_mask:0xf bound_ctrl:1
	v_cvt_i32_f32_e32 v5, v1
	v_mov_b32_dpp v14, v18 row_bcast:31 row_mask:0xf bank_mask:0xf bound_ctrl:1
	v_cvt_f32_i32_dpp v18, v25 row_bcast:15 row_mask:0xf bank_mask:0xf bound_ctrl:1
	v_cvt_f32_i32_dpp v2, v2 row_bcast:15 row_mask:0xf bank_mask:0xf bound_ctrl:1
	v_add_f32_e32 v6, v3, v4
	v_cvt_f32_i32_dpp v3, v5 row_bcast:15 row_mask:0xf bank_mask:0xf bound_ctrl:1
	v_add_f32_e32 v12, v23, v18
	v_add_f32_e32 v4, v0, v2
	v_cvt_i32_f32_e32 v22, v13
	v_add_f32_e32 v2, v1, v3
	v_cvt_i32_f32_e32 v18, v12
	v_cvt_i32_f32_e32 v7, v9
	;; [unrolled: 1-line block ×5, first 2 shown]
	v_mov_b32_dpp v10, v22 row_bcast:31 row_mask:0xf bank_mask:0xf bound_ctrl:1
	v_mov_b32_dpp v8, v18 row_bcast:31 row_mask:0xf bank_mask:0xf bound_ctrl:1
	;; [unrolled: 1-line block ×6, first 2 shown]
	s_and_saveexec_b64 s[20:21], s[0:1]
	s_cbranch_execz .LBB230_13
; %bb.22:                               ;   in Loop: Header=BB230_14 Depth=1
	s_andn2_b64 vcc, exec, s[18:19]
	v_mov_b32_e32 v0, 0
	v_mov_b32_e32 v35, 0
	;; [unrolled: 1-line block ×12, first 2 shown]
	s_cbranch_vccnz .LBB230_24
; %bb.23:                               ;   in Loop: Header=BB230_14 Depth=1
	v_mul_hi_u32 v0, v96, v117
	v_mul_lo_u32 v0, v0, s12
	v_sub_u32_e32 v0, v96, v0
	v_subrev_u32_e32 v1, s12, v0
	v_cmp_le_u32_e32 vcc, s12, v0
	v_mov_b32_e32 v23, v99
	v_mov_b32_e32 v41, v99
	v_cndmask_b32_e32 v0, v0, v1, vcc
	v_subrev_u32_e32 v1, s12, v0
	v_cmp_le_u32_e32 vcc, s12, v0
	v_mov_b32_e32 v45, v99
	s_nop 0
	v_cndmask_b32_e32 v98, v0, v1, vcc
	v_or_b32_e32 v0, 1, v96
	v_mul_hi_u32 v1, v0, v117
	v_mul_lo_u32 v1, v1, s12
	v_sub_u32_e32 v0, v0, v1
	v_subrev_u32_e32 v1, s12, v0
	v_cmp_le_u32_e32 vcc, s12, v0
	v_lshl_add_u64 v[18:19], v[98:99], 1, s[8:9]
	s_nop 0
	v_cndmask_b32_e32 v0, v0, v1, vcc
	v_subrev_u32_e32 v1, s12, v0
	v_cmp_le_u32_e32 vcc, s12, v0
	s_nop 1
	v_cndmask_b32_e32 v22, v0, v1, vcc
	v_or_b32_e32 v0, 2, v96
	v_mul_hi_u32 v1, v0, v117
	v_mul_lo_u32 v1, v1, s12
	v_sub_u32_e32 v0, v0, v1
	v_subrev_u32_e32 v1, s12, v0
	v_cmp_le_u32_e32 vcc, s12, v0
	v_lshl_add_u64 v[38:39], v[22:23], 1, s[8:9]
	s_nop 0
	v_cndmask_b32_e32 v0, v0, v1, vcc
	v_subrev_u32_e32 v1, s12, v0
	v_cmp_le_u32_e32 vcc, s12, v0
	;; [unrolled: 13-line block ×3, first 2 shown]
	s_nop 1
	v_cndmask_b32_e32 v44, v0, v1, vcc
	v_add_u32_e32 v0, s26, v98
	v_mov_b32_e32 v1, v99
	v_lshl_add_u64 v[48:49], v[0:1], 1, s[8:9]
	v_add_u32_e32 v0, s26, v22
	v_lshl_add_u64 v[50:51], v[0:1], 1, s[8:9]
	v_add_u32_e32 v0, s26, v40
	;; [unrolled: 2-line block ×3, first 2 shown]
	v_lshl_add_u64 v[46:47], v[44:45], 1, s[8:9]
	v_lshl_add_u64 v[54:55], v[0:1], 1, s[8:9]
	global_load_ushort v0, v[18:19], off
	global_load_ushort v35, v[38:39], off
	;; [unrolled: 1-line block ×8, first 2 shown]
	v_add_u32_e32 v98, s27, v98
	v_lshl_add_u64 v[38:39], v[98:99], 1, s[8:9]
	v_add_u32_e32 v98, s27, v22
	v_lshl_add_u64 v[42:43], v[98:99], 1, s[8:9]
	;; [unrolled: 2-line block ×4, first 2 shown]
	global_load_ushort v22, v[38:39], off
	global_load_ushort v19, v[42:43], off
	;; [unrolled: 1-line block ×4, first 2 shown]
.LBB230_24:                             ;   in Loop: Header=BB230_14 Depth=1
	v_cvt_f32_i32_e32 v1, v33
	s_waitcnt vmcnt(11)
	v_lshlrev_b32_e32 v0, 16, v0
                                        ; implicit-def: $vgpr33
	v_add_f32_e32 v1, v36, v1
	v_add_f32_e32 v0, v1, v0
	v_and_b32_e32 v1, 0x7f800000, v0
	v_cmp_ne_u32_e32 vcc, s29, v1
	s_and_saveexec_b64 s[22:23], vcc
	s_xor_b64 s[22:23], exec, s[22:23]
; %bb.25:                               ;   in Loop: Header=BB230_14 Depth=1
	v_bfe_u32 v1, v0, 16, 1
	v_add3_u32 v33, v0, v1, s30
                                        ; implicit-def: $vgpr0
; %bb.26:                               ;   in Loop: Header=BB230_14 Depth=1
	s_andn2_saveexec_b64 s[22:23], s[22:23]
; %bb.27:                               ;   in Loop: Header=BB230_14 Depth=1
	v_or_b32_e32 v1, 0x10000, v0
	v_cmp_eq_u32_sdwa vcc, v0, v99 src0_sel:WORD_0 src1_sel:DWORD
	s_nop 1
	v_cndmask_b32_e32 v33, v1, v0, vcc
; %bb.28:                               ;   in Loop: Header=BB230_14 Depth=1
	s_or_b64 exec, exec, s[22:23]
	v_cvt_f32_i32_e32 v30, v30
	v_mov_b32_e32 v97, v99
	v_lshl_add_u64 v[0:1], v[96:97], 1, s[10:11]
	global_store_short_d16_hi v[0:1], v33, off
	v_add_f32_e32 v30, v32, v30
	s_waitcnt vmcnt(11)
	v_lshlrev_b32_e32 v32, 16, v35
	v_add_f32_e32 v30, v30, v32
	v_and_b32_e32 v32, 0x7f800000, v30
	v_cmp_ne_u32_e32 vcc, s29, v32
                                        ; implicit-def: $vgpr32
	s_and_saveexec_b64 s[22:23], vcc
	s_xor_b64 s[22:23], exec, s[22:23]
; %bb.29:                               ;   in Loop: Header=BB230_14 Depth=1
	v_bfe_u32 v32, v30, 16, 1
	v_add3_u32 v32, v30, v32, s30
                                        ; implicit-def: $vgpr30
; %bb.30:                               ;   in Loop: Header=BB230_14 Depth=1
	s_andn2_saveexec_b64 s[22:23], s[22:23]
; %bb.31:                               ;   in Loop: Header=BB230_14 Depth=1
	v_or_b32_e32 v32, 0x10000, v30
	v_cmp_eq_u32_sdwa vcc, v30, v99 src0_sel:WORD_0 src1_sel:DWORD
	s_nop 1
	v_cndmask_b32_e32 v32, v32, v30, vcc
; %bb.32:                               ;   in Loop: Header=BB230_14 Depth=1
	s_or_b64 exec, exec, s[22:23]
	v_cvt_f32_i32_e32 v29, v29
	global_store_short_d16_hi v[0:1], v32, off offset:2
	v_add_f32_e32 v28, v28, v29
	s_waitcnt vmcnt(11)
	v_lshlrev_b32_e32 v29, 16, v34
	v_add_f32_e32 v28, v28, v29
	v_and_b32_e32 v29, 0x7f800000, v28
	v_cmp_ne_u32_e32 vcc, s29, v29
                                        ; implicit-def: $vgpr29
	s_and_saveexec_b64 s[22:23], vcc
	s_xor_b64 s[22:23], exec, s[22:23]
; %bb.33:                               ;   in Loop: Header=BB230_14 Depth=1
	v_bfe_u32 v29, v28, 16, 1
	v_add3_u32 v29, v28, v29, s30
                                        ; implicit-def: $vgpr28
; %bb.34:                               ;   in Loop: Header=BB230_14 Depth=1
	s_andn2_saveexec_b64 s[22:23], s[22:23]
; %bb.35:                               ;   in Loop: Header=BB230_14 Depth=1
	v_or_b32_e32 v29, 0x10000, v28
	v_cmp_eq_u32_sdwa vcc, v28, v99 src0_sel:WORD_0 src1_sel:DWORD
	s_nop 1
	v_cndmask_b32_e32 v29, v29, v28, vcc
; %bb.36:                               ;   in Loop: Header=BB230_14 Depth=1
	s_or_b64 exec, exec, s[22:23]
	v_cvt_f32_i32_e32 v21, v21
	global_store_short_d16_hi v[0:1], v29, off offset:4
	v_add_f32_e32 v21, v24, v21
	s_waitcnt vmcnt(11)
	v_lshlrev_b32_e32 v24, 16, v31
	v_add_f32_e32 v21, v21, v24
	v_and_b32_e32 v24, 0x7f800000, v21
	v_cmp_ne_u32_e32 vcc, s29, v24
                                        ; implicit-def: $vgpr24
	s_and_saveexec_b64 s[22:23], vcc
	s_xor_b64 s[22:23], exec, s[22:23]
; %bb.37:                               ;   in Loop: Header=BB230_14 Depth=1
	v_bfe_u32 v24, v21, 16, 1
	v_add3_u32 v24, v21, v24, s30
                                        ; implicit-def: $vgpr21
; %bb.38:                               ;   in Loop: Header=BB230_14 Depth=1
	s_andn2_saveexec_b64 s[22:23], s[22:23]
; %bb.39:                               ;   in Loop: Header=BB230_14 Depth=1
	v_or_b32_e32 v24, 0x10000, v21
	v_cmp_eq_u32_sdwa vcc, v21, v99 src0_sel:WORD_0 src1_sel:DWORD
	s_nop 1
	v_cndmask_b32_e32 v24, v24, v21, vcc
; %bb.40:                               ;   in Loop: Header=BB230_14 Depth=1
	s_or_b64 exec, exec, s[22:23]
	v_cvt_f32_i32_e32 v17, v17
	global_store_short_d16_hi v[0:1], v24, off offset:6
	s_waitcnt vmcnt(11)
	v_lshlrev_b32_e32 v1, 16, v27
	v_add_f32_e32 v0, v20, v17
	v_add_f32_e32 v1, v0, v1
	v_and_b32_e32 v0, 0x7f800000, v1
	v_cmp_ne_u32_e32 vcc, s29, v0
                                        ; implicit-def: $vgpr0
	s_and_saveexec_b64 s[22:23], vcc
	s_xor_b64 s[22:23], exec, s[22:23]
; %bb.41:                               ;   in Loop: Header=BB230_14 Depth=1
	v_bfe_u32 v0, v1, 16, 1
	v_add3_u32 v0, v1, v0, s30
                                        ; implicit-def: $vgpr1
; %bb.42:                               ;   in Loop: Header=BB230_14 Depth=1
	s_andn2_saveexec_b64 s[22:23], s[22:23]
; %bb.43:                               ;   in Loop: Header=BB230_14 Depth=1
	v_or_b32_e32 v0, 0x10000, v1
	v_cmp_eq_u32_sdwa vcc, v1, v99 src0_sel:WORD_0 src1_sel:DWORD
	s_nop 1
	v_cndmask_b32_e32 v0, v0, v1, vcc
; %bb.44:                               ;   in Loop: Header=BB230_14 Depth=1
	s_or_b64 exec, exec, s[22:23]
	v_cvt_f32_i32_e32 v1, v14
	v_add_u32_e32 v98, s7, v96
	v_lshl_add_u64 v[20:21], v[98:99], 1, s[10:11]
	global_store_short_d16_hi v[20:21], v0, off
	v_add_f32_e32 v0, v16, v1
	s_waitcnt vmcnt(11)
	v_lshlrev_b32_e32 v1, 16, v26
	v_add_f32_e32 v1, v0, v1
	v_and_b32_e32 v0, 0x7f800000, v1
	v_cmp_ne_u32_e32 vcc, s29, v0
                                        ; implicit-def: $vgpr0
	s_and_saveexec_b64 s[22:23], vcc
	s_xor_b64 s[22:23], exec, s[22:23]
; %bb.45:                               ;   in Loop: Header=BB230_14 Depth=1
	v_bfe_u32 v0, v1, 16, 1
	v_add3_u32 v0, v1, v0, s30
                                        ; implicit-def: $vgpr1
; %bb.46:                               ;   in Loop: Header=BB230_14 Depth=1
	s_andn2_saveexec_b64 s[22:23], s[22:23]
; %bb.47:                               ;   in Loop: Header=BB230_14 Depth=1
	v_or_b32_e32 v0, 0x10000, v1
	v_cmp_eq_u32_sdwa vcc, v1, v99 src0_sel:WORD_0 src1_sel:DWORD
	s_nop 1
	v_cndmask_b32_e32 v0, v0, v1, vcc
; %bb.48:                               ;   in Loop: Header=BB230_14 Depth=1
	s_or_b64 exec, exec, s[22:23]
	v_cvt_f32_i32_e32 v1, v10
	v_add_u32_e32 v16, 1, v98
	v_mov_b32_e32 v17, v99
	v_lshl_add_u64 v[16:17], v[16:17], 1, s[10:11]
	v_add_f32_e32 v1, v13, v1
	global_store_short_d16_hi v[16:17], v0, off
	s_waitcnt vmcnt(11)
	v_lshlrev_b32_e32 v0, 16, v25
	v_add_f32_e32 v1, v1, v0
	v_and_b32_e32 v0, 0x7f800000, v1
	v_cmp_ne_u32_e32 vcc, s29, v0
                                        ; implicit-def: $vgpr0
	s_and_saveexec_b64 s[22:23], vcc
	s_xor_b64 s[22:23], exec, s[22:23]
; %bb.49:                               ;   in Loop: Header=BB230_14 Depth=1
	v_bfe_u32 v0, v1, 16, 1
	v_add3_u32 v0, v1, v0, s30
                                        ; implicit-def: $vgpr1
; %bb.50:                               ;   in Loop: Header=BB230_14 Depth=1
	s_andn2_saveexec_b64 s[22:23], s[22:23]
; %bb.51:                               ;   in Loop: Header=BB230_14 Depth=1
	v_or_b32_e32 v0, 0x10000, v1
	v_cmp_eq_u32_sdwa vcc, v1, v99 src0_sel:WORD_0 src1_sel:DWORD
	s_nop 1
	v_cndmask_b32_e32 v0, v0, v1, vcc
; %bb.52:                               ;   in Loop: Header=BB230_14 Depth=1
	s_or_b64 exec, exec, s[22:23]
	v_cvt_f32_i32_e32 v1, v8
	v_add_u32_e32 v16, 2, v98
	v_mov_b32_e32 v17, v99
	v_lshl_add_u64 v[16:17], v[16:17], 1, s[10:11]
	v_add_f32_e32 v1, v12, v1
	global_store_short_d16_hi v[16:17], v0, off
	;; [unrolled: 27-line block ×3, first 2 shown]
	s_waitcnt vmcnt(11)
	v_lshlrev_b32_e32 v0, 16, v22
	v_add_f32_e32 v0, v1, v0
	v_and_b32_e32 v1, 0x7f800000, v0
	v_cmp_ne_u32_e32 vcc, s29, v1
                                        ; implicit-def: $vgpr8
	s_and_saveexec_b64 s[22:23], vcc
	s_xor_b64 s[22:23], exec, s[22:23]
; %bb.57:                               ;   in Loop: Header=BB230_14 Depth=1
	v_bfe_u32 v1, v0, 16, 1
	v_add3_u32 v8, v0, v1, s30
                                        ; implicit-def: $vgpr0
; %bb.58:                               ;   in Loop: Header=BB230_14 Depth=1
	s_andn2_saveexec_b64 s[22:23], s[22:23]
; %bb.59:                               ;   in Loop: Header=BB230_14 Depth=1
	v_or_b32_e32 v1, 0x10000, v0
	v_cmp_eq_u32_sdwa vcc, v0, v99 src0_sel:WORD_0 src1_sel:DWORD
	s_nop 1
	v_cndmask_b32_e32 v8, v1, v0, vcc
; %bb.60:                               ;   in Loop: Header=BB230_14 Depth=1
	s_or_b64 exec, exec, s[22:23]
	v_cvt_f32_i32_e32 v7, v7
	v_add_u32_e32 v98, s7, v98
	v_lshl_add_u64 v[0:1], v[98:99], 1, s[10:11]
	global_store_short_d16_hi v[0:1], v8, off
	v_add_f32_e32 v6, v6, v7
	s_waitcnt vmcnt(11)
	v_lshlrev_b32_e32 v7, 16, v19
	v_add_f32_e32 v6, v6, v7
	v_and_b32_e32 v7, 0x7f800000, v6
	v_cmp_ne_u32_e32 vcc, s29, v7
                                        ; implicit-def: $vgpr7
	s_and_saveexec_b64 s[22:23], vcc
	s_xor_b64 s[22:23], exec, s[22:23]
; %bb.61:                               ;   in Loop: Header=BB230_14 Depth=1
	v_bfe_u32 v7, v6, 16, 1
	v_add3_u32 v7, v6, v7, s30
                                        ; implicit-def: $vgpr6
; %bb.62:                               ;   in Loop: Header=BB230_14 Depth=1
	s_andn2_saveexec_b64 s[22:23], s[22:23]
; %bb.63:                               ;   in Loop: Header=BB230_14 Depth=1
	v_or_b32_e32 v7, 0x10000, v6
	v_cmp_eq_u32_sdwa vcc, v6, v99 src0_sel:WORD_0 src1_sel:DWORD
	s_nop 1
	v_cndmask_b32_e32 v7, v7, v6, vcc
; %bb.64:                               ;   in Loop: Header=BB230_14 Depth=1
	s_or_b64 exec, exec, s[22:23]
	v_cvt_f32_i32_e32 v5, v5
	global_store_short_d16_hi v[0:1], v7, off offset:2
	s_waitcnt vmcnt(11)
	v_lshlrev_b32_e32 v1, 16, v18
	v_add_f32_e32 v0, v4, v5
	v_add_f32_e32 v1, v0, v1
	v_and_b32_e32 v0, 0x7f800000, v1
	v_cmp_ne_u32_e32 vcc, s29, v0
                                        ; implicit-def: $vgpr0
	s_and_saveexec_b64 s[22:23], vcc
	s_xor_b64 s[22:23], exec, s[22:23]
; %bb.65:                               ;   in Loop: Header=BB230_14 Depth=1
	v_bfe_u32 v0, v1, 16, 1
	v_add3_u32 v0, v1, v0, s30
                                        ; implicit-def: $vgpr1
; %bb.66:                               ;   in Loop: Header=BB230_14 Depth=1
	s_andn2_saveexec_b64 s[22:23], s[22:23]
; %bb.67:                               ;   in Loop: Header=BB230_14 Depth=1
	v_or_b32_e32 v0, 0x10000, v1
	v_cmp_eq_u32_sdwa vcc, v1, v99 src0_sel:WORD_0 src1_sel:DWORD
	s_nop 1
	v_cndmask_b32_e32 v0, v0, v1, vcc
; %bb.68:                               ;   in Loop: Header=BB230_14 Depth=1
	s_or_b64 exec, exec, s[22:23]
	v_cvt_f32_i32_e32 v1, v3
	v_add_u32_e32 v4, 2, v98
	v_mov_b32_e32 v5, v99
	v_lshl_add_u64 v[4:5], v[4:5], 1, s[10:11]
	v_add_f32_e32 v1, v2, v1
	global_store_short_d16_hi v[4:5], v0, off
	s_waitcnt vmcnt(11)
	v_lshlrev_b32_e32 v0, 16, v15
	v_add_f32_e32 v1, v1, v0
	v_and_b32_e32 v0, 0x7f800000, v1
	v_cmp_ne_u32_e32 vcc, s29, v0
                                        ; implicit-def: $vgpr0
	s_and_saveexec_b64 s[22:23], vcc
	s_xor_b64 s[22:23], exec, s[22:23]
; %bb.69:                               ;   in Loop: Header=BB230_14 Depth=1
	v_bfe_u32 v0, v1, 16, 1
	v_add3_u32 v0, v1, v0, s30
                                        ; implicit-def: $vgpr1
; %bb.70:                               ;   in Loop: Header=BB230_14 Depth=1
	s_andn2_saveexec_b64 s[22:23], s[22:23]
	s_cbranch_execz .LBB230_12
; %bb.71:                               ;   in Loop: Header=BB230_14 Depth=1
	v_or_b32_e32 v0, 0x10000, v1
	v_cmp_eq_u32_sdwa vcc, v1, v99 src0_sel:WORD_0 src1_sel:DWORD
	s_nop 1
	v_cndmask_b32_e32 v0, v0, v1, vcc
	s_branch .LBB230_12
.LBB230_72:
	s_endpgm
	.section	.rodata,"a",@progbits
	.p2align	6, 0x0
	.amdhsa_kernel _Z16wvSplitK_hf_sml_I14__hip_bfloat16Li32ELi4ELi16ELi8ELi2ELi3EEviiiiiiPKT_S3_S3_PS1_ii
		.amdhsa_group_segment_fixed_size 65536
		.amdhsa_private_segment_fixed_size 0
		.amdhsa_kernarg_size 64
		.amdhsa_user_sgpr_count 2
		.amdhsa_user_sgpr_dispatch_ptr 0
		.amdhsa_user_sgpr_queue_ptr 0
		.amdhsa_user_sgpr_kernarg_segment_ptr 1
		.amdhsa_user_sgpr_dispatch_id 0
		.amdhsa_user_sgpr_kernarg_preload_length 0
		.amdhsa_user_sgpr_kernarg_preload_offset 0
		.amdhsa_user_sgpr_private_segment_size 0
		.amdhsa_uses_dynamic_stack 0
		.amdhsa_enable_private_segment 0
		.amdhsa_system_sgpr_workgroup_id_x 1
		.amdhsa_system_sgpr_workgroup_id_y 0
		.amdhsa_system_sgpr_workgroup_id_z 0
		.amdhsa_system_sgpr_workgroup_info 0
		.amdhsa_system_vgpr_workitem_id 1
		.amdhsa_next_free_vgpr 121
		.amdhsa_next_free_sgpr 32
		.amdhsa_accum_offset 124
		.amdhsa_reserve_vcc 1
		.amdhsa_float_round_mode_32 0
		.amdhsa_float_round_mode_16_64 0
		.amdhsa_float_denorm_mode_32 3
		.amdhsa_float_denorm_mode_16_64 3
		.amdhsa_dx10_clamp 1
		.amdhsa_ieee_mode 1
		.amdhsa_fp16_overflow 0
		.amdhsa_tg_split 0
		.amdhsa_exception_fp_ieee_invalid_op 0
		.amdhsa_exception_fp_denorm_src 0
		.amdhsa_exception_fp_ieee_div_zero 0
		.amdhsa_exception_fp_ieee_overflow 0
		.amdhsa_exception_fp_ieee_underflow 0
		.amdhsa_exception_fp_ieee_inexact 0
		.amdhsa_exception_int_div_zero 0
	.end_amdhsa_kernel
	.section	.text._Z16wvSplitK_hf_sml_I14__hip_bfloat16Li32ELi4ELi16ELi8ELi2ELi3EEviiiiiiPKT_S3_S3_PS1_ii,"axG",@progbits,_Z16wvSplitK_hf_sml_I14__hip_bfloat16Li32ELi4ELi16ELi8ELi2ELi3EEviiiiiiPKT_S3_S3_PS1_ii,comdat
.Lfunc_end230:
	.size	_Z16wvSplitK_hf_sml_I14__hip_bfloat16Li32ELi4ELi16ELi8ELi2ELi3EEviiiiiiPKT_S3_S3_PS1_ii, .Lfunc_end230-_Z16wvSplitK_hf_sml_I14__hip_bfloat16Li32ELi4ELi16ELi8ELi2ELi3EEviiiiiiPKT_S3_S3_PS1_ii
                                        ; -- End function
	.section	.AMDGPU.csdata,"",@progbits
; Kernel info:
; codeLenInByte = 5488
; NumSgprs: 38
; NumVgprs: 121
; NumAgprs: 0
; TotalNumVgprs: 121
; ScratchSize: 0
; MemoryBound: 0
; FloatMode: 240
; IeeeMode: 1
; LDSByteSize: 65536 bytes/workgroup (compile time only)
; SGPRBlocks: 4
; VGPRBlocks: 15
; NumSGPRsForWavesPerEU: 38
; NumVGPRsForWavesPerEU: 121
; AccumOffset: 124
; Occupancy: 2
; WaveLimiterHint : 0
; COMPUTE_PGM_RSRC2:SCRATCH_EN: 0
; COMPUTE_PGM_RSRC2:USER_SGPR: 2
; COMPUTE_PGM_RSRC2:TRAP_HANDLER: 0
; COMPUTE_PGM_RSRC2:TGID_X_EN: 1
; COMPUTE_PGM_RSRC2:TGID_Y_EN: 0
; COMPUTE_PGM_RSRC2:TGID_Z_EN: 0
; COMPUTE_PGM_RSRC2:TIDIG_COMP_CNT: 1
; COMPUTE_PGM_RSRC3_GFX90A:ACCUM_OFFSET: 30
; COMPUTE_PGM_RSRC3_GFX90A:TG_SPLIT: 0
	.section	.text._Z12wvSplitK_hf_I14__hip_bfloat16Li32ELi4ELi16ELi8ELi2ELi3EEviiiiiiPKT_S3_S3_PS1_ii,"axG",@progbits,_Z12wvSplitK_hf_I14__hip_bfloat16Li32ELi4ELi16ELi8ELi2ELi3EEviiiiiiPKT_S3_S3_PS1_ii,comdat
	.protected	_Z12wvSplitK_hf_I14__hip_bfloat16Li32ELi4ELi16ELi8ELi2ELi3EEviiiiiiPKT_S3_S3_PS1_ii ; -- Begin function _Z12wvSplitK_hf_I14__hip_bfloat16Li32ELi4ELi16ELi8ELi2ELi3EEviiiiiiPKT_S3_S3_PS1_ii
	.globl	_Z12wvSplitK_hf_I14__hip_bfloat16Li32ELi4ELi16ELi8ELi2ELi3EEviiiiiiPKT_S3_S3_PS1_ii
	.p2align	8
	.type	_Z12wvSplitK_hf_I14__hip_bfloat16Li32ELi4ELi16ELi8ELi2ELi3EEviiiiiiPKT_S3_S3_PS1_ii,@function
_Z12wvSplitK_hf_I14__hip_bfloat16Li32ELi4ELi16ELi8ELi2ELi3EEviiiiiiPKT_S3_S3_PS1_ii: ; @_Z12wvSplitK_hf_I14__hip_bfloat16Li32ELi4ELi16ELi8ELi2ELi3EEviiiiiiPKT_S3_S3_PS1_ii
; %bb.0:
	s_load_dwordx2 s[8:9], s[0:1], 0x38
	s_load_dwordx2 s[20:21], s[0:1], 0x20
	s_load_dwordx4 s[12:15], s[0:1], 0x0
	s_load_dwordx2 s[22:23], s[0:1], 0x10
	v_bfe_u32 v8, v0, 10, 10
	s_waitcnt lgkmcnt(0)
	s_mul_i32 s2, s2, s8
	v_add_lshl_u32 v110, s2, v8, 2
	s_mov_b32 s4, 1
	v_add_u32_e32 v1, 4, v110
	s_mov_b32 s5, s4
	v_cmp_gt_u32_e32 vcc, s15, v110
	v_cmp_le_u32_e64 s[2:3], s15, v1
	s_mov_b32 s6, s4
	s_mov_b32 s7, s4
	v_mov_b64_e32 v[2:3], s[4:5]
	s_and_b64 s[10:11], vcc, s[2:3]
	v_mov_b64_e32 v[4:5], s[6:7]
	s_and_saveexec_b64 s[2:3], s[10:11]
	s_cbranch_execz .LBB231_6
; %bb.1:
	s_add_i32 s24, s15, -4
	v_mov_b64_e32 v[2:3], s[4:5]
	v_cmp_ne_u32_e32 vcc, s24, v110
	v_mov_b64_e32 v[4:5], s[6:7]
	s_and_saveexec_b64 s[10:11], vcc
	s_cbranch_execz .LBB231_5
; %bb.2:
	v_subrev_u32_e32 v1, s24, v110
	v_cmp_lt_u32_e32 vcc, 1, v1
	s_mov_b64 s[16:17], 0
	s_mov_b64 s[18:19], 0
	v_cndmask_b32_e32 v6, 1, v1, vcc
	s_mov_b32 s5, s4
	s_mov_b32 s6, s4
	;; [unrolled: 1-line block ×3, first 2 shown]
.LBB231_3:                              ; =>This Inner Loop Header: Depth=1
	s_cmp_lg_u32 s18, 3
	s_cselect_b32 s7, s7, 0
	s_cmp_lg_u32 s18, 2
	s_cselect_b32 s6, s6, 0
	;; [unrolled: 2-line block ×4, first 2 shown]
	s_add_u32 s18, s18, 1
	s_addc_u32 s19, s19, 0
	v_cmp_eq_u32_e32 vcc, s18, v6
	v_mov_b64_e32 v[2:3], s[4:5]
	s_or_b64 s[16:17], vcc, s[16:17]
	v_mov_b64_e32 v[4:5], s[6:7]
	s_andn2_b64 exec, exec, s[16:17]
	s_cbranch_execnz .LBB231_3
; %bb.4:
	s_or_b64 exec, exec, s[16:17]
	v_mov_b32_e32 v110, s24
.LBB231_5:
	s_or_b64 exec, exec, s[10:11]
.LBB231_6:
	s_or_b64 exec, exec, s[2:3]
	v_and_b32_e32 v9, 0x3ff, v0
	v_lshlrev_b32_e32 v130, 3, v9
	s_mul_i32 s2, s14, 3
	v_lshl_add_u32 v10, v8, 8, v130
	s_min_u32 s4, s2, 0x8000
	v_cmp_gt_u32_e32 vcc, s4, v10
	s_and_saveexec_b64 s[2:3], vcc
	s_cbranch_execz .LBB231_15
; %bb.7:
	v_lshlrev_b32_e32 v0, 1, v10
	global_load_dwordx4 v[12:15], v0, s[20:21]
	v_add_u32_e32 v1, 0x1000, v10
	v_cmp_gt_u32_e32 vcc, s4, v1
	s_waitcnt vmcnt(0)
	ds_write_b128 v0, v[12:15]
	s_and_saveexec_b64 s[6:7], vcc
	s_xor_b64 s[6:7], exec, s[6:7]
	s_cbranch_execz .LBB231_15
; %bb.8:
	v_mov_b32_e32 v1, 0
	v_lshl_add_u64 v[6:7], s[20:21], 0, v[0:1]
	v_add_co_u32_e32 v12, vcc, 0x2000, v6
	v_add_u32_e32 v1, 0x2000, v10
	s_nop 0
	v_addc_co_u32_e32 v13, vcc, 0, v7, vcc
	global_load_dwordx4 v[12:15], v[12:13], off
	v_cmp_gt_u32_e32 vcc, s4, v1
	s_waitcnt vmcnt(0)
	ds_write_b128 v0, v[12:15] offset:8192
	s_and_saveexec_b64 s[6:7], vcc
	s_xor_b64 s[6:7], exec, s[6:7]
	s_cbranch_execz .LBB231_15
; %bb.9:
	v_add_co_u32_e32 v12, vcc, 0x4000, v6
	v_add_u32_e32 v1, 0x3000, v10
	s_nop 0
	v_addc_co_u32_e32 v13, vcc, 0, v7, vcc
	global_load_dwordx4 v[12:15], v[12:13], off
	v_cmp_gt_u32_e32 vcc, s4, v1
	s_waitcnt vmcnt(0)
	ds_write_b128 v0, v[12:15] offset:16384
	s_and_saveexec_b64 s[6:7], vcc
	s_xor_b64 s[6:7], exec, s[6:7]
	s_cbranch_execz .LBB231_15
; %bb.10:
	;; [unrolled: 12-line block ×6, first 2 shown]
	v_add_co_u32_e32 v6, vcc, 0xe000, v6
	s_nop 1
	v_addc_co_u32_e32 v7, vcc, 0, v7, vcc
	global_load_dwordx4 v[10:13], v[6:7], off
	s_waitcnt vmcnt(0)
	ds_write_b128 v0, v[10:13] offset:57344
.LBB231_15:
	s_or_b64 exec, exec, s[2:3]
	v_cmp_gt_u32_e32 vcc, s8, v8
	v_cmp_gt_u32_e64 s[2:3], s15, v110
	s_and_b64 s[2:3], vcc, s[2:3]
	s_waitcnt lgkmcnt(0)
	s_barrier
	s_and_saveexec_b64 s[4:5], s[2:3]
	s_cbranch_execz .LBB231_130
; %bb.16:
	s_load_dwordx4 s[16:19], s[0:1], 0x28
	s_load_dwordx2 s[24:25], s[0:1], 0x18
	s_cmp_lg_u32 s12, 0
	s_cselect_b64 s[2:3], -1, 0
	s_add_i32 s33, s12, -8
	s_add_i32 s40, s15, -1
	s_mul_i32 s4, s8, s9
	s_waitcnt lgkmcnt(0)
	s_cmp_lg_u64 s[16:17], 0
	s_cselect_b64 s[28:29], -1, 0
	s_lshl_b32 s41, s4, 2
	s_abs_i32 s4, s23
	v_cvt_f32_u32_e32 v0, s22
	v_cvt_f32_u32_e32 v1, s4
	s_sub_i32 s5, 0, s22
	s_add_i32 s23, s15, -4
	v_rcp_iflag_f32_e32 v0, v0
	v_rcp_iflag_f32_e32 v1, v1
	v_cmp_eq_u32_e64 s[0:1], 31, v9
	s_mov_b64 s[26:27], 0
	v_mul_f32_e32 v0, 0x4f7ffffe, v0
	v_mul_f32_e32 v1, 0x4f7ffffe, v1
	v_cvt_u32_f32_e32 v0, v0
	v_cvt_u32_f32_e32 v7, v1
	v_mov_b32_e32 v1, 0
	v_lshlrev_b32_e32 v132, 4, v9
	v_mul_lo_u32 v6, s5, v0
	s_sub_i32 s5, 0, s4
	v_readfirstlane_b32 s6, v7
	s_mul_i32 s5, s5, s6
	s_mul_hi_u32 s5, s6, s5
	s_add_i32 s6, s6, s5
	s_sub_i32 s5, 1, s4
	s_cmp_lt_u32 s4, 2
	s_cselect_b32 s5, s5, 1
	s_sub_i32 s7, s5, s4
	s_cmp_ge_u32 s5, s4
	s_cselect_b32 s42, s7, s5
	s_lshr_b32 s5, s6, 31
	s_mul_i32 s5, s5, s4
	s_sub_i32 s5, 2, s5
	s_sub_i32 s6, s5, s4
	s_cmp_ge_u32 s5, s4
	s_cselect_b32 s5, s6, s5
	s_sub_i32 s6, s5, s4
	v_mul_hi_u32 v6, v0, v6
	s_cmp_ge_u32 s5, s4
	v_add_u32_e32 v131, v0, v6
	s_cselect_b32 s43, s6, s5
	s_lshl_b32 s44, s14, 1
	v_cndmask_b32_e64 v0, 0, 1, s[2:3]
	s_mul_i32 s42, s42, s22
	s_mul_i32 s43, s43, s22
	s_lshl_b32 s45, s14, 2
	v_add_u32_e32 v133, s44, v130
	v_add_u32_e32 v134, s14, v130
	v_cmp_ne_u32_e64 s[2:3], 1, v0
	s_movk_i32 s14, 0x7fff
	s_mov_b32 s46, 0x7f800000
	s_mov_b32 s30, 0
	s_branch .LBB231_19
.LBB231_17:                             ;   in Loop: Header=BB231_19 Depth=1
	s_or_b64 exec, exec, s[8:9]
	v_mov_b32_e32 v110, s23
.LBB231_18:                             ;   in Loop: Header=BB231_19 Depth=1
	s_or_b64 exec, exec, s[6:7]
	v_cmp_le_u32_e32 vcc, s15, v110
	s_or_b64 s[26:27], vcc, s[26:27]
	s_andn2_b64 exec, exec, s[26:27]
	s_cbranch_execz .LBB231_130
.LBB231_19:                             ; =>This Loop Header: Depth=1
                                        ;     Child Loop BB231_24 Depth 2
                                        ;     Child Loop BB231_128 Depth 2
	s_and_b64 vcc, exec, s[2:3]
	v_add_u32_e32 v116, 1, v110
	v_add_u32_e32 v114, 2, v110
	;; [unrolled: 1-line block ×3, first 2 shown]
	v_mov_b32_e32 v13, v1
	s_waitcnt vmcnt(0)
	v_mov_b32_e32 v12, v1
	v_mov_b32_e32 v11, v1
	;; [unrolled: 1-line block ×47, first 2 shown]
	s_cbranch_vccnz .LBB231_50
; %bb.20:                               ;   in Loop: Header=BB231_19 Depth=1
	v_min_u32_e32 v0, s40, v110
	v_min_u32_e32 v6, s40, v116
	;; [unrolled: 1-line block ×4, first 2 shown]
	v_mul_lo_u32 v0, v0, s13
	v_mul_lo_u32 v6, v6, s13
	v_mov_b32_e32 v7, v1
	v_mul_lo_u32 v8, v8, s13
	v_mov_b32_e32 v9, v1
	;; [unrolled: 2-line block ×3, first 2 shown]
	v_mov_b32_e32 v38, 0
	s_mov_b32 s4, 0
	v_lshlrev_b64 v[118:119], 1, v[0:1]
	v_lshlrev_b64 v[120:121], 1, v[6:7]
	;; [unrolled: 1-line block ×4, first 2 shown]
	v_mov_b32_e32 v111, v132
	s_mov_b32 s34, 0
	v_mov_b32_e32 v39, v38
	v_mov_b32_e32 v40, v38
	;; [unrolled: 1-line block ×47, first 2 shown]
	s_branch .LBB231_24
.LBB231_21:                             ;   in Loop: Header=BB231_24 Depth=2
	s_or_b64 exec, exec, s[10:11]
.LBB231_22:                             ;   in Loop: Header=BB231_24 Depth=2
	s_or_b64 exec, exec, s[8:9]
.LBB231_23:                             ;   in Loop: Header=BB231_24 Depth=2
	s_or_b64 exec, exec, s[6:7]
	s_waitcnt vmcnt(0) lgkmcnt(0)
	v_mfma_f32_4x4x4_16b_bf16 v[50:53], v[86:87], v[62:63], v[50:53]
	s_addk_i32 s34, 0x200
	v_mfma_f32_4x4x4_16b_bf16 v[46:49], v[86:87], v[58:59], v[46:49]
	v_add_u32_e32 v111, 0x400, v111
	v_mfma_f32_4x4x4_16b_bf16 v[42:45], v[86:87], v[70:71], v[42:45]
	s_cmp_ge_u32 s34, s12
	v_mfma_f32_4x4x4_16b_bf16 v[38:41], v[86:87], v[66:67], v[38:41]
	v_mfma_f32_4x4x4_16b_bf16 v[34:37], v[90:91], v[62:63], v[34:37]
	;; [unrolled: 1-line block ×45, first 2 shown]
	s_cbranch_scc1 .LBB231_50
.LBB231_24:                             ;   Parent Loop BB231_19 Depth=1
                                        ; =>  This Inner Loop Header: Depth=2
	v_add_u32_e32 v128, s34, v130
	v_min_u32_e32 v0, s33, v128
	v_lshl_add_u64 v[54:55], v[0:1], 1, s[24:25]
	v_lshl_add_u64 v[56:57], v[54:55], 0, v[118:119]
	v_add_u32_e32 v126, 0x100, v128
	v_lshl_add_u64 v[66:67], v[54:55], 0, v[120:121]
	global_load_dwordx4 v[62:65], v[56:57], off nt
	global_load_dwordx4 v[58:61], v[66:67], off nt
	v_lshl_add_u64 v[56:57], v[54:55], 0, v[122:123]
	v_lshl_add_u64 v[54:55], v[54:55], 0, v[124:125]
	v_min_u32_e32 v0, s33, v126
	global_load_dwordx4 v[70:73], v[56:57], off nt
	global_load_dwordx4 v[66:69], v[54:55], off nt
	v_lshl_add_u64 v[54:55], v[0:1], 1, s[24:25]
	v_lshl_add_u64 v[56:57], v[54:55], 0, v[118:119]
	;; [unrolled: 1-line block ×4, first 2 shown]
	global_load_dwordx4 v[78:81], v[56:57], off nt
	global_load_dwordx4 v[74:77], v[82:83], off nt
	v_lshl_add_u64 v[88:89], v[54:55], 0, v[124:125]
	global_load_dwordx4 v[82:85], v[86:87], off nt
	global_load_dwordx4 v[54:57], v[88:89], off nt
	s_mov_b32 s5, s4
	v_cmp_gt_u32_e32 vcc, s12, v128
	v_mov_b64_e32 v[86:87], s[4:5]
	v_mov_b32_e32 v103, 0
	v_mov_b32_e32 v102, 0
	;; [unrolled: 1-line block ×4, first 2 shown]
	v_mov_b64_e32 v[88:89], s[4:5]
	v_mov_b64_e32 v[98:99], s[4:5]
	;; [unrolled: 1-line block ×9, first 2 shown]
	s_and_saveexec_b64 s[6:7], vcc
	s_cbranch_execz .LBB231_23
; %bb.25:                               ;   in Loop: Header=BB231_24 Depth=2
	v_cmp_lt_u32_e32 vcc, s14, v128
                                        ; implicit-def: $vgpr86_vgpr87
	s_and_saveexec_b64 s[8:9], vcc
	s_xor_b64 s[8:9], exec, s[8:9]
	s_cbranch_execz .LBB231_27
; %bb.26:                               ;   in Loop: Header=BB231_24 Depth=2
	v_mov_b32_e32 v129, v1
	v_lshl_add_u64 v[86:87], v[128:129], 1, s[20:21]
	global_load_dwordx4 v[86:89], v[86:87], off
.LBB231_27:                             ;   in Loop: Header=BB231_24 Depth=2
	s_andn2_saveexec_b64 s[8:9], s[8:9]
	s_cbranch_execz .LBB231_29
; %bb.28:                               ;   in Loop: Header=BB231_24 Depth=2
	s_waitcnt vmcnt(0)
	ds_read_b128 v[86:89], v111
.LBB231_29:                             ;   in Loop: Header=BB231_24 Depth=2
	s_or_b64 exec, exec, s[8:9]
	v_add_u32_e32 v0, s34, v134
	v_cmp_lt_u32_e32 vcc, s14, v0
                                        ; implicit-def: $vgpr90_vgpr91
	s_and_saveexec_b64 s[8:9], vcc
	s_xor_b64 s[8:9], exec, s[8:9]
	s_cbranch_execz .LBB231_31
; %bb.30:                               ;   in Loop: Header=BB231_24 Depth=2
	v_lshl_add_u64 v[90:91], v[0:1], 1, s[20:21]
	global_load_dwordx4 v[90:93], v[90:91], off
.LBB231_31:                             ;   in Loop: Header=BB231_24 Depth=2
	s_andn2_saveexec_b64 s[8:9], s[8:9]
	s_cbranch_execz .LBB231_33
; %bb.32:                               ;   in Loop: Header=BB231_24 Depth=2
	s_waitcnt vmcnt(0)
	v_add_u32_e32 v90, s44, v111
	ds_read_b128 v[90:93], v90
.LBB231_33:                             ;   in Loop: Header=BB231_24 Depth=2
	s_or_b64 exec, exec, s[8:9]
	v_add_u32_e32 v128, s34, v133
	v_cmp_lt_u32_e32 vcc, s14, v128
                                        ; implicit-def: $vgpr94_vgpr95
	s_and_saveexec_b64 s[8:9], vcc
	s_xor_b64 s[8:9], exec, s[8:9]
	s_cbranch_execz .LBB231_35
; %bb.34:                               ;   in Loop: Header=BB231_24 Depth=2
	v_mov_b32_e32 v129, v1
	v_lshl_add_u64 v[94:95], v[128:129], 1, s[20:21]
	global_load_dwordx4 v[94:97], v[94:95], off
.LBB231_35:                             ;   in Loop: Header=BB231_24 Depth=2
	s_andn2_saveexec_b64 s[8:9], s[8:9]
	s_cbranch_execz .LBB231_37
; %bb.36:                               ;   in Loop: Header=BB231_24 Depth=2
	s_waitcnt vmcnt(0)
	v_add_u32_e32 v96, s45, v111
	ds_read2_b32 v[94:95], v96 offset1:1
	ds_read2_b32 v[96:97], v96 offset0:2 offset1:3
.LBB231_37:                             ;   in Loop: Header=BB231_24 Depth=2
	s_or_b64 exec, exec, s[8:9]
	s_mov_b32 s31, s30
	v_cmp_gt_u32_e32 vcc, s12, v126
	v_mov_b32_e32 v103, 0
	v_mov_b64_e32 v[98:99], s[30:31]
	v_mov_b32_e32 v102, 0
	v_mov_b32_e32 v105, 0
	;; [unrolled: 1-line block ×3, first 2 shown]
	v_mov_b64_e32 v[100:101], s[30:31]
	v_mov_b64_e32 v[106:107], s[30:31]
	;; [unrolled: 1-line block ×3, first 2 shown]
	s_and_saveexec_b64 s[8:9], vcc
	s_cbranch_execz .LBB231_22
; %bb.38:                               ;   in Loop: Header=BB231_24 Depth=2
	v_cmp_lt_u32_e32 vcc, s14, v126
                                        ; implicit-def: $vgpr98_vgpr99
	s_and_saveexec_b64 s[10:11], vcc
	s_xor_b64 s[10:11], exec, s[10:11]
	s_cbranch_execz .LBB231_40
; %bb.39:                               ;   in Loop: Header=BB231_24 Depth=2
	v_mov_b32_e32 v127, v1
	v_lshl_add_u64 v[98:99], v[126:127], 1, s[20:21]
	global_load_dwordx4 v[98:101], v[98:99], off
.LBB231_40:                             ;   in Loop: Header=BB231_24 Depth=2
	s_andn2_saveexec_b64 s[10:11], s[10:11]
	s_cbranch_execz .LBB231_42
; %bb.41:                               ;   in Loop: Header=BB231_24 Depth=2
	s_waitcnt vmcnt(0)
	ds_read_b128 v[98:101], v111 offset:512
.LBB231_42:                             ;   in Loop: Header=BB231_24 Depth=2
	s_or_b64 exec, exec, s[10:11]
	v_add_u32_e32 v0, 0x100, v0
	v_cmp_lt_u32_e32 vcc, s14, v0
                                        ; implicit-def: $vgpr106_vgpr107
	s_and_saveexec_b64 s[10:11], vcc
	s_xor_b64 s[10:11], exec, s[10:11]
	s_cbranch_execz .LBB231_44
; %bb.43:                               ;   in Loop: Header=BB231_24 Depth=2
	v_lshl_add_u64 v[102:103], v[0:1], 1, s[20:21]
	global_load_dwordx4 v[106:109], v[102:103], off
.LBB231_44:                             ;   in Loop: Header=BB231_24 Depth=2
	s_andn2_saveexec_b64 s[10:11], s[10:11]
	s_cbranch_execz .LBB231_46
; %bb.45:                               ;   in Loop: Header=BB231_24 Depth=2
	v_add_u32_e32 v0, s44, v111
	s_waitcnt vmcnt(0)
	ds_read_b128 v[106:109], v0 offset:512
.LBB231_46:                             ;   in Loop: Header=BB231_24 Depth=2
	s_or_b64 exec, exec, s[10:11]
	v_add_u32_e32 v0, 0x100, v128
	v_cmp_lt_u32_e32 vcc, s14, v0
                                        ; implicit-def: $vgpr103
	s_and_saveexec_b64 s[10:11], vcc
	s_xor_b64 s[10:11], exec, s[10:11]
	s_cbranch_execz .LBB231_48
; %bb.47:                               ;   in Loop: Header=BB231_24 Depth=2
	v_lshl_add_u64 v[102:103], v[0:1], 1, s[20:21]
	global_load_dwordx4 v[102:105], v[102:103], off
.LBB231_48:                             ;   in Loop: Header=BB231_24 Depth=2
	s_andn2_saveexec_b64 s[10:11], s[10:11]
	s_cbranch_execz .LBB231_21
; %bb.49:                               ;   in Loop: Header=BB231_24 Depth=2
	v_add_u32_e32 v0, s45, v111
	s_waitcnt vmcnt(0)
	ds_read2_b32 v[102:103], v0 offset0:128 offset1:129
	ds_read2_b32 v[104:105], v0 offset0:130 offset1:131
	s_branch .LBB231_21
.LBB231_50:                             ;   in Loop: Header=BB231_19 Depth=1
	v_cvt_i32_f32_e32 v0, v51
	v_cvt_i32_f32_e32 v51, v52
	v_cvt_i32_f32_e32 v52, v53
	v_cvt_i32_f32_e32 v47, v47
	v_cvt_f32_i32_dpp v0, v0 row_shl:1 row_mask:0xf bank_mask:0xf bound_ctrl:1
	v_cvt_f32_i32_dpp v51, v51 row_shl:2 row_mask:0xf bank_mask:0xf bound_ctrl:1
	;; [unrolled: 1-line block ×3, first 2 shown]
	v_cvt_i32_f32_e32 v48, v48
	v_add_f32_e32 v0, v50, v0
	v_add_f32_e32 v0, v0, v51
	v_cvt_i32_f32_e32 v49, v49
	v_add_f32_e32 v0, v0, v52
	v_cvt_i32_f32_e32 v50, v0
	v_cvt_f32_i32_dpp v47, v47 row_shl:1 row_mask:0xf bank_mask:0xf bound_ctrl:1
	v_cvt_f32_i32_dpp v48, v48 row_shl:2 row_mask:0xf bank_mask:0xf bound_ctrl:1
	;; [unrolled: 1-line block ×4, first 2 shown]
	v_add_f32_e32 v46, v46, v47
	v_add_f32_e32 v46, v46, v48
	;; [unrolled: 1-line block ×3, first 2 shown]
	v_cvt_i32_f32_e32 v47, v46
	v_add_f32_e32 v0, v0, v50
	v_cvt_i32_f32_e32 v48, v0
	v_cvt_i32_f32_e32 v43, v43
	v_cvt_f32_i32_dpp v47, v47 row_shl:4 row_mask:0xf bank_mask:0xf bound_ctrl:1
	v_cvt_i32_f32_e32 v44, v44
	v_cvt_f32_i32_dpp v48, v48 row_shl:8 row_mask:0xf bank_mask:0xf bound_ctrl:1
	v_cvt_i32_f32_e32 v45, v45
	v_add_f32_e32 v46, v46, v47
	v_cvt_i32_f32_e32 v47, v46
	v_add_f32_e32 v0, v0, v48
	v_cvt_i32_f32_e32 v0, v0
	v_cvt_f32_i32_dpp v43, v43 row_shl:1 row_mask:0xf bank_mask:0xf bound_ctrl:1
	v_cvt_f32_i32_dpp v44, v44 row_shl:2 row_mask:0xf bank_mask:0xf bound_ctrl:1
	;; [unrolled: 1-line block ×4, first 2 shown]
	v_cvt_f32_i32_dpp v0, v0 row_shr:15 row_mask:0xf bank_mask:0xf bound_ctrl:1
	v_add_f32_e32 v42, v42, v43
	v_add_f32_e32 v42, v42, v44
	v_cvt_i32_f32_e32 v39, v39
	v_add_f32_e32 v46, v46, v47
	v_add_f32_e32 v43, v42, v45
	v_cvt_i32_f32_e32 v40, v40
	v_cvt_i32_f32_e32 v46, v46
	;; [unrolled: 1-line block ×5, first 2 shown]
	v_cvt_f32_i32_dpp v39, v39 row_shl:1 row_mask:0xf bank_mask:0xf bound_ctrl:1
	v_cvt_f32_i32_dpp v40, v40 row_shl:2 row_mask:0xf bank_mask:0xf bound_ctrl:1
	v_cvt_f32_i32_dpp v45, v46 row_shr:15 row_mask:0xf bank_mask:0xf bound_ctrl:1
	v_cvt_f32_i32_dpp v46, v42 row_shl:4 row_mask:0xf bank_mask:0xf bound_ctrl:1
	v_cvt_f32_i32_dpp v41, v41 row_shl:3 row_mask:0xf bank_mask:0xf bound_ctrl:1
	v_cvt_f32_i32_dpp v44, v47 row_bcast:15 row_mask:0xf bank_mask:0xf bound_ctrl:1
	v_add_f32_e32 v38, v38, v39
	v_add_f32_e32 v38, v38, v40
	;; [unrolled: 1-line block ×5, first 2 shown]
	v_cvt_i32_f32_e32 v44, v45
	v_cvt_i32_f32_e32 v46, v43
	;; [unrolled: 1-line block ×4, first 2 shown]
	v_cvt_f32_i32_dpp v41, v44 row_bcast:15 row_mask:0xf bank_mask:0xf bound_ctrl:1
	v_cvt_f32_i32_dpp v46, v46 row_shl:8 row_mask:0xf bank_mask:0xf bound_ctrl:1
	v_cvt_f32_i32_dpp v44, v38 row_shl:4 row_mask:0xf bank_mask:0xf bound_ctrl:1
	v_cvt_i32_f32_e32 v36, v36
	v_cvt_i32_f32_e32 v37, v37
	v_add_f32_e32 v39, v43, v46
	v_add_f32_e32 v40, v40, v44
	v_cvt_i32_f32_e32 v0, v42
	v_cvt_i32_f32_e32 v43, v39
	v_add_f32_e32 v38, v45, v41
	v_cvt_i32_f32_e32 v41, v40
	v_cvt_f32_i32_dpp v35, v35 row_shl:1 row_mask:0xf bank_mask:0xf bound_ctrl:1
	v_cvt_f32_i32_dpp v36, v36 row_shl:2 row_mask:0xf bank_mask:0xf bound_ctrl:1
	;; [unrolled: 1-line block ×3, first 2 shown]
	v_mov_b32_dpp v39, v0 row_bcast:31 row_mask:0xf bank_mask:0xf bound_ctrl:1
	v_cvt_f32_i32_dpp v0, v43 row_shr:15 row_mask:0xf bank_mask:0xf bound_ctrl:1
	v_cvt_f32_i32_dpp v41, v41 row_shl:8 row_mask:0xf bank_mask:0xf bound_ctrl:1
	v_add_f32_e32 v34, v34, v35
	v_add_f32_e32 v34, v34, v36
	v_add_f32_e32 v34, v34, v37
	v_cvt_i32_f32_e32 v35, v34
	v_cvt_i32_f32_e32 v36, v0
	v_add_f32_e32 v37, v40, v41
	v_cvt_i32_f32_e32 v37, v37
	v_cvt_f32_i32_dpp v35, v35 row_shl:4 row_mask:0xf bank_mask:0xf bound_ctrl:1
	v_cvt_f32_i32_dpp v36, v36 row_bcast:15 row_mask:0xf bank_mask:0xf bound_ctrl:1
	v_cvt_i32_f32_e32 v31, v31
	v_cvt_f32_i32_dpp v37, v37 row_shr:15 row_mask:0xf bank_mask:0xf bound_ctrl:1
	v_cvt_i32_f32_e32 v27, v27
	v_add_f32_e32 v41, v34, v35
	v_add_f32_e32 v34, v0, v36
	v_cvt_i32_f32_e32 v32, v32
	v_cvt_i32_f32_e32 v28, v28
	;; [unrolled: 1-line block ×7, first 2 shown]
	v_cvt_f32_i32_dpp v31, v31 row_shl:1 row_mask:0xf bank_mask:0xf bound_ctrl:1
	v_cvt_f32_i32_dpp v27, v27 row_shl:1 row_mask:0xf bank_mask:0xf bound_ctrl:1
	;; [unrolled: 1-line block ×5, first 2 shown]
	v_mov_b32_dpp v35, v0 row_bcast:31 row_mask:0xf bank_mask:0xf bound_ctrl:1
	v_cvt_f32_i32_dpp v0, v43 row_bcast:15 row_mask:0xf bank_mask:0xf bound_ctrl:1
	v_cvt_f32_i32_dpp v33, v33 row_shl:3 row_mask:0xf bank_mask:0xf bound_ctrl:1
	v_cvt_f32_i32_dpp v29, v29 row_shl:3 row_mask:0xf bank_mask:0xf bound_ctrl:1
	v_add_f32_e32 v30, v30, v31
	v_add_f32_e32 v26, v26, v27
	;; [unrolled: 1-line block ×7, first 2 shown]
	v_cvt_i32_f32_e32 v40, v38
	v_cvt_i32_f32_e32 v0, v30
	;; [unrolled: 1-line block ×4, first 2 shown]
	v_mov_b32_dpp v36, v40 row_bcast:31 row_mask:0xf bank_mask:0xf bound_ctrl:1
	v_add_f32_e32 v40, v41, v44
	v_mov_b32_dpp v27, v0 row_bcast:31 row_mask:0xf bank_mask:0xf bound_ctrl:1
	v_cvt_f32_i32_dpp v0, v26 row_shl:4 row_mask:0xf bank_mask:0xf bound_ctrl:1
	v_cvt_i32_f32_e32 v40, v40
	v_cvt_i32_f32_e32 v23, v23
	v_cvt_f32_i32_dpp v32, v32 row_shl:4 row_mask:0xf bank_mask:0xf bound_ctrl:1
	v_add_f32_e32 v0, v28, v0
	v_cvt_i32_f32_e32 v24, v24
	v_cvt_f32_i32_dpp v40, v40 row_shr:15 row_mask:0xf bank_mask:0xf bound_ctrl:1
	v_cvt_i32_f32_e32 v25, v25
	v_cvt_i32_f32_e32 v28, v0
	v_cvt_f32_i32_dpp v23, v23 row_shl:1 row_mask:0xf bank_mask:0xf bound_ctrl:1
	v_add_f32_e32 v31, v31, v32
	v_cvt_f32_i32_dpp v24, v24 row_shl:2 row_mask:0xf bank_mask:0xf bound_ctrl:1
	v_cvt_i32_f32_e32 v33, v40
	v_cvt_i32_f32_e32 v32, v31
	v_cvt_f32_i32_dpp v25, v25 row_shl:3 row_mask:0xf bank_mask:0xf bound_ctrl:1
	v_cvt_f32_i32_dpp v28, v28 row_shl:8 row_mask:0xf bank_mask:0xf bound_ctrl:1
	v_add_f32_e32 v22, v22, v23
	v_add_f32_e32 v22, v22, v24
	v_cvt_f32_i32_dpp v29, v33 row_bcast:15 row_mask:0xf bank_mask:0xf bound_ctrl:1
	v_cvt_f32_i32_dpp v32, v32 row_shl:8 row_mask:0xf bank_mask:0xf bound_ctrl:1
	v_add_f32_e32 v22, v22, v25
	v_add_f32_e32 v0, v0, v28
	v_cvt_i32_f32_e32 v23, v22
	v_cvt_i32_f32_e32 v0, v0
	;; [unrolled: 1-line block ×6, first 2 shown]
	v_add_f32_e32 v26, v40, v29
	v_add_f32_e32 v29, v31, v32
	v_cvt_i32_f32_e32 v21, v21
	v_cvt_i32_f32_e32 v29, v29
	v_cvt_f32_i32_dpp v23, v23 row_shl:4 row_mask:0xf bank_mask:0xf bound_ctrl:1
	v_cvt_i32_f32_e32 v25, v26
	v_cvt_f32_i32_dpp v0, v0 row_shr:15 row_mask:0xf bank_mask:0xf bound_ctrl:1
	v_cvt_f32_i32_dpp v7, v7 row_shl:1 row_mask:0xf bank_mask:0xf bound_ctrl:1
	v_cvt_f32_i32_dpp v19, v19 row_shl:1 row_mask:0xf bank_mask:0xf bound_ctrl:1
	v_cvt_i32_f32_e32 v15, v15
	v_cvt_f32_i32_dpp v8, v8 row_shl:2 row_mask:0xf bank_mask:0xf bound_ctrl:1
	v_cvt_i32_f32_e32 v9, v9
	;; [unrolled: 2-line block ×4, first 2 shown]
	v_cvt_f32_i32_dpp v24, v29 row_shr:15 row_mask:0xf bank_mask:0xf bound_ctrl:1
	v_add_f32_e32 v29, v22, v23
	v_mov_b32_dpp v23, v25 row_bcast:31 row_mask:0xf bank_mask:0xf bound_ctrl:1
	v_cvt_i32_f32_e32 v25, v0
	v_add_f32_e32 v6, v6, v7
	v_add_f32_e32 v18, v18, v19
	v_cvt_f32_i32_dpp v15, v15 row_shl:1 row_mask:0xf bank_mask:0xf bound_ctrl:1
	v_add_f32_e32 v6, v6, v8
	v_cvt_f32_i32_dpp v7, v9 row_shl:3 row_mask:0xf bank_mask:0xf bound_ctrl:1
	v_cvt_i32_f32_e32 v8, v11
	v_add_f32_e32 v18, v18, v20
	v_cvt_f32_i32_dpp v16, v16 row_shl:2 row_mask:0xf bank_mask:0xf bound_ctrl:1
	v_cvt_i32_f32_e32 v9, v12
	;; [unrolled: 3-line block ×3, first 2 shown]
	v_cvt_f32_i32_dpp v25, v25 row_bcast:15 row_mask:0xf bank_mask:0xf bound_ctrl:1
	v_cvt_i32_f32_e32 v18, v21
	v_add_f32_e32 v14, v14, v15
	v_add_f32_e32 v6, v6, v7
	v_cvt_f32_i32_dpp v7, v8 row_shl:1 row_mask:0xf bank_mask:0xf bound_ctrl:1
	v_add_f32_e32 v14, v14, v16
	v_cvt_f32_i32_dpp v8, v9 row_shl:2 row_mask:0xf bank_mask:0xf bound_ctrl:1
	;; [unrolled: 2-line block ×4, first 2 shown]
	v_cvt_i32_f32_e32 v17, v15
	v_add_f32_e32 v7, v10, v7
	v_add_f32_e32 v7, v7, v8
	;; [unrolled: 1-line block ×4, first 2 shown]
	v_cvt_f32_i32_dpp v17, v17 row_shl:4 row_mask:0xf bank_mask:0xf bound_ctrl:1
	v_cvt_i32_f32_e32 v11, v6
	v_cvt_i32_f32_e32 v8, v7
	;; [unrolled: 1-line block ×3, first 2 shown]
	v_add_f32_e32 v15, v15, v17
	v_cvt_f32_i32_dpp v10, v11 row_shl:4 row_mask:0xf bank_mask:0xf bound_ctrl:1
	v_cvt_f32_i32_dpp v8, v8 row_shl:4 row_mask:0xf bank_mask:0xf bound_ctrl:1
	;; [unrolled: 1-line block ×3, first 2 shown]
	v_cvt_i32_f32_e32 v17, v15
	v_add_f32_e32 v6, v6, v10
	v_add_f32_e32 v7, v7, v8
	v_cvt_i32_f32_e32 v28, v24
	v_cvt_i32_f32_e32 v22, v29
	v_add_f32_e32 v0, v0, v21
	v_cvt_f32_i32_dpp v9, v17 row_shl:8 row_mask:0xf bank_mask:0xf bound_ctrl:1
	v_cvt_i32_f32_e32 v10, v6
	v_cvt_i32_f32_e32 v8, v7
	;; [unrolled: 1-line block ×3, first 2 shown]
	v_cvt_f32_i32_dpp v28, v28 row_bcast:15 row_mask:0xf bank_mask:0xf bound_ctrl:1
	v_cvt_f32_i32_dpp v31, v22 row_shl:8 row_mask:0xf bank_mask:0xf bound_ctrl:1
	v_add_f32_e32 v9, v15, v9
	v_cvt_f32_i32_dpp v10, v10 row_shl:8 row_mask:0xf bank_mask:0xf bound_ctrl:1
	v_cvt_f32_i32_dpp v8, v8 row_shl:8 row_mask:0xf bank_mask:0xf bound_ctrl:1
	v_cvt_f32_i32_dpp v0, v0 row_shr:15 row_mask:0xf bank_mask:0xf bound_ctrl:1
	v_cvt_i32_f32_e32 v9, v9
	v_add_f32_e32 v22, v24, v28
	v_add_f32_e32 v28, v29, v31
	;; [unrolled: 1-line block ×4, first 2 shown]
	v_cvt_i32_f32_e32 v28, v28
	v_cvt_i32_f32_e32 v11, v0
	v_cvt_f32_i32_dpp v9, v9 row_shr:15 row_mask:0xf bank_mask:0xf bound_ctrl:1
	v_cvt_i32_f32_e32 v6, v6
	v_cvt_i32_f32_e32 v7, v7
	v_cvt_f32_i32_dpp v28, v28 row_shr:15 row_mask:0xf bank_mask:0xf bound_ctrl:1
	v_cvt_f32_i32_dpp v8, v11 row_bcast:15 row_mask:0xf bank_mask:0xf bound_ctrl:1
	v_cvt_f32_i32_dpp v6, v6 row_shr:15 row_mask:0xf bank_mask:0xf bound_ctrl:1
	v_cvt_i32_f32_e32 v10, v9
	v_cvt_f32_i32_dpp v7, v7 row_shr:15 row_mask:0xf bank_mask:0xf bound_ctrl:1
	v_cvt_i32_f32_e32 v24, v22
	v_cvt_i32_f32_e32 v29, v28
	v_add_f32_e32 v13, v0, v8
	v_cvt_i32_f32_e32 v0, v6
	v_cvt_f32_i32_dpp v8, v10 row_bcast:15 row_mask:0xf bank_mask:0xf bound_ctrl:1
	v_cvt_i32_f32_e32 v11, v7
	v_mov_b32_dpp v20, v24 row_bcast:31 row_mask:0xf bank_mask:0xf bound_ctrl:1
	v_cvt_f32_i32_dpp v24, v29 row_bcast:15 row_mask:0xf bank_mask:0xf bound_ctrl:1
	v_cvt_f32_i32_dpp v0, v0 row_bcast:15 row_mask:0xf bank_mask:0xf bound_ctrl:1
	v_add_f32_e32 v10, v9, v8
	v_cvt_f32_i32_dpp v9, v11 row_bcast:15 row_mask:0xf bank_mask:0xf bound_ctrl:1
	v_add_f32_e32 v18, v28, v24
	v_add_f32_e32 v8, v6, v0
	v_cvt_i32_f32_e32 v25, v19
	v_add_f32_e32 v6, v7, v9
	v_cvt_i32_f32_e32 v24, v18
	v_cvt_i32_f32_e32 v12, v13
	;; [unrolled: 1-line block ×5, first 2 shown]
	v_mov_b32_dpp v16, v25 row_bcast:31 row_mask:0xf bank_mask:0xf bound_ctrl:1
	v_mov_b32_dpp v14, v24 row_bcast:31 row_mask:0xf bank_mask:0xf bound_ctrl:1
	;; [unrolled: 1-line block ×6, first 2 shown]
	s_and_saveexec_b64 s[34:35], s[0:1]
	s_cbranch_execz .LBB231_125
; %bb.51:                               ;   in Loop: Header=BB231_19 Depth=1
	s_andn2_b64 vcc, exec, s[28:29]
	v_mov_b32_e32 v40, 0
	v_mov_b32_e32 v37, 0
	;; [unrolled: 1-line block ×12, first 2 shown]
	s_cbranch_vccnz .LBB231_53
; %bb.52:                               ;   in Loop: Header=BB231_19 Depth=1
	v_mul_hi_u32 v0, v110, v131
	v_mul_lo_u32 v0, v0, s22
	v_sub_u32_e32 v0, v110, v0
	v_subrev_u32_e32 v12, s22, v0
	v_cmp_le_u32_e32 vcc, s22, v0
	v_mov_b32_e32 v29, v1
	v_mov_b32_e32 v25, v1
	v_cndmask_b32_e32 v0, v0, v12, vcc
	v_subrev_u32_e32 v12, s22, v0
	v_cmp_le_u32_e32 vcc, s22, v0
	v_mov_b32_e32 v49, v1
	v_mov_b32_e32 v53, v1
	v_cndmask_b32_e32 v0, v0, v12, vcc
	v_mul_hi_u32 v12, v116, v131
	v_mul_lo_u32 v12, v12, s22
	v_sub_u32_e32 v12, v116, v12
	v_subrev_u32_e32 v17, s22, v12
	v_cmp_le_u32_e32 vcc, s22, v12
	v_add_u32_e32 v28, s42, v0
	v_lshl_add_u64 v[56:57], v[28:29], 1, s[16:17]
	v_cndmask_b32_e32 v12, v12, v17, vcc
	v_subrev_u32_e32 v17, s22, v12
	v_cmp_le_u32_e32 vcc, s22, v12
	v_lshl_add_u64 v[44:45], v[0:1], 1, s[16:17]
	v_add_u32_e32 v0, s43, v0
	v_cndmask_b32_e32 v24, v12, v17, vcc
	v_mul_hi_u32 v12, v114, v131
	v_mul_lo_u32 v12, v12, s22
	v_sub_u32_e32 v12, v114, v12
	v_subrev_u32_e32 v17, s22, v12
	v_cmp_le_u32_e32 vcc, s22, v12
	v_add_u32_e32 v28, s42, v24
	v_lshl_add_u64 v[58:59], v[28:29], 1, s[16:17]
	v_cndmask_b32_e32 v12, v12, v17, vcc
	v_subrev_u32_e32 v17, s22, v12
	v_cmp_le_u32_e32 vcc, s22, v12
	v_lshl_add_u64 v[46:47], v[24:25], 1, s[16:17]
	s_nop 0
	v_cndmask_b32_e32 v48, v12, v17, vcc
	v_mul_hi_u32 v12, v112, v131
	v_mul_lo_u32 v12, v12, s22
	v_sub_u32_e32 v12, v112, v12
	v_subrev_u32_e32 v17, s22, v12
	v_cmp_le_u32_e32 vcc, s22, v12
	v_add_u32_e32 v28, s42, v48
	v_lshl_add_u64 v[60:61], v[28:29], 1, s[16:17]
	v_cndmask_b32_e32 v12, v12, v17, vcc
	v_subrev_u32_e32 v17, s22, v12
	v_cmp_le_u32_e32 vcc, s22, v12
	v_lshl_add_u64 v[50:51], v[48:49], 1, s[16:17]
	s_nop 0
	v_cndmask_b32_e32 v52, v12, v17, vcc
	v_add_u32_e32 v28, s42, v52
	v_lshl_add_u64 v[54:55], v[52:53], 1, s[16:17]
	v_lshl_add_u64 v[62:63], v[28:29], 1, s[16:17]
	global_load_ushort v40, v[44:45], off
	global_load_ushort v37, v[46:47], off
	;; [unrolled: 1-line block ×8, first 2 shown]
	v_lshl_add_u64 v[44:45], v[0:1], 1, s[16:17]
	v_add_u32_e32 v0, s43, v24
	v_lshl_add_u64 v[46:47], v[0:1], 1, s[16:17]
	v_add_u32_e32 v0, s43, v48
	;; [unrolled: 2-line block ×3, first 2 shown]
	v_lshl_add_u64 v[50:51], v[0:1], 1, s[16:17]
	global_load_ushort v24, v[44:45], off
	global_load_ushort v21, v[46:47], off
	;; [unrolled: 1-line block ×4, first 2 shown]
.LBB231_53:                             ;   in Loop: Header=BB231_19 Depth=1
	v_cmp_ne_u32_e32 vcc, 0, v2
	s_and_saveexec_b64 s[6:7], vcc
	s_cbranch_execnz .LBB231_65
; %bb.54:                               ;   in Loop: Header=BB231_19 Depth=1
	s_or_b64 exec, exec, s[6:7]
	v_cmp_ne_u32_e64 s[4:5], 0, v3
	s_and_saveexec_b64 s[8:9], s[4:5]
	s_cbranch_execnz .LBB231_70
.LBB231_55:                             ;   in Loop: Header=BB231_19 Depth=1
	s_or_b64 exec, exec, s[8:9]
	v_cmp_ne_u32_e64 s[6:7], 0, v4
	s_and_saveexec_b64 s[10:11], s[6:7]
	s_cbranch_execnz .LBB231_75
.LBB231_56:                             ;   in Loop: Header=BB231_19 Depth=1
	s_or_b64 exec, exec, s[10:11]
	v_cmp_ne_u32_e64 s[8:9], 0, v5
	s_and_saveexec_b64 s[36:37], s[8:9]
	s_cbranch_execnz .LBB231_80
.LBB231_57:                             ;   in Loop: Header=BB231_19 Depth=1
	s_or_b64 exec, exec, s[36:37]
	v_add_u32_e32 v0, s15, v110
	s_and_saveexec_b64 s[36:37], vcc
	s_cbranch_execnz .LBB231_85
.LBB231_58:                             ;   in Loop: Header=BB231_19 Depth=1
	s_or_b64 exec, exec, s[36:37]
	s_and_saveexec_b64 s[36:37], s[4:5]
	s_cbranch_execnz .LBB231_90
.LBB231_59:                             ;   in Loop: Header=BB231_19 Depth=1
	s_or_b64 exec, exec, s[36:37]
	s_and_saveexec_b64 s[36:37], s[6:7]
	s_cbranch_execnz .LBB231_95
.LBB231_60:                             ;   in Loop: Header=BB231_19 Depth=1
	s_or_b64 exec, exec, s[36:37]
	s_and_saveexec_b64 s[36:37], s[8:9]
	s_cbranch_execnz .LBB231_100
.LBB231_61:                             ;   in Loop: Header=BB231_19 Depth=1
	s_or_b64 exec, exec, s[36:37]
	v_add_u32_e32 v0, s15, v0
	s_and_saveexec_b64 s[10:11], vcc
	s_cbranch_execnz .LBB231_105
.LBB231_62:                             ;   in Loop: Header=BB231_19 Depth=1
	s_or_b64 exec, exec, s[10:11]
	s_and_saveexec_b64 s[10:11], s[4:5]
	s_cbranch_execnz .LBB231_110
.LBB231_63:                             ;   in Loop: Header=BB231_19 Depth=1
	s_or_b64 exec, exec, s[10:11]
	s_and_saveexec_b64 s[4:5], s[6:7]
	s_cbranch_execnz .LBB231_115
.LBB231_64:                             ;   in Loop: Header=BB231_19 Depth=1
	s_or_b64 exec, exec, s[4:5]
	s_and_b64 exec, exec, s[8:9]
	s_cbranch_execnz .LBB231_120
	s_branch .LBB231_125
.LBB231_65:                             ;   in Loop: Header=BB231_19 Depth=1
	v_cvt_f32_i32_e32 v0, v39
	s_waitcnt vmcnt(11)
	v_lshlrev_b32_e32 v39, 16, v40
	v_add_f32_e32 v0, v42, v0
	v_add_f32_e32 v39, v0, v39
	v_and_b32_e32 v0, 0x7f800000, v39
	v_cmp_ne_u32_e64 s[4:5], s46, v0
                                        ; implicit-def: $vgpr0
	s_and_saveexec_b64 s[8:9], s[4:5]
	s_xor_b64 s[4:5], exec, s[8:9]
; %bb.66:                               ;   in Loop: Header=BB231_19 Depth=1
	v_bfe_u32 v0, v39, 16, 1
	v_add3_u32 v0, v39, v0, s14
                                        ; implicit-def: $vgpr39
; %bb.67:                               ;   in Loop: Header=BB231_19 Depth=1
	s_andn2_saveexec_b64 s[8:9], s[4:5]
; %bb.68:                               ;   in Loop: Header=BB231_19 Depth=1
	v_or_b32_e32 v0, 0x10000, v39
	v_cmp_eq_u32_sdwa s[4:5], v39, v1 src0_sel:WORD_0 src1_sel:DWORD
	s_nop 1
	v_cndmask_b32_e64 v0, v0, v39, s[4:5]
; %bb.69:                               ;   in Loop: Header=BB231_19 Depth=1
	s_or_b64 exec, exec, s[8:9]
	v_mov_b32_e32 v111, v1
	v_lshl_add_u64 v[40:41], v[110:111], 1, s[18:19]
	global_store_short_d16_hi v[40:41], v0, off
	s_or_b64 exec, exec, s[6:7]
	v_cmp_ne_u32_e64 s[4:5], 0, v3
	s_and_saveexec_b64 s[8:9], s[4:5]
	s_cbranch_execz .LBB231_55
.LBB231_70:                             ;   in Loop: Header=BB231_19 Depth=1
	v_cvt_f32_i32_e32 v0, v36
	s_waitcnt vmcnt(10)
	v_lshlrev_b32_e32 v36, 16, v37
	v_add_f32_e32 v0, v38, v0
	v_add_f32_e32 v36, v0, v36
	v_and_b32_e32 v0, 0x7f800000, v36
	v_cmp_ne_u32_e64 s[6:7], s46, v0
                                        ; implicit-def: $vgpr0
	s_and_saveexec_b64 s[10:11], s[6:7]
	s_xor_b64 s[6:7], exec, s[10:11]
; %bb.71:                               ;   in Loop: Header=BB231_19 Depth=1
	v_bfe_u32 v0, v36, 16, 1
	v_add3_u32 v0, v36, v0, s14
                                        ; implicit-def: $vgpr36
; %bb.72:                               ;   in Loop: Header=BB231_19 Depth=1
	s_andn2_saveexec_b64 s[10:11], s[6:7]
; %bb.73:                               ;   in Loop: Header=BB231_19 Depth=1
	v_or_b32_e32 v0, 0x10000, v36
	v_cmp_eq_u32_sdwa s[6:7], v36, v1 src0_sel:WORD_0 src1_sel:DWORD
	s_nop 1
	v_cndmask_b32_e64 v0, v0, v36, s[6:7]
; %bb.74:                               ;   in Loop: Header=BB231_19 Depth=1
	s_or_b64 exec, exec, s[10:11]
	v_mov_b32_e32 v117, v1
	v_lshl_add_u64 v[36:37], v[116:117], 1, s[18:19]
	global_store_short_d16_hi v[36:37], v0, off
	s_or_b64 exec, exec, s[8:9]
	v_cmp_ne_u32_e64 s[6:7], 0, v4
	s_and_saveexec_b64 s[10:11], s[6:7]
	s_cbranch_execz .LBB231_56
.LBB231_75:                             ;   in Loop: Header=BB231_19 Depth=1
	v_cvt_f32_i32_e32 v0, v35
	s_waitcnt vmcnt(9)
	v_lshlrev_b32_e32 v33, 16, v33
	v_add_f32_e32 v0, v34, v0
	v_add_f32_e32 v33, v0, v33
	v_and_b32_e32 v0, 0x7f800000, v33
	v_cmp_ne_u32_e64 s[8:9], s46, v0
                                        ; implicit-def: $vgpr0
	s_and_saveexec_b64 s[36:37], s[8:9]
	s_xor_b64 s[8:9], exec, s[36:37]
; %bb.76:                               ;   in Loop: Header=BB231_19 Depth=1
	v_bfe_u32 v0, v33, 16, 1
	v_add3_u32 v0, v33, v0, s14
                                        ; implicit-def: $vgpr33
; %bb.77:                               ;   in Loop: Header=BB231_19 Depth=1
	s_andn2_saveexec_b64 s[36:37], s[8:9]
; %bb.78:                               ;   in Loop: Header=BB231_19 Depth=1
	v_or_b32_e32 v0, 0x10000, v33
	v_cmp_eq_u32_sdwa s[8:9], v33, v1 src0_sel:WORD_0 src1_sel:DWORD
	s_nop 1
	v_cndmask_b32_e64 v0, v0, v33, s[8:9]
; %bb.79:                               ;   in Loop: Header=BB231_19 Depth=1
	s_or_b64 exec, exec, s[36:37]
	v_mov_b32_e32 v115, v1
	v_lshl_add_u64 v[34:35], v[114:115], 1, s[18:19]
	global_store_short_d16_hi v[34:35], v0, off
	s_or_b64 exec, exec, s[10:11]
	v_cmp_ne_u32_e64 s[8:9], 0, v5
	s_and_saveexec_b64 s[36:37], s[8:9]
	s_cbranch_execz .LBB231_57
.LBB231_80:                             ;   in Loop: Header=BB231_19 Depth=1
	v_cvt_f32_i32_e32 v0, v27
	s_waitcnt vmcnt(8)
	v_lshlrev_b32_e32 v27, 16, v32
	v_add_f32_e32 v0, v30, v0
	v_add_f32_e32 v27, v0, v27
	v_and_b32_e32 v0, 0x7f800000, v27
	v_cmp_ne_u32_e64 s[10:11], s46, v0
                                        ; implicit-def: $vgpr0
	s_and_saveexec_b64 s[38:39], s[10:11]
	s_xor_b64 s[10:11], exec, s[38:39]
; %bb.81:                               ;   in Loop: Header=BB231_19 Depth=1
	v_bfe_u32 v0, v27, 16, 1
	v_add3_u32 v0, v27, v0, s14
                                        ; implicit-def: $vgpr27
; %bb.82:                               ;   in Loop: Header=BB231_19 Depth=1
	s_andn2_saveexec_b64 s[38:39], s[10:11]
; %bb.83:                               ;   in Loop: Header=BB231_19 Depth=1
	v_or_b32_e32 v0, 0x10000, v27
	v_cmp_eq_u32_sdwa s[10:11], v27, v1 src0_sel:WORD_0 src1_sel:DWORD
	s_nop 1
	v_cndmask_b32_e64 v0, v0, v27, s[10:11]
; %bb.84:                               ;   in Loop: Header=BB231_19 Depth=1
	s_or_b64 exec, exec, s[38:39]
	v_mov_b32_e32 v113, v1
	v_lshl_add_u64 v[32:33], v[112:113], 1, s[18:19]
	global_store_short_d16_hi v[32:33], v0, off
	s_or_b64 exec, exec, s[36:37]
	v_add_u32_e32 v0, s15, v110
	s_and_saveexec_b64 s[36:37], vcc
	s_cbranch_execz .LBB231_58
.LBB231_85:                             ;   in Loop: Header=BB231_19 Depth=1
	v_cvt_f32_i32_e32 v23, v23
	v_add_f32_e32 v23, v26, v23
	s_waitcnt vmcnt(7)
	v_lshlrev_b32_e32 v26, 16, v31
	v_add_f32_e32 v26, v23, v26
	v_and_b32_e32 v23, 0x7f800000, v26
	v_cmp_ne_u32_e64 s[10:11], s46, v23
                                        ; implicit-def: $vgpr23
	s_and_saveexec_b64 s[38:39], s[10:11]
	s_xor_b64 s[10:11], exec, s[38:39]
; %bb.86:                               ;   in Loop: Header=BB231_19 Depth=1
	v_bfe_u32 v23, v26, 16, 1
	v_add3_u32 v23, v26, v23, s14
                                        ; implicit-def: $vgpr26
; %bb.87:                               ;   in Loop: Header=BB231_19 Depth=1
	s_andn2_saveexec_b64 s[38:39], s[10:11]
; %bb.88:                               ;   in Loop: Header=BB231_19 Depth=1
	v_or_b32_e32 v23, 0x10000, v26
	v_cmp_eq_u32_sdwa s[10:11], v26, v1 src0_sel:WORD_0 src1_sel:DWORD
	s_nop 1
	v_cndmask_b32_e64 v23, v23, v26, s[10:11]
; %bb.89:                               ;   in Loop: Header=BB231_19 Depth=1
	s_or_b64 exec, exec, s[38:39]
	v_lshl_add_u64 v[26:27], v[0:1], 1, s[18:19]
	global_store_short_d16_hi v[26:27], v23, off
	s_or_b64 exec, exec, s[36:37]
	s_and_saveexec_b64 s[36:37], s[4:5]
	s_cbranch_execz .LBB231_59
.LBB231_90:                             ;   in Loop: Header=BB231_19 Depth=1
	v_cvt_f32_i32_e32 v20, v20
	v_add_f32_e32 v20, v22, v20
	s_waitcnt vmcnt(6)
	v_lshlrev_b32_e32 v22, 16, v29
	v_add_f32_e32 v22, v20, v22
	v_and_b32_e32 v20, 0x7f800000, v22
	v_cmp_ne_u32_e64 s[10:11], s46, v20
                                        ; implicit-def: $vgpr20
	s_and_saveexec_b64 s[38:39], s[10:11]
	s_xor_b64 s[10:11], exec, s[38:39]
; %bb.91:                               ;   in Loop: Header=BB231_19 Depth=1
	v_bfe_u32 v20, v22, 16, 1
	v_add3_u32 v20, v22, v20, s14
                                        ; implicit-def: $vgpr22
; %bb.92:                               ;   in Loop: Header=BB231_19 Depth=1
	s_andn2_saveexec_b64 s[38:39], s[10:11]
; %bb.93:                               ;   in Loop: Header=BB231_19 Depth=1
	v_or_b32_e32 v20, 0x10000, v22
	v_cmp_eq_u32_sdwa s[10:11], v22, v1 src0_sel:WORD_0 src1_sel:DWORD
	s_nop 1
	v_cndmask_b32_e64 v20, v20, v22, s[10:11]
; %bb.94:                               ;   in Loop: Header=BB231_19 Depth=1
	s_or_b64 exec, exec, s[38:39]
	v_add_u32_e32 v22, 1, v0
	v_mov_b32_e32 v23, v1
	v_lshl_add_u64 v[22:23], v[22:23], 1, s[18:19]
	global_store_short_d16_hi v[22:23], v20, off
	s_or_b64 exec, exec, s[36:37]
	s_and_saveexec_b64 s[36:37], s[6:7]
	s_cbranch_execz .LBB231_60
.LBB231_95:                             ;   in Loop: Header=BB231_19 Depth=1
	v_cvt_f32_i32_e32 v16, v16
	v_add_f32_e32 v16, v19, v16
	s_waitcnt vmcnt(5)
	v_lshlrev_b32_e32 v19, 16, v28
	v_add_f32_e32 v19, v16, v19
	v_and_b32_e32 v16, 0x7f800000, v19
	v_cmp_ne_u32_e64 s[10:11], s46, v16
                                        ; implicit-def: $vgpr16
	s_and_saveexec_b64 s[38:39], s[10:11]
	s_xor_b64 s[10:11], exec, s[38:39]
; %bb.96:                               ;   in Loop: Header=BB231_19 Depth=1
	v_bfe_u32 v16, v19, 16, 1
	v_add3_u32 v16, v19, v16, s14
                                        ; implicit-def: $vgpr19
; %bb.97:                               ;   in Loop: Header=BB231_19 Depth=1
	s_andn2_saveexec_b64 s[38:39], s[10:11]
; %bb.98:                               ;   in Loop: Header=BB231_19 Depth=1
	v_or_b32_e32 v16, 0x10000, v19
	v_cmp_eq_u32_sdwa s[10:11], v19, v1 src0_sel:WORD_0 src1_sel:DWORD
	s_nop 1
	v_cndmask_b32_e64 v16, v16, v19, s[10:11]
; %bb.99:                               ;   in Loop: Header=BB231_19 Depth=1
	s_or_b64 exec, exec, s[38:39]
	v_add_u32_e32 v22, 2, v0
	v_mov_b32_e32 v23, v1
	v_lshl_add_u64 v[22:23], v[22:23], 1, s[18:19]
	global_store_short_d16_hi v[22:23], v16, off
	s_or_b64 exec, exec, s[36:37]
	s_and_saveexec_b64 s[36:37], s[8:9]
	s_cbranch_execz .LBB231_61
.LBB231_100:                            ;   in Loop: Header=BB231_19 Depth=1
	v_cvt_f32_i32_e32 v14, v14
	s_waitcnt vmcnt(4)
	v_lshlrev_b32_e32 v16, 16, v25
	v_add_f32_e32 v14, v18, v14
	v_add_f32_e32 v16, v14, v16
	v_and_b32_e32 v14, 0x7f800000, v16
	v_cmp_ne_u32_e64 s[10:11], s46, v14
                                        ; implicit-def: $vgpr14
	s_and_saveexec_b64 s[38:39], s[10:11]
	s_xor_b64 s[10:11], exec, s[38:39]
; %bb.101:                              ;   in Loop: Header=BB231_19 Depth=1
	v_bfe_u32 v14, v16, 16, 1
	v_add3_u32 v14, v16, v14, s14
                                        ; implicit-def: $vgpr16
; %bb.102:                              ;   in Loop: Header=BB231_19 Depth=1
	s_andn2_saveexec_b64 s[38:39], s[10:11]
; %bb.103:                              ;   in Loop: Header=BB231_19 Depth=1
	v_or_b32_e32 v14, 0x10000, v16
	v_cmp_eq_u32_sdwa s[10:11], v16, v1 src0_sel:WORD_0 src1_sel:DWORD
	s_nop 1
	v_cndmask_b32_e64 v14, v14, v16, s[10:11]
; %bb.104:                              ;   in Loop: Header=BB231_19 Depth=1
	s_or_b64 exec, exec, s[38:39]
	v_add_u32_e32 v18, 3, v0
	v_mov_b32_e32 v19, v1
	v_lshl_add_u64 v[18:19], v[18:19], 1, s[18:19]
	global_store_short_d16_hi v[18:19], v14, off
	s_or_b64 exec, exec, s[36:37]
	v_add_u32_e32 v0, s15, v0
	s_and_saveexec_b64 s[10:11], vcc
	s_cbranch_execz .LBB231_62
.LBB231_105:                            ;   in Loop: Header=BB231_19 Depth=1
	v_cvt_f32_i32_e32 v14, v15
	v_add_f32_e32 v13, v13, v14
	s_waitcnt vmcnt(3)
	v_lshlrev_b32_e32 v14, 16, v24
	v_add_f32_e32 v14, v13, v14
	v_and_b32_e32 v13, 0x7f800000, v14
	v_cmp_ne_u32_e32 vcc, s46, v13
                                        ; implicit-def: $vgpr13
	s_and_saveexec_b64 s[36:37], vcc
	s_xor_b64 s[36:37], exec, s[36:37]
; %bb.106:                              ;   in Loop: Header=BB231_19 Depth=1
	v_bfe_u32 v13, v14, 16, 1
	v_add3_u32 v13, v14, v13, s14
                                        ; implicit-def: $vgpr14
; %bb.107:                              ;   in Loop: Header=BB231_19 Depth=1
	s_andn2_saveexec_b64 s[36:37], s[36:37]
; %bb.108:                              ;   in Loop: Header=BB231_19 Depth=1
	v_or_b32_e32 v13, 0x10000, v14
	v_cmp_eq_u32_sdwa vcc, v14, v1 src0_sel:WORD_0 src1_sel:DWORD
	s_nop 1
	v_cndmask_b32_e32 v13, v13, v14, vcc
; %bb.109:                              ;   in Loop: Header=BB231_19 Depth=1
	s_or_b64 exec, exec, s[36:37]
	v_lshl_add_u64 v[14:15], v[0:1], 1, s[18:19]
	global_store_short_d16_hi v[14:15], v13, off
	s_or_b64 exec, exec, s[10:11]
	s_and_saveexec_b64 s[10:11], s[4:5]
	s_cbranch_execz .LBB231_63
.LBB231_110:                            ;   in Loop: Header=BB231_19 Depth=1
	v_cvt_f32_i32_e32 v11, v11
	v_add_f32_e32 v10, v10, v11
	s_waitcnt vmcnt(2)
	v_lshlrev_b32_e32 v11, 16, v21
	v_add_f32_e32 v11, v10, v11
	v_and_b32_e32 v10, 0x7f800000, v11
	v_cmp_ne_u32_e32 vcc, s46, v10
                                        ; implicit-def: $vgpr10
	s_and_saveexec_b64 s[4:5], vcc
	s_xor_b64 s[4:5], exec, s[4:5]
; %bb.111:                              ;   in Loop: Header=BB231_19 Depth=1
	v_bfe_u32 v10, v11, 16, 1
	v_add3_u32 v10, v11, v10, s14
                                        ; implicit-def: $vgpr11
; %bb.112:                              ;   in Loop: Header=BB231_19 Depth=1
	s_andn2_saveexec_b64 s[4:5], s[4:5]
; %bb.113:                              ;   in Loop: Header=BB231_19 Depth=1
	v_or_b32_e32 v10, 0x10000, v11
	v_cmp_eq_u32_sdwa vcc, v11, v1 src0_sel:WORD_0 src1_sel:DWORD
	s_nop 1
	v_cndmask_b32_e32 v10, v10, v11, vcc
; %bb.114:                              ;   in Loop: Header=BB231_19 Depth=1
	s_or_b64 exec, exec, s[4:5]
	v_add_u32_e32 v14, 1, v0
	v_mov_b32_e32 v15, v1
	v_lshl_add_u64 v[14:15], v[14:15], 1, s[18:19]
	global_store_short_d16_hi v[14:15], v10, off
	s_or_b64 exec, exec, s[10:11]
	s_and_saveexec_b64 s[4:5], s[6:7]
	s_cbranch_execz .LBB231_64
.LBB231_115:                            ;   in Loop: Header=BB231_19 Depth=1
	v_cvt_f32_i32_e32 v9, v9
	v_add_f32_e32 v8, v8, v9
	s_waitcnt vmcnt(1)
	v_lshlrev_b32_e32 v9, 16, v17
	v_add_f32_e32 v9, v8, v9
	v_and_b32_e32 v8, 0x7f800000, v9
	v_cmp_ne_u32_e32 vcc, s46, v8
                                        ; implicit-def: $vgpr8
	s_and_saveexec_b64 s[6:7], vcc
	s_xor_b64 s[6:7], exec, s[6:7]
; %bb.116:                              ;   in Loop: Header=BB231_19 Depth=1
	v_bfe_u32 v8, v9, 16, 1
	v_add3_u32 v8, v9, v8, s14
                                        ; implicit-def: $vgpr9
; %bb.117:                              ;   in Loop: Header=BB231_19 Depth=1
	s_andn2_saveexec_b64 s[6:7], s[6:7]
; %bb.118:                              ;   in Loop: Header=BB231_19 Depth=1
	v_or_b32_e32 v8, 0x10000, v9
	v_cmp_eq_u32_sdwa vcc, v9, v1 src0_sel:WORD_0 src1_sel:DWORD
	s_nop 1
	v_cndmask_b32_e32 v8, v8, v9, vcc
; %bb.119:                              ;   in Loop: Header=BB231_19 Depth=1
	s_or_b64 exec, exec, s[6:7]
	v_add_u32_e32 v10, 2, v0
	v_mov_b32_e32 v11, v1
	v_lshl_add_u64 v[10:11], v[10:11], 1, s[18:19]
	global_store_short_d16_hi v[10:11], v8, off
	s_or_b64 exec, exec, s[4:5]
	s_and_b64 exec, exec, s[8:9]
	s_cbranch_execz .LBB231_125
.LBB231_120:                            ;   in Loop: Header=BB231_19 Depth=1
	v_cvt_f32_i32_e32 v7, v7
	v_add_f32_e32 v6, v6, v7
	s_waitcnt vmcnt(0)
	v_lshlrev_b32_e32 v7, 16, v12
	v_add_f32_e32 v7, v6, v7
	v_and_b32_e32 v6, 0x7f800000, v7
	v_cmp_ne_u32_e32 vcc, s46, v6
                                        ; implicit-def: $vgpr6
	s_and_saveexec_b64 s[4:5], vcc
	s_xor_b64 s[4:5], exec, s[4:5]
; %bb.121:                              ;   in Loop: Header=BB231_19 Depth=1
	v_bfe_u32 v6, v7, 16, 1
	v_add3_u32 v6, v7, v6, s14
                                        ; implicit-def: $vgpr7
; %bb.122:                              ;   in Loop: Header=BB231_19 Depth=1
	s_andn2_saveexec_b64 s[4:5], s[4:5]
; %bb.123:                              ;   in Loop: Header=BB231_19 Depth=1
	v_or_b32_e32 v6, 0x10000, v7
	v_cmp_eq_u32_sdwa vcc, v7, v1 src0_sel:WORD_0 src1_sel:DWORD
	s_nop 1
	v_cndmask_b32_e32 v6, v6, v7, vcc
; %bb.124:                              ;   in Loop: Header=BB231_19 Depth=1
	s_or_b64 exec, exec, s[4:5]
	v_add_u32_e32 v0, 3, v0
	v_lshl_add_u64 v[8:9], v[0:1], 1, s[18:19]
	global_store_short_d16_hi v[8:9], v6, off
.LBB231_125:                            ;   in Loop: Header=BB231_19 Depth=1
	s_or_b64 exec, exec, s[34:35]
	v_add_u32_e32 v110, s41, v110
	v_add_u32_e32 v0, 4, v110
	v_cmp_gt_u32_e32 vcc, s15, v110
	v_cmp_le_u32_e64 s[4:5], s15, v0
	s_and_b64 s[4:5], vcc, s[4:5]
	s_and_saveexec_b64 s[6:7], s[4:5]
	s_cbranch_execz .LBB231_18
; %bb.126:                              ;   in Loop: Header=BB231_19 Depth=1
	v_cmp_ne_u32_e32 vcc, s23, v110
	s_and_saveexec_b64 s[8:9], vcc
	s_cbranch_execz .LBB231_17
; %bb.127:                              ;   in Loop: Header=BB231_19 Depth=1
	v_subrev_u32_e32 v0, s23, v110
	v_cmp_lt_u32_e32 vcc, 1, v0
	s_mov_b64 s[10:11], 0
	s_mov_b64 s[34:35], 0
	v_cndmask_b32_e32 v0, 1, v0, vcc
.LBB231_128:                            ;   Parent Loop BB231_19 Depth=1
                                        ; =>  This Inner Loop Header: Depth=2
	s_cmp_lg_u32 s34, 3
	s_cselect_b64 vcc, -1, 0
	s_cmp_lg_u32 s34, 2
	v_cndmask_b32_e32 v5, 0, v5, vcc
	s_cselect_b64 vcc, -1, 0
	s_cmp_lg_u32 s34, 1
	v_cndmask_b32_e32 v4, 0, v4, vcc
	;; [unrolled: 3-line block ×3, first 2 shown]
	s_cselect_b64 vcc, -1, 0
	s_add_u32 s34, s34, 1
	s_addc_u32 s35, s35, 0
	v_cmp_eq_u32_e64 s[4:5], s34, v0
	s_or_b64 s[10:11], s[4:5], s[10:11]
	v_cndmask_b32_e32 v2, 0, v2, vcc
	s_andn2_b64 exec, exec, s[10:11]
	s_cbranch_execnz .LBB231_128
; %bb.129:                              ;   in Loop: Header=BB231_19 Depth=1
	s_or_b64 exec, exec, s[10:11]
	s_branch .LBB231_17
.LBB231_130:
	s_endpgm
	.section	.rodata,"a",@progbits
	.p2align	6, 0x0
	.amdhsa_kernel _Z12wvSplitK_hf_I14__hip_bfloat16Li32ELi4ELi16ELi8ELi2ELi3EEviiiiiiPKT_S3_S3_PS1_ii
		.amdhsa_group_segment_fixed_size 65536
		.amdhsa_private_segment_fixed_size 0
		.amdhsa_kernarg_size 64
		.amdhsa_user_sgpr_count 2
		.amdhsa_user_sgpr_dispatch_ptr 0
		.amdhsa_user_sgpr_queue_ptr 0
		.amdhsa_user_sgpr_kernarg_segment_ptr 1
		.amdhsa_user_sgpr_dispatch_id 0
		.amdhsa_user_sgpr_kernarg_preload_length 0
		.amdhsa_user_sgpr_kernarg_preload_offset 0
		.amdhsa_user_sgpr_private_segment_size 0
		.amdhsa_uses_dynamic_stack 0
		.amdhsa_enable_private_segment 0
		.amdhsa_system_sgpr_workgroup_id_x 1
		.amdhsa_system_sgpr_workgroup_id_y 0
		.amdhsa_system_sgpr_workgroup_id_z 0
		.amdhsa_system_sgpr_workgroup_info 0
		.amdhsa_system_vgpr_workitem_id 1
		.amdhsa_next_free_vgpr 135
		.amdhsa_next_free_sgpr 47
		.amdhsa_accum_offset 136
		.amdhsa_reserve_vcc 1
		.amdhsa_float_round_mode_32 0
		.amdhsa_float_round_mode_16_64 0
		.amdhsa_float_denorm_mode_32 3
		.amdhsa_float_denorm_mode_16_64 3
		.amdhsa_dx10_clamp 1
		.amdhsa_ieee_mode 1
		.amdhsa_fp16_overflow 0
		.amdhsa_tg_split 0
		.amdhsa_exception_fp_ieee_invalid_op 0
		.amdhsa_exception_fp_denorm_src 0
		.amdhsa_exception_fp_ieee_div_zero 0
		.amdhsa_exception_fp_ieee_overflow 0
		.amdhsa_exception_fp_ieee_underflow 0
		.amdhsa_exception_fp_ieee_inexact 0
		.amdhsa_exception_int_div_zero 0
	.end_amdhsa_kernel
	.section	.text._Z12wvSplitK_hf_I14__hip_bfloat16Li32ELi4ELi16ELi8ELi2ELi3EEviiiiiiPKT_S3_S3_PS1_ii,"axG",@progbits,_Z12wvSplitK_hf_I14__hip_bfloat16Li32ELi4ELi16ELi8ELi2ELi3EEviiiiiiPKT_S3_S3_PS1_ii,comdat
.Lfunc_end231:
	.size	_Z12wvSplitK_hf_I14__hip_bfloat16Li32ELi4ELi16ELi8ELi2ELi3EEviiiiiiPKT_S3_S3_PS1_ii, .Lfunc_end231-_Z12wvSplitK_hf_I14__hip_bfloat16Li32ELi4ELi16ELi8ELi2ELi3EEviiiiiiPKT_S3_S3_PS1_ii
                                        ; -- End function
	.section	.AMDGPU.csdata,"",@progbits
; Kernel info:
; codeLenInByte = 6516
; NumSgprs: 53
; NumVgprs: 135
; NumAgprs: 0
; TotalNumVgprs: 135
; ScratchSize: 0
; MemoryBound: 1
; FloatMode: 240
; IeeeMode: 1
; LDSByteSize: 65536 bytes/workgroup (compile time only)
; SGPRBlocks: 6
; VGPRBlocks: 16
; NumSGPRsForWavesPerEU: 53
; NumVGPRsForWavesPerEU: 135
; AccumOffset: 136
; Occupancy: 2
; WaveLimiterHint : 0
; COMPUTE_PGM_RSRC2:SCRATCH_EN: 0
; COMPUTE_PGM_RSRC2:USER_SGPR: 2
; COMPUTE_PGM_RSRC2:TRAP_HANDLER: 0
; COMPUTE_PGM_RSRC2:TGID_X_EN: 1
; COMPUTE_PGM_RSRC2:TGID_Y_EN: 0
; COMPUTE_PGM_RSRC2:TGID_Z_EN: 0
; COMPUTE_PGM_RSRC2:TIDIG_COMP_CNT: 1
; COMPUTE_PGM_RSRC3_GFX90A:ACCUM_OFFSET: 33
; COMPUTE_PGM_RSRC3_GFX90A:TG_SPLIT: 0
	.section	.text._Z16wvSplitK_hf_big_I14__hip_bfloat16Li32ELi4ELi16ELi8ELi2ELi3EEviiiiiiPKT_S3_S3_PS1_ii,"axG",@progbits,_Z16wvSplitK_hf_big_I14__hip_bfloat16Li32ELi4ELi16ELi8ELi2ELi3EEviiiiiiPKT_S3_S3_PS1_ii,comdat
	.protected	_Z16wvSplitK_hf_big_I14__hip_bfloat16Li32ELi4ELi16ELi8ELi2ELi3EEviiiiiiPKT_S3_S3_PS1_ii ; -- Begin function _Z16wvSplitK_hf_big_I14__hip_bfloat16Li32ELi4ELi16ELi8ELi2ELi3EEviiiiiiPKT_S3_S3_PS1_ii
	.globl	_Z16wvSplitK_hf_big_I14__hip_bfloat16Li32ELi4ELi16ELi8ELi2ELi3EEviiiiiiPKT_S3_S3_PS1_ii
	.p2align	8
	.type	_Z16wvSplitK_hf_big_I14__hip_bfloat16Li32ELi4ELi16ELi8ELi2ELi3EEviiiiiiPKT_S3_S3_PS1_ii,@function
_Z16wvSplitK_hf_big_I14__hip_bfloat16Li32ELi4ELi16ELi8ELi2ELi3EEviiiiiiPKT_S3_S3_PS1_ii: ; @_Z16wvSplitK_hf_big_I14__hip_bfloat16Li32ELi4ELi16ELi8ELi2ELi3EEviiiiiiPKT_S3_S3_PS1_ii
; %bb.0:
	s_load_dwordx2 s[8:9], s[0:1], 0x38
	v_bfe_u32 v7, v0, 10, 10
	s_waitcnt lgkmcnt(0)
	v_cmp_gt_u32_e32 vcc, s8, v7
	s_and_saveexec_b64 s[4:5], vcc
	s_cbranch_execz .LBB232_112
; %bb.1:
	s_load_dwordx4 s[24:27], s[0:1], 0x0
	s_mul_i32 s2, s2, s8
	v_add_lshl_u32 v110, s2, v7, 2
	s_mov_b32 s4, 1
	v_add_u32_e32 v1, 4, v110
	s_mov_b32 s5, s4
	s_waitcnt lgkmcnt(0)
	v_cmp_gt_u32_e32 vcc, s27, v110
	v_cmp_le_u32_e64 s[2:3], s27, v1
	s_mov_b32 s6, s4
	s_mov_b32 s7, s4
	v_mov_b64_e32 v[2:3], s[4:5]
	s_and_b64 s[10:11], vcc, s[2:3]
	v_mov_b64_e32 v[4:5], s[6:7]
	s_and_saveexec_b64 s[2:3], s[10:11]
	s_cbranch_execz .LBB232_7
; %bb.2:
	s_add_i32 s16, s27, -4
	v_mov_b64_e32 v[2:3], s[4:5]
	v_cmp_ne_u32_e32 vcc, s16, v110
	v_mov_b64_e32 v[4:5], s[6:7]
	s_and_saveexec_b64 s[10:11], vcc
	s_cbranch_execz .LBB232_6
; %bb.3:
	v_subrev_u32_e32 v1, s16, v110
	v_cmp_lt_u32_e32 vcc, 1, v1
	s_mov_b64 s[12:13], 0
	s_mov_b64 s[14:15], 0
	v_cndmask_b32_e32 v6, 1, v1, vcc
	s_mov_b32 s5, s4
	s_mov_b32 s6, s4
	;; [unrolled: 1-line block ×3, first 2 shown]
.LBB232_4:                              ; =>This Inner Loop Header: Depth=1
	s_cmp_lg_u32 s14, 3
	s_cselect_b32 s7, s7, 0
	s_cmp_lg_u32 s14, 2
	s_cselect_b32 s6, s6, 0
	;; [unrolled: 2-line block ×4, first 2 shown]
	s_add_u32 s14, s14, 1
	s_addc_u32 s15, s15, 0
	v_cmp_eq_u32_e32 vcc, s14, v6
	v_mov_b64_e32 v[2:3], s[4:5]
	s_or_b64 s[12:13], vcc, s[12:13]
	v_mov_b64_e32 v[4:5], s[6:7]
	s_andn2_b64 exec, exec, s[12:13]
	s_cbranch_execnz .LBB232_4
; %bb.5:
	s_or_b64 exec, exec, s[12:13]
	v_mov_b32_e32 v110, s16
.LBB232_6:
	s_or_b64 exec, exec, s[10:11]
.LBB232_7:
	s_or_b64 exec, exec, s[2:3]
	s_lshl_b32 s2, s8, 2
	s_abs_i32 s3, s2
	v_cvt_f32_u32_e32 v1, s3
	s_sub_i32 s6, 0, s3
	s_abs_i32 s5, s27
	s_ashr_i32 s4, s27, 31
	v_rcp_iflag_f32_e32 v1, v1
	s_nop 0
	v_mul_f32_e32 v1, 0x4f7ffffe, v1
	v_cvt_u32_f32_e32 v1, v1
	s_nop 0
	v_readfirstlane_b32 s7, v1
	s_mul_i32 s6, s6, s7
	s_mul_hi_u32 s6, s7, s6
	s_add_i32 s7, s7, s6
	s_mul_hi_u32 s6, s5, s7
	s_mul_i32 s6, s6, s3
	s_sub_i32 s5, s5, s6
	s_sub_i32 s6, s5, s3
	s_cmp_ge_u32 s5, s3
	s_cselect_b32 s5, s6, s5
	s_sub_i32 s6, s5, s3
	s_cmp_ge_u32 s5, s3
	s_cselect_b32 s3, s6, s5
	s_xor_b32 s3, s3, s4
	s_sub_i32 s3, s3, s4
	s_add_i32 s2, s2, s27
	s_sub_i32 s2, s2, s3
	s_cmp_eq_u32 s3, 0
	s_cselect_b32 s33, s27, s2
	v_cmp_gt_u32_e32 vcc, s33, v110
	s_and_b64 exec, exec, vcc
	s_cbranch_execz .LBB232_112
; %bb.8:
	s_load_dwordx8 s[16:23], s[0:1], 0x10
	s_min_u32 s44, s26, 0x2a00
	s_cmp_lg_u32 s24, 0
	s_load_dwordx2 s[14:15], s[0:1], 0x30
	s_cselect_b64 s[2:3], -1, 0
	s_cmp_lg_u32 s26, 0
	s_mul_i32 s0, s9, s8
	s_cselect_b64 s[4:5], -1, 0
	s_lshl_b32 s45, s8, 8
	s_add_i32 s46, s24, -8
	s_add_i32 s47, s27, -1
	s_lshl_b32 s48, s0, 2
	s_waitcnt lgkmcnt(0)
	s_cmp_lg_u64 s[22:23], 0
	s_cselect_b64 s[30:31], -1, 0
	s_abs_i32 s6, s17
	v_cvt_f32_u32_e32 v1, s16
	v_cvt_f32_u32_e32 v6, s6
	s_sub_i32 s7, 0, s16
	s_add_i32 s17, s27, -4
	v_rcp_iflag_f32_e32 v1, v1
	v_rcp_iflag_f32_e32 v6, v6
	v_and_b32_e32 v0, 0x3ff, v0
	v_lshlrev_b32_e32 v120, 3, v0
	v_mul_f32_e32 v1, 0x4f7ffffe, v1
	v_mul_f32_e32 v6, 0x4f7ffffe, v6
	v_cvt_u32_f32_e32 v1, v1
	v_cvt_u32_f32_e32 v6, v6
	v_cmp_eq_u32_e64 s[0:1], 31, v0
	v_lshlrev_b32_e32 v0, 4, v0
	v_mul_lo_u32 v8, s7, v1
	s_sub_i32 s7, 0, s6
	v_readfirstlane_b32 s9, v6
	s_mul_i32 s7, s7, s9
	s_mul_hi_u32 s7, s9, s7
	s_add_i32 s9, s9, s7
	s_sub_i32 s7, 1, s6
	s_cmp_lt_u32 s6, 2
	s_cselect_b32 s7, s7, 1
	s_sub_i32 s10, s7, s6
	s_cmp_ge_u32 s7, s6
	s_cselect_b32 s49, s10, s7
	s_lshr_b32 s7, s9, 31
	s_mul_i32 s7, s7, s6
	s_sub_i32 s7, 2, s7
	s_sub_i32 s9, s7, s6
	s_cmp_ge_u32 s7, s6
	s_cselect_b32 s7, s9, s7
	s_sub_i32 s9, s7, s6
	s_cmp_ge_u32 s7, s6
	v_lshl_add_u32 v122, v7, 9, v0
	v_cndmask_b32_e64 v0, 0, 1, s[2:3]
	v_mul_hi_u32 v8, v1, v8
	s_cselect_b32 s50, s9, s7
	s_add_u32 s34, s14, 2
	v_lshl_add_u32 v123, v7, 8, v120
	v_cmp_ne_u32_e64 s[2:3], 1, v0
	v_cndmask_b32_e64 v0, 0, 1, s[4:5]
	s_mov_b64 s[28:29], 0
	v_add_u32_e32 v121, v1, v8
	v_mov_b32_e32 v1, 0
	s_mul_i32 s49, s49, s16
	s_mul_i32 s50, s50, s16
	s_addc_u32 s35, s15, 0
	s_lshl_b32 s51, s44, 2
	s_lshl_b32 s52, s8, 9
	;; [unrolled: 1-line block ×3, first 2 shown]
	v_lshl_add_u32 v124, s26, 1, v123
	v_add_u32_e32 v125, s26, v123
	v_cmp_ne_u32_e64 s[4:5], 1, v0
	s_mov_b32 s54, 0x7f800000
	s_movk_i32 s55, 0x7fff
	s_branch .LBB232_12
.LBB232_9:                              ;   in Loop: Header=BB232_12 Depth=1
	s_or_b64 exec, exec, s[10:11]
	v_mov_b32_e32 v110, s17
.LBB232_10:                             ;   in Loop: Header=BB232_12 Depth=1
	s_or_b64 exec, exec, s[8:9]
.LBB232_11:                             ;   in Loop: Header=BB232_12 Depth=1
	s_or_b64 exec, exec, s[36:37]
	v_cmp_le_u32_e32 vcc, s33, v110
	s_or_b64 s[28:29], vcc, s[28:29]
	s_andn2_b64 exec, exec, s[28:29]
	s_cbranch_execz .LBB232_112
.LBB232_12:                             ; =>This Loop Header: Depth=1
                                        ;     Child Loop BB232_17 Depth 2
                                        ;       Child Loop BB232_22 Depth 3
                                        ;     Child Loop BB232_110 Depth 2
	s_and_b64 vcc, exec, s[2:3]
	v_mov_b32_e32 v9, v1
	v_mov_b32_e32 v8, v1
	s_waitcnt vmcnt(8)
	v_mov_b32_e32 v7, v1
	v_mov_b32_e32 v6, v1
	v_mov_b32_e32 v13, v1
	v_mov_b32_e32 v12, v1
	v_mov_b32_e32 v11, v1
	v_mov_b32_e32 v10, v1
	v_mov_b32_e32 v17, v1
	v_mov_b32_e32 v16, v1
	s_waitcnt vmcnt(0)
	v_mov_b32_e32 v15, v1
	v_mov_b32_e32 v14, v1
	;; [unrolled: 1-line block ×38, first 2 shown]
	s_cbranch_vccnz .LBB232_29
; %bb.13:                               ;   in Loop: Header=BB232_12 Depth=1
	v_add_u32_e32 v6, 1, v110
	v_add_u32_e32 v8, 2, v110
	;; [unrolled: 1-line block ×3, first 2 shown]
	v_min_u32_e32 v0, s47, v110
	v_min_u32_e32 v6, s47, v6
	;; [unrolled: 1-line block ×4, first 2 shown]
	v_mul_lo_u32 v0, v0, s25
	v_mul_lo_u32 v6, v6, s25
	v_mov_b32_e32 v7, v1
	v_mul_lo_u32 v8, v8, s25
	v_mov_b32_e32 v9, v1
	;; [unrolled: 2-line block ×3, first 2 shown]
	v_mov_b32_e32 v38, 0
	v_cmp_gt_u32_e64 s[6:7], s27, v110
	s_mov_b32 s36, 0
	v_lshlrev_b64 v[112:113], 1, v[0:1]
	v_lshlrev_b64 v[114:115], 1, v[6:7]
	;; [unrolled: 1-line block ×4, first 2 shown]
	s_mov_b32 s37, 0
	v_mov_b32_e32 v39, v38
	v_mov_b32_e32 v40, v38
	;; [unrolled: 1-line block ×47, first 2 shown]
	s_branch .LBB232_17
.LBB232_14:                             ;   in Loop: Header=BB232_17 Depth=2
	s_or_b64 exec, exec, s[12:13]
.LBB232_15:                             ;   in Loop: Header=BB232_17 Depth=2
	s_or_b64 exec, exec, s[10:11]
	s_waitcnt vmcnt(7) lgkmcnt(2)
	v_mfma_f32_4x4x4_16b_bf16 v[50:53], v[106:107], v[78:79], v[50:53]
	s_waitcnt vmcnt(6)
	v_mfma_f32_4x4x4_16b_bf16 v[46:49], v[106:107], v[70:71], v[46:49]
	s_waitcnt vmcnt(5)
	;; [unrolled: 2-line block ×3, first 2 shown]
	v_mfma_f32_4x4x4_16b_bf16 v[38:41], v[106:107], v[82:83], v[38:41]
	s_waitcnt lgkmcnt(1)
	v_mfma_f32_4x4x4_16b_bf16 v[34:37], v[102:103], v[78:79], v[34:37]
	v_mfma_f32_4x4x4_16b_bf16 v[30:33], v[102:103], v[70:71], v[30:33]
	;; [unrolled: 1-line block ×4, first 2 shown]
	s_waitcnt lgkmcnt(0)
	v_mfma_f32_4x4x4_16b_bf16 v[18:21], v[98:99], v[78:79], v[18:21]
	v_mfma_f32_4x4x4_16b_bf16 v[14:17], v[98:99], v[70:71], v[14:17]
	;; [unrolled: 1-line block ×16, first 2 shown]
	s_waitcnt vmcnt(3)
	v_mfma_f32_4x4x4_16b_bf16 v[50:53], v[94:95], v[58:59], v[50:53]
	s_waitcnt vmcnt(2)
	v_mfma_f32_4x4x4_16b_bf16 v[46:49], v[94:95], v[54:55], v[46:49]
	;; [unrolled: 2-line block ×4, first 2 shown]
	v_mfma_f32_4x4x4_16b_bf16 v[34:37], v[90:91], v[58:59], v[34:37]
	v_mfma_f32_4x4x4_16b_bf16 v[30:33], v[90:91], v[54:55], v[30:33]
	;; [unrolled: 1-line block ×20, first 2 shown]
.LBB232_16:                             ;   in Loop: Header=BB232_17 Depth=2
	s_or_b64 exec, exec, s[8:9]
	s_addk_i32 s37, 0x200
	s_cmp_ge_u32 s37, s24
	s_cbranch_scc1 .LBB232_29
.LBB232_17:                             ;   Parent Loop BB232_12 Depth=1
                                        ; =>  This Loop Header: Depth=2
                                        ;       Child Loop BB232_22 Depth 3
	s_cmp_eq_u32 s37, 0
	s_cselect_b64 s[8:9], -1, 0
	s_add_i32 s10, s36, s44
	s_cmp_eq_u32 s37, s10
	s_cselect_b64 s[12:13], -1, 0
	s_or_b64 s[12:13], s[8:9], s[12:13]
	s_andn2_b64 vcc, exec, s[12:13]
	s_cbranch_vccz .LBB232_19
; %bb.18:                               ;   in Loop: Header=BB232_17 Depth=2
	s_and_saveexec_b64 s[8:9], s[6:7]
	s_cbranch_execz .LBB232_16
	s_branch .LBB232_26
.LBB232_19:                             ;   in Loop: Header=BB232_17 Depth=2
	s_and_b64 s[8:9], s[8:9], exec
	s_cselect_b32 s36, s36, s10
	s_and_b64 vcc, exec, s[4:5]
	s_barrier
	s_cbranch_vccnz .LBB232_25
; %bb.20:                               ;   in Loop: Header=BB232_17 Depth=2
	v_add_u32_e32 v54, s36, v124
	v_add_u32_e32 v55, s36, v125
	;; [unrolled: 1-line block ×3, first 2 shown]
	s_mov_b32 s38, 0
	s_mov_b64 s[10:11], 0
	v_mov_b32_e32 v57, v122
                                        ; implicit-def: $sgpr12_sgpr13
	s_branch .LBB232_22
.LBB232_21:                             ;   in Loop: Header=BB232_22 Depth=3
	s_or_b64 exec, exec, s[8:9]
	s_and_b64 s[8:9], exec, s[12:13]
	s_or_b64 s[10:11], s[8:9], s[10:11]
	s_andn2_b64 exec, exec, s[10:11]
	s_cbranch_execz .LBB232_24
.LBB232_22:                             ;   Parent Loop BB232_12 Depth=1
                                        ;     Parent Loop BB232_17 Depth=2
                                        ; =>    This Inner Loop Header: Depth=3
	v_add_u32_e32 v58, s38, v123
	v_add_u32_e32 v0, s38, v56
	v_cmp_gt_u32_e32 vcc, s26, v0
	v_cmp_gt_u32_e64 s[8:9], s44, v58
	s_and_b64 s[40:41], s[8:9], vcc
	s_or_b64 s[12:13], s[12:13], exec
	s_and_saveexec_b64 s[8:9], s[40:41]
	s_cbranch_execz .LBB232_21
; %bb.23:                               ;   in Loop: Header=BB232_22 Depth=3
	v_lshl_add_u64 v[58:59], v[0:1], 1, s[20:21]
	v_add_u32_e32 v0, s38, v55
	v_lshl_add_u64 v[62:63], v[0:1], 1, s[20:21]
	v_add_u32_e32 v0, s38, v54
	global_load_dwordx4 v[58:61], v[58:59], off
	s_nop 0
	global_load_dwordx4 v[62:65], v[62:63], off
	v_lshl_add_u64 v[66:67], v[0:1], 1, s[20:21]
	global_load_dwordx4 v[66:69], v[66:67], off
	s_add_i32 s38, s38, s45
	s_cmp_ge_u32 s38, s44
	s_cselect_b64 s[40:41], -1, 0
	s_andn2_b64 s[12:13], s[12:13], exec
	s_and_b64 s[40:41], s[40:41], exec
	v_add_u32_e32 v0, s53, v57
	v_add_u32_e32 v70, s51, v57
	s_or_b64 s[12:13], s[12:13], s[40:41]
	s_waitcnt vmcnt(2)
	ds_write_b128 v57, v[58:61]
	v_add_u32_e32 v57, s52, v57
	s_waitcnt vmcnt(1)
	ds_write2_b64 v0, v[62:63], v[64:65] offset1:1
	s_waitcnt vmcnt(0)
	ds_write2_b32 v70, v66, v67 offset1:1
	ds_write2_b32 v70, v68, v69 offset0:2 offset1:3
	s_branch .LBB232_21
.LBB232_24:                             ;   in Loop: Header=BB232_17 Depth=2
	s_or_b64 exec, exec, s[10:11]
.LBB232_25:                             ;   in Loop: Header=BB232_17 Depth=2
	s_waitcnt lgkmcnt(0)
	s_barrier
	s_and_saveexec_b64 s[8:9], s[6:7]
	s_cbranch_execz .LBB232_16
.LBB232_26:                             ;   in Loop: Header=BB232_17 Depth=2
	v_add_u32_e32 v111, s37, v120
	v_min_u32_e32 v0, s46, v111
	v_add_u32_e32 v126, 0x100, v111
	v_lshl_add_u64 v[54:55], v[0:1], 1, s[18:19]
	v_min_u32_e32 v0, s46, v126
	v_lshl_add_u64 v[56:57], v[54:55], 0, v[112:113]
	v_lshl_add_u64 v[62:63], v[0:1], 1, s[18:19]
	;; [unrolled: 1-line block ×3, first 2 shown]
	global_load_dwordx4 v[78:81], v[56:57], off nt
	global_load_dwordx4 v[70:73], v[58:59], off nt
	v_lshl_add_u64 v[56:57], v[54:55], 0, v[116:117]
	v_lshl_add_u64 v[54:55], v[54:55], 0, v[118:119]
	;; [unrolled: 1-line block ×5, first 2 shown]
	global_load_dwordx4 v[86:89], v[56:57], off nt
	global_load_dwordx4 v[82:85], v[54:55], off nt
	;; [unrolled: 1-line block ×3, first 2 shown]
	s_nop 0
	global_load_dwordx4 v[54:57], v[66:67], off nt
	v_lshl_add_u64 v[76:77], v[62:63], 0, v[118:119]
	global_load_dwordx4 v[66:69], v[74:75], off nt
	global_load_dwordx4 v[62:65], v[76:77], off nt
	v_cmp_gt_u32_e32 vcc, s24, v111
	v_mov_b32_e32 v76, 0
	v_mov_b32_e32 v77, 0
	;; [unrolled: 1-line block ×24, first 2 shown]
	s_and_saveexec_b64 s[10:11], vcc
	s_cbranch_execz .LBB232_15
; %bb.27:                               ;   in Loop: Header=BB232_17 Depth=2
	v_subrev_u32_e32 v0, s36, v111
	v_lshlrev_b32_e32 v127, 1, v0
	v_add_u32_e32 v111, s53, v127
	v_add_u32_e32 v0, s53, v111
	ds_read_b128 v[106:109], v127
	ds_read_b128 v[102:105], v111
	ds_read_b128 v[98:101], v0
	v_cmp_gt_u32_e32 vcc, s24, v126
	v_mov_b32_e32 v95, 0
	v_mov_b32_e32 v94, 0
	;; [unrolled: 1-line block ×12, first 2 shown]
	s_and_saveexec_b64 s[12:13], vcc
	s_cbranch_execz .LBB232_14
; %bb.28:                               ;   in Loop: Header=BB232_17 Depth=2
	ds_read_b128 v[94:97], v127 offset:512
	ds_read_b128 v[90:93], v111 offset:512
	;; [unrolled: 1-line block ×3, first 2 shown]
	s_branch .LBB232_14
.LBB232_29:                             ;   in Loop: Header=BB232_12 Depth=1
	v_cmp_le_u32_e32 vcc, s27, v110
	s_and_saveexec_b64 s[6:7], vcc
	s_xor_b64 s[6:7], exec, s[6:7]
; %bb.30:                               ;   in Loop: Header=BB232_12 Depth=1
	v_add_u32_e32 v110, s48, v110
                                        ; implicit-def: $vgpr9
                                        ; implicit-def: $vgpr13
                                        ; implicit-def: $vgpr17
                                        ; implicit-def: $vgpr21
                                        ; implicit-def: $vgpr25
                                        ; implicit-def: $vgpr29
                                        ; implicit-def: $vgpr33
                                        ; implicit-def: $vgpr37
                                        ; implicit-def: $vgpr53
                                        ; implicit-def: $vgpr49
                                        ; implicit-def: $vgpr45
                                        ; implicit-def: $vgpr41
; %bb.31:                               ;   in Loop: Header=BB232_12 Depth=1
	s_andn2_saveexec_b64 s[36:37], s[6:7]
	s_cbranch_execz .LBB232_11
; %bb.32:                               ;   in Loop: Header=BB232_12 Depth=1
	v_cvt_i32_f32_e32 v0, v51
	v_cvt_i32_f32_e32 v51, v52
	;; [unrolled: 1-line block ×4, first 2 shown]
	v_cvt_f32_i32_dpp v0, v0 row_shl:1 row_mask:0xf bank_mask:0xf bound_ctrl:1
	v_cvt_f32_i32_dpp v51, v51 row_shl:2 row_mask:0xf bank_mask:0xf bound_ctrl:1
	;; [unrolled: 1-line block ×3, first 2 shown]
	v_cvt_i32_f32_e32 v48, v48
	v_add_f32_e32 v0, v50, v0
	v_add_f32_e32 v0, v0, v51
	v_cvt_i32_f32_e32 v49, v49
	v_add_f32_e32 v0, v0, v52
	v_cvt_i32_f32_e32 v50, v0
	v_cvt_f32_i32_dpp v47, v47 row_shl:1 row_mask:0xf bank_mask:0xf bound_ctrl:1
	v_cvt_f32_i32_dpp v48, v48 row_shl:2 row_mask:0xf bank_mask:0xf bound_ctrl:1
	;; [unrolled: 1-line block ×4, first 2 shown]
	v_add_f32_e32 v46, v46, v47
	v_add_f32_e32 v46, v46, v48
	;; [unrolled: 1-line block ×3, first 2 shown]
	v_cvt_i32_f32_e32 v47, v46
	v_add_f32_e32 v0, v0, v50
	v_cvt_i32_f32_e32 v48, v0
	v_cvt_i32_f32_e32 v43, v43
	v_cvt_f32_i32_dpp v47, v47 row_shl:4 row_mask:0xf bank_mask:0xf bound_ctrl:1
	v_cvt_i32_f32_e32 v44, v44
	v_cvt_f32_i32_dpp v48, v48 row_shl:8 row_mask:0xf bank_mask:0xf bound_ctrl:1
	v_cvt_i32_f32_e32 v45, v45
	v_add_f32_e32 v46, v46, v47
	v_cvt_i32_f32_e32 v47, v46
	v_add_f32_e32 v0, v0, v48
	v_cvt_i32_f32_e32 v0, v0
	v_cvt_f32_i32_dpp v43, v43 row_shl:1 row_mask:0xf bank_mask:0xf bound_ctrl:1
	v_cvt_f32_i32_dpp v44, v44 row_shl:2 row_mask:0xf bank_mask:0xf bound_ctrl:1
	;; [unrolled: 1-line block ×4, first 2 shown]
	v_cvt_f32_i32_dpp v0, v0 row_shr:15 row_mask:0xf bank_mask:0xf bound_ctrl:1
	v_add_f32_e32 v42, v42, v43
	v_add_f32_e32 v42, v42, v44
	v_cvt_i32_f32_e32 v39, v39
	v_add_f32_e32 v46, v46, v47
	v_add_f32_e32 v43, v42, v45
	v_cvt_i32_f32_e32 v40, v40
	v_cvt_i32_f32_e32 v46, v46
	;; [unrolled: 1-line block ×5, first 2 shown]
	v_cvt_f32_i32_dpp v39, v39 row_shl:1 row_mask:0xf bank_mask:0xf bound_ctrl:1
	v_cvt_f32_i32_dpp v40, v40 row_shl:2 row_mask:0xf bank_mask:0xf bound_ctrl:1
	v_cvt_f32_i32_dpp v45, v46 row_shr:15 row_mask:0xf bank_mask:0xf bound_ctrl:1
	v_cvt_f32_i32_dpp v46, v42 row_shl:4 row_mask:0xf bank_mask:0xf bound_ctrl:1
	v_cvt_f32_i32_dpp v41, v41 row_shl:3 row_mask:0xf bank_mask:0xf bound_ctrl:1
	v_cvt_f32_i32_dpp v44, v47 row_bcast:15 row_mask:0xf bank_mask:0xf bound_ctrl:1
	v_add_f32_e32 v38, v38, v39
	v_add_f32_e32 v38, v38, v40
	;; [unrolled: 1-line block ×5, first 2 shown]
	v_cvt_i32_f32_e32 v44, v45
	v_cvt_i32_f32_e32 v46, v43
	;; [unrolled: 1-line block ×4, first 2 shown]
	v_cvt_f32_i32_dpp v41, v44 row_bcast:15 row_mask:0xf bank_mask:0xf bound_ctrl:1
	v_cvt_f32_i32_dpp v46, v46 row_shl:8 row_mask:0xf bank_mask:0xf bound_ctrl:1
	v_cvt_f32_i32_dpp v44, v38 row_shl:4 row_mask:0xf bank_mask:0xf bound_ctrl:1
	v_cvt_i32_f32_e32 v36, v36
	v_cvt_i32_f32_e32 v37, v37
	v_cvt_f32_i32_dpp v35, v35 row_shl:1 row_mask:0xf bank_mask:0xf bound_ctrl:1
	v_add_f32_e32 v39, v43, v46
	v_add_f32_e32 v40, v40, v44
	v_cvt_f32_i32_dpp v36, v36 row_shl:2 row_mask:0xf bank_mask:0xf bound_ctrl:1
	v_cvt_i32_f32_e32 v0, v42
	v_cvt_i32_f32_e32 v43, v39
	v_add_f32_e32 v38, v45, v41
	v_cvt_i32_f32_e32 v41, v40
	v_cvt_f32_i32_dpp v37, v37 row_shl:3 row_mask:0xf bank_mask:0xf bound_ctrl:1
	v_add_f32_e32 v34, v34, v35
	v_add_f32_e32 v34, v34, v36
	v_mov_b32_dpp v39, v0 row_bcast:31 row_mask:0xf bank_mask:0xf bound_ctrl:1
	v_cvt_f32_i32_dpp v0, v43 row_shr:15 row_mask:0xf bank_mask:0xf bound_ctrl:1
	v_cvt_f32_i32_dpp v41, v41 row_shl:8 row_mask:0xf bank_mask:0xf bound_ctrl:1
	v_add_f32_e32 v34, v34, v37
	v_cvt_i32_f32_e32 v35, v34
	v_cvt_i32_f32_e32 v36, v0
	v_add_f32_e32 v37, v40, v41
	v_cvt_i32_f32_e32 v37, v37
	v_cvt_f32_i32_dpp v35, v35 row_shl:4 row_mask:0xf bank_mask:0xf bound_ctrl:1
	v_cvt_i32_f32_e32 v31, v31
	v_cvt_f32_i32_dpp v36, v36 row_bcast:15 row_mask:0xf bank_mask:0xf bound_ctrl:1
	v_cvt_i32_f32_e32 v32, v32
	v_cvt_f32_i32_dpp v37, v37 row_shr:15 row_mask:0xf bank_mask:0xf bound_ctrl:1
	v_add_f32_e32 v41, v34, v35
	v_cvt_i32_f32_e32 v33, v33
	v_cvt_i32_f32_e32 v35, v41
	v_cvt_f32_i32_dpp v31, v31 row_shl:1 row_mask:0xf bank_mask:0xf bound_ctrl:1
	v_cvt_i32_f32_e32 v27, v27
	v_add_f32_e32 v34, v0, v36
	v_cvt_f32_i32_dpp v32, v32 row_shl:2 row_mask:0xf bank_mask:0xf bound_ctrl:1
	v_cvt_i32_f32_e32 v28, v28
	v_cvt_i32_f32_e32 v0, v34
	;; [unrolled: 1-line block ×3, first 2 shown]
	v_cvt_f32_i32_dpp v33, v33 row_shl:3 row_mask:0xf bank_mask:0xf bound_ctrl:1
	v_cvt_i32_f32_e32 v29, v29
	v_cvt_i32_f32_e32 v40, v38
	v_cvt_f32_i32_dpp v44, v35 row_shl:8 row_mask:0xf bank_mask:0xf bound_ctrl:1
	v_add_f32_e32 v30, v30, v31
	v_cvt_f32_i32_dpp v27, v27 row_shl:1 row_mask:0xf bank_mask:0xf bound_ctrl:1
	v_add_f32_e32 v30, v30, v32
	v_cvt_f32_i32_dpp v28, v28 row_shl:2 row_mask:0xf bank_mask:0xf bound_ctrl:1
	v_mov_b32_dpp v35, v0 row_bcast:31 row_mask:0xf bank_mask:0xf bound_ctrl:1
	v_cvt_f32_i32_dpp v0, v43 row_bcast:15 row_mask:0xf bank_mask:0xf bound_ctrl:1
	v_add_f32_e32 v31, v30, v33
	v_cvt_f32_i32_dpp v29, v29 row_shl:3 row_mask:0xf bank_mask:0xf bound_ctrl:1
	v_mov_b32_dpp v36, v40 row_bcast:31 row_mask:0xf bank_mask:0xf bound_ctrl:1
	v_add_f32_e32 v40, v41, v44
	v_cvt_i32_f32_e32 v32, v31
	v_cvt_i32_f32_e32 v40, v40
	v_add_f32_e32 v26, v26, v27
	v_add_f32_e32 v26, v26, v28
	v_cvt_i32_f32_e32 v23, v23
	v_add_f32_e32 v30, v37, v0
	v_add_f32_e32 v28, v26, v29
	v_cvt_i32_f32_e32 v24, v24
	v_cvt_i32_f32_e32 v0, v30
	v_cvt_f32_i32_dpp v32, v32 row_shl:4 row_mask:0xf bank_mask:0xf bound_ctrl:1
	v_cvt_i32_f32_e32 v26, v28
	v_cvt_i32_f32_e32 v25, v25
	v_cvt_f32_i32_dpp v40, v40 row_shr:15 row_mask:0xf bank_mask:0xf bound_ctrl:1
	v_cvt_f32_i32_dpp v23, v23 row_shl:1 row_mask:0xf bank_mask:0xf bound_ctrl:1
	v_cvt_f32_i32_dpp v24, v24 row_shl:2 row_mask:0xf bank_mask:0xf bound_ctrl:1
	v_add_f32_e32 v31, v31, v32
	v_mov_b32_dpp v27, v0 row_bcast:31 row_mask:0xf bank_mask:0xf bound_ctrl:1
	v_cvt_f32_i32_dpp v0, v26 row_shl:4 row_mask:0xf bank_mask:0xf bound_ctrl:1
	v_cvt_f32_i32_dpp v25, v25 row_shl:3 row_mask:0xf bank_mask:0xf bound_ctrl:1
	v_cvt_i32_f32_e32 v33, v40
	v_cvt_i32_f32_e32 v32, v31
	v_add_f32_e32 v22, v22, v23
	v_add_f32_e32 v22, v22, v24
	;; [unrolled: 1-line block ×4, first 2 shown]
	v_cvt_f32_i32_dpp v29, v33 row_bcast:15 row_mask:0xf bank_mask:0xf bound_ctrl:1
	v_cvt_f32_i32_dpp v32, v32 row_shl:8 row_mask:0xf bank_mask:0xf bound_ctrl:1
	v_cvt_i32_f32_e32 v28, v0
	v_cvt_i32_f32_e32 v23, v22
	v_add_f32_e32 v26, v40, v29
	v_add_f32_e32 v29, v31, v32
	v_cvt_f32_i32_dpp v28, v28 row_shl:8 row_mask:0xf bank_mask:0xf bound_ctrl:1
	v_cvt_f32_i32_dpp v23, v23 row_shl:4 row_mask:0xf bank_mask:0xf bound_ctrl:1
	v_cvt_i32_f32_e32 v29, v29
	v_cvt_i32_f32_e32 v19, v19
	v_add_f32_e32 v0, v0, v28
	v_add_f32_e32 v23, v22, v23
	v_cvt_f32_i32_dpp v25, v29 row_shr:15 row_mask:0xf bank_mask:0xf bound_ctrl:1
	v_cvt_i32_f32_e32 v0, v0
	v_cvt_i32_f32_e32 v22, v23
	;; [unrolled: 1-line block ×5, first 2 shown]
	v_cvt_f32_i32_dpp v0, v0 row_shr:15 row_mask:0xf bank_mask:0xf bound_ctrl:1
	v_cvt_f32_i32_dpp v31, v22 row_shl:8 row_mask:0xf bank_mask:0xf bound_ctrl:1
	v_cvt_f32_i32_dpp v19, v19 row_shl:1 row_mask:0xf bank_mask:0xf bound_ctrl:1
	v_cvt_i32_f32_e32 v15, v15
	v_cvt_f32_i32_dpp v20, v20 row_shl:2 row_mask:0xf bank_mask:0xf bound_ctrl:1
	v_cvt_i32_f32_e32 v16, v16
	v_cvt_f32_i32_dpp v21, v21 row_shl:3 row_mask:0xf bank_mask:0xf bound_ctrl:1
	v_cvt_i32_f32_e32 v17, v17
	v_cvt_i32_f32_e32 v11, v11
	v_cvt_f32_i32_dpp v28, v28 row_bcast:15 row_mask:0xf bank_mask:0xf bound_ctrl:1
	v_cvt_i32_f32_e32 v29, v0
	v_add_f32_e32 v23, v23, v31
	v_cvt_i32_f32_e32 v23, v23
	v_add_f32_e32 v18, v18, v19
	v_cvt_f32_i32_dpp v15, v15 row_shl:1 row_mask:0xf bank_mask:0xf bound_ctrl:1
	v_cvt_i32_f32_e32 v7, v7
	v_add_f32_e32 v18, v18, v20
	v_cvt_f32_i32_dpp v16, v16 row_shl:2 row_mask:0xf bank_mask:0xf bound_ctrl:1
	v_cvt_i32_f32_e32 v12, v12
	v_cvt_i32_f32_e32 v8, v8
	v_add_f32_e32 v20, v18, v21
	v_cvt_f32_i32_dpp v17, v17 row_shl:3 row_mask:0xf bank_mask:0xf bound_ctrl:1
	v_cvt_f32_i32_dpp v11, v11 row_shl:1 row_mask:0xf bank_mask:0xf bound_ctrl:1
	v_cvt_i32_f32_e32 v13, v13
	v_cvt_i32_f32_e32 v9, v9
	v_add_f32_e32 v22, v25, v28
	v_cvt_f32_i32_dpp v28, v29 row_bcast:15 row_mask:0xf bank_mask:0xf bound_ctrl:1
	v_cvt_i32_f32_e32 v18, v20
	v_cvt_f32_i32_dpp v23, v23 row_shr:15 row_mask:0xf bank_mask:0xf bound_ctrl:1
	v_add_f32_e32 v14, v14, v15
	v_cvt_f32_i32_dpp v7, v7 row_shl:1 row_mask:0xf bank_mask:0xf bound_ctrl:1
	v_add_f32_e32 v14, v14, v16
	v_cvt_f32_i32_dpp v12, v12 row_shl:2 row_mask:0xf bank_mask:0xf bound_ctrl:1
	v_cvt_f32_i32_dpp v8, v8 row_shl:2 row_mask:0xf bank_mask:0xf bound_ctrl:1
	v_add_f32_e32 v15, v14, v17
	v_add_f32_e32 v10, v10, v11
	v_cvt_f32_i32_dpp v11, v13 row_shl:3 row_mask:0xf bank_mask:0xf bound_ctrl:1
	v_cvt_f32_i32_dpp v9, v9 row_shl:3 row_mask:0xf bank_mask:0xf bound_ctrl:1
	v_add_f32_e32 v19, v0, v28
	v_cvt_f32_i32_dpp v0, v18 row_shl:4 row_mask:0xf bank_mask:0xf bound_ctrl:1
	v_cvt_i32_f32_e32 v16, v15
	v_cvt_i32_f32_e32 v25, v22
	;; [unrolled: 1-line block ×3, first 2 shown]
	v_add_f32_e32 v6, v6, v7
	v_add_f32_e32 v10, v10, v12
	;; [unrolled: 1-line block ×6, first 2 shown]
	v_cvt_f32_i32_dpp v16, v16 row_shl:4 row_mask:0xf bank_mask:0xf bound_ctrl:1
	v_cvt_i32_f32_e32 v11, v10
	v_cvt_i32_f32_e32 v7, v6
	v_mov_b32_dpp v21, v25 row_bcast:31 row_mask:0xf bank_mask:0xf bound_ctrl:1
	v_cvt_f32_i32_dpp v25, v29 row_bcast:15 row_mask:0xf bank_mask:0xf bound_ctrl:1
	v_cvt_i32_f32_e32 v20, v0
	v_add_f32_e32 v15, v15, v16
	v_cvt_f32_i32_dpp v9, v11 row_shl:4 row_mask:0xf bank_mask:0xf bound_ctrl:1
	v_cvt_f32_i32_dpp v7, v7 row_shl:4 row_mask:0xf bank_mask:0xf bound_ctrl:1
	v_add_f32_e32 v18, v23, v25
	v_cvt_f32_i32_dpp v25, v20 row_shl:8 row_mask:0xf bank_mask:0xf bound_ctrl:1
	v_cvt_i32_f32_e32 v16, v15
	v_add_f32_e32 v9, v10, v9
	v_add_f32_e32 v6, v6, v7
	;; [unrolled: 1-line block ×3, first 2 shown]
	v_cvt_f32_i32_dpp v8, v16 row_shl:8 row_mask:0xf bank_mask:0xf bound_ctrl:1
	v_cvt_i32_f32_e32 v10, v9
	v_cvt_i32_f32_e32 v7, v6
	;; [unrolled: 1-line block ×3, first 2 shown]
	v_add_f32_e32 v8, v15, v8
	v_cvt_f32_i32_dpp v10, v10 row_shl:8 row_mask:0xf bank_mask:0xf bound_ctrl:1
	v_cvt_f32_i32_dpp v7, v7 row_shl:8 row_mask:0xf bank_mask:0xf bound_ctrl:1
	v_cvt_f32_i32_dpp v0, v0 row_shr:15 row_mask:0xf bank_mask:0xf bound_ctrl:1
	v_cvt_i32_f32_e32 v8, v8
	v_add_f32_e32 v9, v9, v10
	v_add_f32_e32 v6, v6, v7
	v_cvt_i32_f32_e32 v11, v0
	v_cvt_f32_i32_dpp v8, v8 row_shr:15 row_mask:0xf bank_mask:0xf bound_ctrl:1
	v_cvt_i32_f32_e32 v9, v9
	v_cvt_i32_f32_e32 v6, v6
	v_cvt_f32_i32_dpp v7, v11 row_bcast:15 row_mask:0xf bank_mask:0xf bound_ctrl:1
	v_cvt_i32_f32_e32 v10, v8
	v_cvt_f32_i32_dpp v9, v9 row_shr:15 row_mask:0xf bank_mask:0xf bound_ctrl:1
	v_cvt_f32_i32_dpp v6, v6 row_shr:15 row_mask:0xf bank_mask:0xf bound_ctrl:1
	v_add_f32_e32 v16, v0, v7
	v_cvt_f32_i32_dpp v7, v10 row_bcast:15 row_mask:0xf bank_mask:0xf bound_ctrl:1
	v_cvt_i32_f32_e32 v0, v9
	v_cvt_i32_f32_e32 v10, v6
	;; [unrolled: 1-line block ×3, first 2 shown]
	v_add_f32_e32 v12, v8, v7
	v_cvt_f32_i32_dpp v0, v0 row_bcast:15 row_mask:0xf bank_mask:0xf bound_ctrl:1
	v_cvt_f32_i32_dpp v7, v10 row_bcast:15 row_mask:0xf bank_mask:0xf bound_ctrl:1
	v_cvt_i32_f32_e32 v28, v19
	v_cvt_i32_f32_e32 v23, v18
	v_add_f32_e32 v10, v9, v0
	v_add_f32_e32 v8, v6, v7
	v_cvt_i32_f32_e32 v11, v16
	v_cvt_i32_f32_e32 v13, v12
	;; [unrolled: 1-line block ×4, first 2 shown]
	v_mov_b32_dpp v24, v24 row_bcast:31 row_mask:0xf bank_mask:0xf bound_ctrl:1
	v_mov_b32_dpp v20, v28 row_bcast:31 row_mask:0xf bank_mask:0xf bound_ctrl:1
	;; [unrolled: 1-line block ×7, first 2 shown]
	s_and_saveexec_b64 s[38:39], s[0:1]
	s_cbranch_execz .LBB232_107
; %bb.33:                               ;   in Loop: Header=BB232_12 Depth=1
	s_andn2_b64 vcc, exec, s[30:31]
	v_mov_b32_e32 v41, 0
	v_add_u32_e32 v0, 2, v110
	v_add_u32_e32 v6, 3, v110
	v_mov_b32_e32 v40, 0
	v_mov_b32_e32 v37, 0
	;; [unrolled: 1-line block ×11, first 2 shown]
	s_cbranch_vccnz .LBB232_35
; %bb.34:                               ;   in Loop: Header=BB232_12 Depth=1
	v_mul_hi_u32 v7, v110, v121
	v_mul_lo_u32 v7, v7, s16
	v_sub_u32_e32 v7, v110, v7
	v_subrev_u32_e32 v15, s16, v7
	v_cmp_le_u32_e32 vcc, s16, v7
	v_mov_b32_e32 v33, v1
	v_mov_b32_e32 v29, v1
	v_cndmask_b32_e32 v7, v7, v15, vcc
	v_subrev_u32_e32 v15, s16, v7
	v_cmp_le_u32_e32 vcc, s16, v7
	v_mov_b32_e32 v47, v1
	v_mov_b32_e32 v51, v1
	v_cndmask_b32_e32 v28, v7, v15, vcc
	v_add_u32_e32 v7, 1, v110
	v_mul_hi_u32 v15, v7, v121
	v_mul_lo_u32 v15, v15, s16
	v_sub_u32_e32 v7, v7, v15
	v_subrev_u32_e32 v15, s16, v7
	v_cmp_le_u32_e32 vcc, s16, v7
	v_add_u32_e32 v32, s49, v28
	v_lshl_add_u64 v[58:59], v[32:33], 1, s[22:23]
	v_cndmask_b32_e32 v7, v7, v15, vcc
	v_subrev_u32_e32 v15, s16, v7
	v_cmp_le_u32_e32 vcc, s16, v7
	v_lshl_add_u64 v[44:45], v[28:29], 1, s[22:23]
	v_mov_b32_e32 v55, v1
	v_cndmask_b32_e32 v46, v7, v15, vcc
	v_mul_hi_u32 v7, v0, v121
	v_mul_lo_u32 v7, v7, s16
	v_sub_u32_e32 v7, v0, v7
	v_subrev_u32_e32 v15, s16, v7
	v_cmp_le_u32_e32 vcc, s16, v7
	v_add_u32_e32 v32, s49, v46
	v_lshl_add_u64 v[60:61], v[32:33], 1, s[22:23]
	v_cndmask_b32_e32 v7, v7, v15, vcc
	v_subrev_u32_e32 v15, s16, v7
	v_cmp_le_u32_e32 vcc, s16, v7
	v_lshl_add_u64 v[48:49], v[46:47], 1, s[22:23]
	v_add_u32_e32 v46, s50, v46
	v_cndmask_b32_e32 v50, v7, v15, vcc
	v_mul_hi_u32 v7, v6, v121
	v_mul_lo_u32 v7, v7, s16
	v_sub_u32_e32 v7, v6, v7
	v_subrev_u32_e32 v15, s16, v7
	v_cmp_le_u32_e32 vcc, s16, v7
	v_add_u32_e32 v32, s49, v50
	v_lshl_add_u64 v[62:63], v[32:33], 1, s[22:23]
	v_cndmask_b32_e32 v7, v7, v15, vcc
	v_subrev_u32_e32 v15, s16, v7
	v_cmp_le_u32_e32 vcc, s16, v7
	v_lshl_add_u64 v[52:53], v[50:51], 1, s[22:23]
	v_lshl_add_u64 v[46:47], v[46:47], 1, s[22:23]
	v_cndmask_b32_e32 v54, v7, v15, vcc
	v_add_u32_e32 v32, s49, v54
	v_lshl_add_u64 v[56:57], v[54:55], 1, s[22:23]
	v_lshl_add_u64 v[64:65], v[32:33], 1, s[22:23]
	global_load_ushort v41, v[44:45], off
	global_load_ushort v40, v[48:49], off
	;; [unrolled: 1-line block ×8, first 2 shown]
	v_add_u32_e32 v44, s50, v28
	v_mov_b32_e32 v45, v1
	v_lshl_add_u64 v[44:45], v[44:45], 1, s[22:23]
	v_add_u32_e32 v48, s50, v50
	v_mov_b32_e32 v49, v1
	v_add_u32_e32 v50, s50, v54
	v_lshl_add_u64 v[48:49], v[48:49], 1, s[22:23]
	v_lshl_add_u64 v[50:51], v[50:51], 1, s[22:23]
	global_load_ushort v28, v[44:45], off
	global_load_ushort v25, v[46:47], off
	global_load_ushort v23, v[48:49], off
	global_load_ushort v15, v[50:51], off
.LBB232_35:                             ;   in Loop: Header=BB232_12 Depth=1
	v_cmp_ne_u32_e32 vcc, 0, v2
	s_and_saveexec_b64 s[8:9], vcc
	s_cbranch_execnz .LBB232_47
; %bb.36:                               ;   in Loop: Header=BB232_12 Depth=1
	s_or_b64 exec, exec, s[8:9]
	v_cmp_ne_u32_e64 s[6:7], 0, v3
	s_and_saveexec_b64 s[10:11], s[6:7]
	s_cbranch_execnz .LBB232_52
.LBB232_37:                             ;   in Loop: Header=BB232_12 Depth=1
	s_or_b64 exec, exec, s[10:11]
	v_cmp_ne_u32_e64 s[8:9], 0, v4
	s_and_saveexec_b64 s[12:13], s[8:9]
	s_cbranch_execnz .LBB232_57
.LBB232_38:                             ;   in Loop: Header=BB232_12 Depth=1
	s_or_b64 exec, exec, s[12:13]
	v_cmp_ne_u32_e64 s[10:11], 0, v5
	s_and_saveexec_b64 s[40:41], s[10:11]
	s_cbranch_execnz .LBB232_62
.LBB232_39:                             ;   in Loop: Header=BB232_12 Depth=1
	s_or_b64 exec, exec, s[40:41]
	v_add_u32_e32 v0, s27, v110
	s_and_saveexec_b64 s[40:41], vcc
	s_cbranch_execnz .LBB232_67
.LBB232_40:                             ;   in Loop: Header=BB232_12 Depth=1
	s_or_b64 exec, exec, s[40:41]
	s_and_saveexec_b64 s[40:41], s[6:7]
	s_cbranch_execnz .LBB232_72
.LBB232_41:                             ;   in Loop: Header=BB232_12 Depth=1
	s_or_b64 exec, exec, s[40:41]
	s_and_saveexec_b64 s[40:41], s[8:9]
	s_cbranch_execnz .LBB232_77
.LBB232_42:                             ;   in Loop: Header=BB232_12 Depth=1
	s_or_b64 exec, exec, s[40:41]
	s_and_saveexec_b64 s[40:41], s[10:11]
	s_cbranch_execnz .LBB232_82
.LBB232_43:                             ;   in Loop: Header=BB232_12 Depth=1
	s_or_b64 exec, exec, s[40:41]
	v_add_u32_e32 v0, s27, v0
	s_and_saveexec_b64 s[12:13], vcc
	s_cbranch_execnz .LBB232_87
.LBB232_44:                             ;   in Loop: Header=BB232_12 Depth=1
	s_or_b64 exec, exec, s[12:13]
	s_and_saveexec_b64 s[12:13], s[6:7]
	s_cbranch_execnz .LBB232_92
.LBB232_45:                             ;   in Loop: Header=BB232_12 Depth=1
	s_or_b64 exec, exec, s[12:13]
	s_and_saveexec_b64 s[6:7], s[8:9]
	s_cbranch_execnz .LBB232_97
.LBB232_46:                             ;   in Loop: Header=BB232_12 Depth=1
	s_or_b64 exec, exec, s[6:7]
	s_and_b64 exec, exec, s[10:11]
	s_cbranch_execnz .LBB232_102
	s_branch .LBB232_107
.LBB232_47:                             ;   in Loop: Header=BB232_12 Depth=1
	v_cvt_f32_i32_e32 v39, v39
	s_waitcnt vmcnt(11)
	v_lshlrev_b32_e32 v41, 16, v41
	v_add_f32_e32 v39, v42, v39
	v_add_f32_e32 v41, v39, v41
	v_and_b32_e32 v39, 0x7f800000, v41
	v_cmp_ne_u32_e64 s[6:7], s54, v39
                                        ; implicit-def: $vgpr39
	s_and_saveexec_b64 s[10:11], s[6:7]
	s_xor_b64 s[6:7], exec, s[10:11]
; %bb.48:                               ;   in Loop: Header=BB232_12 Depth=1
	v_bfe_u32 v39, v41, 16, 1
	v_add3_u32 v39, v41, v39, s55
                                        ; implicit-def: $vgpr41
; %bb.49:                               ;   in Loop: Header=BB232_12 Depth=1
	s_andn2_saveexec_b64 s[10:11], s[6:7]
; %bb.50:                               ;   in Loop: Header=BB232_12 Depth=1
	v_or_b32_e32 v39, 0x10000, v41
	v_cmp_eq_u32_sdwa s[6:7], v41, v1 src0_sel:WORD_0 src1_sel:DWORD
	s_nop 1
	v_cndmask_b32_e64 v39, v39, v41, s[6:7]
; %bb.51:                               ;   in Loop: Header=BB232_12 Depth=1
	s_or_b64 exec, exec, s[10:11]
	v_mov_b32_e32 v111, v1
	v_lshl_add_u64 v[42:43], v[110:111], 1, s[14:15]
	global_store_short_d16_hi v[42:43], v39, off
	s_or_b64 exec, exec, s[8:9]
	v_cmp_ne_u32_e64 s[6:7], 0, v3
	s_and_saveexec_b64 s[10:11], s[6:7]
	s_cbranch_execz .LBB232_37
.LBB232_52:                             ;   in Loop: Header=BB232_12 Depth=1
	v_cvt_f32_i32_e32 v36, v36
	v_add_f32_e32 v36, v38, v36
	s_waitcnt vmcnt(10)
	v_lshlrev_b32_e32 v38, 16, v40
	v_add_f32_e32 v38, v36, v38
	v_and_b32_e32 v36, 0x7f800000, v38
	v_cmp_ne_u32_e64 s[8:9], s54, v36
                                        ; implicit-def: $vgpr36
	s_and_saveexec_b64 s[12:13], s[8:9]
	s_xor_b64 s[8:9], exec, s[12:13]
; %bb.53:                               ;   in Loop: Header=BB232_12 Depth=1
	v_bfe_u32 v36, v38, 16, 1
	v_add3_u32 v36, v38, v36, s55
                                        ; implicit-def: $vgpr38
; %bb.54:                               ;   in Loop: Header=BB232_12 Depth=1
	s_andn2_saveexec_b64 s[12:13], s[8:9]
; %bb.55:                               ;   in Loop: Header=BB232_12 Depth=1
	v_or_b32_e32 v36, 0x10000, v38
	v_cmp_eq_u32_sdwa s[8:9], v38, v1 src0_sel:WORD_0 src1_sel:DWORD
	s_nop 1
	v_cndmask_b32_e64 v36, v36, v38, s[8:9]
; %bb.56:                               ;   in Loop: Header=BB232_12 Depth=1
	s_or_b64 exec, exec, s[12:13]
	v_mov_b32_e32 v111, v1
	v_lshl_add_u64 v[38:39], v[110:111], 1, s[34:35]
	global_store_short_d16_hi v[38:39], v36, off
	s_or_b64 exec, exec, s[10:11]
	v_cmp_ne_u32_e64 s[8:9], 0, v4
	s_and_saveexec_b64 s[12:13], s[8:9]
	s_cbranch_execz .LBB232_38
.LBB232_57:                             ;   in Loop: Header=BB232_12 Depth=1
	v_cvt_f32_i32_e32 v35, v35
	v_add_f32_e32 v34, v34, v35
	s_waitcnt vmcnt(9)
	v_lshlrev_b32_e32 v35, 16, v37
	v_add_f32_e32 v35, v34, v35
	v_and_b32_e32 v34, 0x7f800000, v35
	v_cmp_ne_u32_e64 s[10:11], s54, v34
                                        ; implicit-def: $vgpr34
	s_and_saveexec_b64 s[40:41], s[10:11]
	s_xor_b64 s[10:11], exec, s[40:41]
; %bb.58:                               ;   in Loop: Header=BB232_12 Depth=1
	v_bfe_u32 v34, v35, 16, 1
	v_add3_u32 v34, v35, v34, s55
                                        ; implicit-def: $vgpr35
; %bb.59:                               ;   in Loop: Header=BB232_12 Depth=1
	s_andn2_saveexec_b64 s[40:41], s[10:11]
; %bb.60:                               ;   in Loop: Header=BB232_12 Depth=1
	v_or_b32_e32 v34, 0x10000, v35
	v_cmp_eq_u32_sdwa s[10:11], v35, v1 src0_sel:WORD_0 src1_sel:DWORD
	s_nop 1
	v_cndmask_b32_e64 v34, v34, v35, s[10:11]
; %bb.61:                               ;   in Loop: Header=BB232_12 Depth=1
	s_or_b64 exec, exec, s[40:41]
	v_lshl_add_u64 v[36:37], v[0:1], 1, s[14:15]
	global_store_short_d16_hi v[36:37], v34, off
	s_or_b64 exec, exec, s[12:13]
	v_cmp_ne_u32_e64 s[10:11], 0, v5
	s_and_saveexec_b64 s[40:41], s[10:11]
	s_cbranch_execz .LBB232_39
.LBB232_62:                             ;   in Loop: Header=BB232_12 Depth=1
	v_cvt_f32_i32_e32 v0, v27
	s_waitcnt vmcnt(8)
	v_lshlrev_b32_e32 v7, 16, v7
	v_add_f32_e32 v0, v30, v0
	v_add_f32_e32 v7, v0, v7
	v_and_b32_e32 v0, 0x7f800000, v7
	v_cmp_ne_u32_e64 s[12:13], s54, v0
                                        ; implicit-def: $vgpr0
	s_and_saveexec_b64 s[42:43], s[12:13]
	s_xor_b64 s[12:13], exec, s[42:43]
; %bb.63:                               ;   in Loop: Header=BB232_12 Depth=1
	v_bfe_u32 v0, v7, 16, 1
	v_add3_u32 v0, v7, v0, s55
                                        ; implicit-def: $vgpr7
; %bb.64:                               ;   in Loop: Header=BB232_12 Depth=1
	s_andn2_saveexec_b64 s[42:43], s[12:13]
; %bb.65:                               ;   in Loop: Header=BB232_12 Depth=1
	v_or_b32_e32 v0, 0x10000, v7
	v_cmp_eq_u32_sdwa s[12:13], v7, v1 src0_sel:WORD_0 src1_sel:DWORD
	s_nop 1
	v_cndmask_b32_e64 v0, v0, v7, s[12:13]
; %bb.66:                               ;   in Loop: Header=BB232_12 Depth=1
	s_or_b64 exec, exec, s[42:43]
	v_mov_b32_e32 v7, v1
	v_lshl_add_u64 v[6:7], v[6:7], 1, s[14:15]
	global_store_short_d16_hi v[6:7], v0, off
	s_or_b64 exec, exec, s[40:41]
	v_add_u32_e32 v0, s27, v110
	s_and_saveexec_b64 s[40:41], vcc
	s_cbranch_execz .LBB232_40
.LBB232_67:                             ;   in Loop: Header=BB232_12 Depth=1
	v_cvt_f32_i32_e32 v6, v24
	s_waitcnt vmcnt(7)
	v_lshlrev_b32_e32 v7, 16, v33
	v_add_f32_e32 v6, v26, v6
	v_add_f32_e32 v7, v6, v7
	v_and_b32_e32 v6, 0x7f800000, v7
	v_cmp_ne_u32_e64 s[12:13], s54, v6
                                        ; implicit-def: $vgpr6
	s_and_saveexec_b64 s[42:43], s[12:13]
	s_xor_b64 s[12:13], exec, s[42:43]
; %bb.68:                               ;   in Loop: Header=BB232_12 Depth=1
	v_bfe_u32 v6, v7, 16, 1
	v_add3_u32 v6, v7, v6, s55
                                        ; implicit-def: $vgpr7
; %bb.69:                               ;   in Loop: Header=BB232_12 Depth=1
	s_andn2_saveexec_b64 s[42:43], s[12:13]
; %bb.70:                               ;   in Loop: Header=BB232_12 Depth=1
	v_or_b32_e32 v6, 0x10000, v7
	v_cmp_eq_u32_sdwa s[12:13], v7, v1 src0_sel:WORD_0 src1_sel:DWORD
	s_nop 1
	v_cndmask_b32_e64 v6, v6, v7, s[12:13]
; %bb.71:                               ;   in Loop: Header=BB232_12 Depth=1
	s_or_b64 exec, exec, s[42:43]
	v_lshl_add_u64 v[26:27], v[0:1], 1, s[14:15]
	global_store_short_d16_hi v[26:27], v6, off
	s_or_b64 exec, exec, s[40:41]
	s_and_saveexec_b64 s[40:41], s[6:7]
	s_cbranch_execz .LBB232_41
.LBB232_72:                             ;   in Loop: Header=BB232_12 Depth=1
	v_cvt_f32_i32_e32 v6, v21
	s_waitcnt vmcnt(6)
	v_lshlrev_b32_e32 v7, 16, v32
	v_add_f32_e32 v6, v22, v6
	v_add_f32_e32 v7, v6, v7
	v_and_b32_e32 v6, 0x7f800000, v7
	v_cmp_ne_u32_e64 s[12:13], s54, v6
                                        ; implicit-def: $vgpr6
	s_and_saveexec_b64 s[42:43], s[12:13]
	s_xor_b64 s[12:13], exec, s[42:43]
; %bb.73:                               ;   in Loop: Header=BB232_12 Depth=1
	v_bfe_u32 v6, v7, 16, 1
	v_add3_u32 v6, v7, v6, s55
                                        ; implicit-def: $vgpr7
; %bb.74:                               ;   in Loop: Header=BB232_12 Depth=1
	s_andn2_saveexec_b64 s[42:43], s[12:13]
; %bb.75:                               ;   in Loop: Header=BB232_12 Depth=1
	v_or_b32_e32 v6, 0x10000, v7
	v_cmp_eq_u32_sdwa s[12:13], v7, v1 src0_sel:WORD_0 src1_sel:DWORD
	s_nop 1
	v_cndmask_b32_e64 v6, v6, v7, s[12:13]
; %bb.76:                               ;   in Loop: Header=BB232_12 Depth=1
	s_or_b64 exec, exec, s[42:43]
	v_add_u32_e32 v26, 1, v0
	v_mov_b32_e32 v27, v1
	v_lshl_add_u64 v[26:27], v[26:27], 1, s[14:15]
	global_store_short_d16_hi v[26:27], v6, off
	s_or_b64 exec, exec, s[40:41]
	s_and_saveexec_b64 s[40:41], s[8:9]
	s_cbranch_execz .LBB232_42
.LBB232_77:                             ;   in Loop: Header=BB232_12 Depth=1
	v_cvt_f32_i32_e32 v6, v20
	s_waitcnt vmcnt(5)
	v_lshlrev_b32_e32 v7, 16, v31
	v_add_f32_e32 v6, v19, v6
	v_add_f32_e32 v7, v6, v7
	v_and_b32_e32 v6, 0x7f800000, v7
	v_cmp_ne_u32_e64 s[12:13], s54, v6
                                        ; implicit-def: $vgpr6
	s_and_saveexec_b64 s[42:43], s[12:13]
	s_xor_b64 s[12:13], exec, s[42:43]
; %bb.78:                               ;   in Loop: Header=BB232_12 Depth=1
	v_bfe_u32 v6, v7, 16, 1
	v_add3_u32 v6, v7, v6, s55
                                        ; implicit-def: $vgpr7
; %bb.79:                               ;   in Loop: Header=BB232_12 Depth=1
	s_andn2_saveexec_b64 s[42:43], s[12:13]
; %bb.80:                               ;   in Loop: Header=BB232_12 Depth=1
	v_or_b32_e32 v6, 0x10000, v7
	v_cmp_eq_u32_sdwa s[12:13], v7, v1 src0_sel:WORD_0 src1_sel:DWORD
	s_nop 1
	v_cndmask_b32_e64 v6, v6, v7, s[12:13]
; %bb.81:                               ;   in Loop: Header=BB232_12 Depth=1
	s_or_b64 exec, exec, s[42:43]
	v_add_u32_e32 v20, 2, v0
	v_mov_b32_e32 v21, v1
	v_lshl_add_u64 v[20:21], v[20:21], 1, s[14:15]
	global_store_short_d16_hi v[20:21], v6, off
	s_or_b64 exec, exec, s[40:41]
	s_and_saveexec_b64 s[40:41], s[10:11]
	s_cbranch_execz .LBB232_43
.LBB232_82:                             ;   in Loop: Header=BB232_12 Depth=1
	v_cvt_f32_i32_e32 v6, v14
	s_waitcnt vmcnt(4)
	v_lshlrev_b32_e32 v7, 16, v29
	v_add_f32_e32 v6, v18, v6
	v_add_f32_e32 v7, v6, v7
	v_and_b32_e32 v6, 0x7f800000, v7
	v_cmp_ne_u32_e64 s[12:13], s54, v6
                                        ; implicit-def: $vgpr6
	s_and_saveexec_b64 s[42:43], s[12:13]
	s_xor_b64 s[12:13], exec, s[42:43]
; %bb.83:                               ;   in Loop: Header=BB232_12 Depth=1
	v_bfe_u32 v6, v7, 16, 1
	v_add3_u32 v6, v7, v6, s55
                                        ; implicit-def: $vgpr7
; %bb.84:                               ;   in Loop: Header=BB232_12 Depth=1
	s_andn2_saveexec_b64 s[42:43], s[12:13]
; %bb.85:                               ;   in Loop: Header=BB232_12 Depth=1
	v_or_b32_e32 v6, 0x10000, v7
	v_cmp_eq_u32_sdwa s[12:13], v7, v1 src0_sel:WORD_0 src1_sel:DWORD
	s_nop 1
	v_cndmask_b32_e64 v6, v6, v7, s[12:13]
; %bb.86:                               ;   in Loop: Header=BB232_12 Depth=1
	s_or_b64 exec, exec, s[42:43]
	v_add_u32_e32 v18, 3, v0
	v_mov_b32_e32 v19, v1
	v_lshl_add_u64 v[18:19], v[18:19], 1, s[14:15]
	global_store_short_d16_hi v[18:19], v6, off
	s_or_b64 exec, exec, s[40:41]
	v_add_u32_e32 v0, s27, v0
	s_and_saveexec_b64 s[12:13], vcc
	s_cbranch_execz .LBB232_44
.LBB232_87:                             ;   in Loop: Header=BB232_12 Depth=1
	v_cvt_f32_i32_e32 v6, v17
	s_waitcnt vmcnt(3)
	v_lshlrev_b32_e32 v7, 16, v28
	v_add_f32_e32 v6, v16, v6
	v_add_f32_e32 v7, v6, v7
	v_and_b32_e32 v6, 0x7f800000, v7
	v_cmp_ne_u32_e32 vcc, s54, v6
                                        ; implicit-def: $vgpr6
	s_and_saveexec_b64 s[40:41], vcc
	s_xor_b64 s[40:41], exec, s[40:41]
; %bb.88:                               ;   in Loop: Header=BB232_12 Depth=1
	v_bfe_u32 v6, v7, 16, 1
	v_add3_u32 v6, v7, v6, s55
                                        ; implicit-def: $vgpr7
; %bb.89:                               ;   in Loop: Header=BB232_12 Depth=1
	s_andn2_saveexec_b64 s[40:41], s[40:41]
; %bb.90:                               ;   in Loop: Header=BB232_12 Depth=1
	v_or_b32_e32 v6, 0x10000, v7
	v_cmp_eq_u32_sdwa vcc, v7, v1 src0_sel:WORD_0 src1_sel:DWORD
	s_nop 1
	v_cndmask_b32_e32 v6, v6, v7, vcc
; %bb.91:                               ;   in Loop: Header=BB232_12 Depth=1
	s_or_b64 exec, exec, s[40:41]
	v_lshl_add_u64 v[16:17], v[0:1], 1, s[14:15]
	global_store_short_d16_hi v[16:17], v6, off
	s_or_b64 exec, exec, s[12:13]
	s_and_saveexec_b64 s[12:13], s[6:7]
	s_cbranch_execz .LBB232_45
.LBB232_92:                             ;   in Loop: Header=BB232_12 Depth=1
	v_cvt_f32_i32_e32 v6, v13
	s_waitcnt vmcnt(2)
	v_lshlrev_b32_e32 v7, 16, v25
	v_add_f32_e32 v6, v12, v6
	v_add_f32_e32 v7, v6, v7
	v_and_b32_e32 v6, 0x7f800000, v7
	v_cmp_ne_u32_e32 vcc, s54, v6
                                        ; implicit-def: $vgpr6
	s_and_saveexec_b64 s[6:7], vcc
	s_xor_b64 s[6:7], exec, s[6:7]
; %bb.93:                               ;   in Loop: Header=BB232_12 Depth=1
	v_bfe_u32 v6, v7, 16, 1
	v_add3_u32 v6, v7, v6, s55
                                        ; implicit-def: $vgpr7
; %bb.94:                               ;   in Loop: Header=BB232_12 Depth=1
	s_andn2_saveexec_b64 s[6:7], s[6:7]
; %bb.95:                               ;   in Loop: Header=BB232_12 Depth=1
	v_or_b32_e32 v6, 0x10000, v7
	v_cmp_eq_u32_sdwa vcc, v7, v1 src0_sel:WORD_0 src1_sel:DWORD
	s_nop 1
	v_cndmask_b32_e32 v6, v6, v7, vcc
; %bb.96:                               ;   in Loop: Header=BB232_12 Depth=1
	s_or_b64 exec, exec, s[6:7]
	v_add_u32_e32 v12, 1, v0
	v_mov_b32_e32 v13, v1
	v_lshl_add_u64 v[12:13], v[12:13], 1, s[14:15]
	global_store_short_d16_hi v[12:13], v6, off
	s_or_b64 exec, exec, s[12:13]
	s_and_saveexec_b64 s[6:7], s[8:9]
	s_cbranch_execz .LBB232_46
.LBB232_97:                             ;   in Loop: Header=BB232_12 Depth=1
	v_cvt_f32_i32_e32 v6, v11
	s_waitcnt vmcnt(1)
	v_lshlrev_b32_e32 v7, 16, v23
	v_add_f32_e32 v6, v10, v6
	v_add_f32_e32 v7, v6, v7
	v_and_b32_e32 v6, 0x7f800000, v7
	v_cmp_ne_u32_e32 vcc, s54, v6
                                        ; implicit-def: $vgpr6
	s_and_saveexec_b64 s[8:9], vcc
	s_xor_b64 s[8:9], exec, s[8:9]
; %bb.98:                               ;   in Loop: Header=BB232_12 Depth=1
	v_bfe_u32 v6, v7, 16, 1
	v_add3_u32 v6, v7, v6, s55
                                        ; implicit-def: $vgpr7
; %bb.99:                               ;   in Loop: Header=BB232_12 Depth=1
	s_andn2_saveexec_b64 s[8:9], s[8:9]
; %bb.100:                              ;   in Loop: Header=BB232_12 Depth=1
	v_or_b32_e32 v6, 0x10000, v7
	v_cmp_eq_u32_sdwa vcc, v7, v1 src0_sel:WORD_0 src1_sel:DWORD
	s_nop 1
	v_cndmask_b32_e32 v6, v6, v7, vcc
; %bb.101:                              ;   in Loop: Header=BB232_12 Depth=1
	s_or_b64 exec, exec, s[8:9]
	v_add_u32_e32 v10, 2, v0
	v_mov_b32_e32 v11, v1
	v_lshl_add_u64 v[10:11], v[10:11], 1, s[14:15]
	global_store_short_d16_hi v[10:11], v6, off
	s_or_b64 exec, exec, s[6:7]
	s_and_b64 exec, exec, s[10:11]
	s_cbranch_execz .LBB232_107
.LBB232_102:                            ;   in Loop: Header=BB232_12 Depth=1
	v_cvt_f32_i32_e32 v6, v9
	s_waitcnt vmcnt(0)
	v_lshlrev_b32_e32 v7, 16, v15
	v_add_f32_e32 v6, v8, v6
	v_add_f32_e32 v7, v6, v7
	v_and_b32_e32 v6, 0x7f800000, v7
	v_cmp_ne_u32_e32 vcc, s54, v6
                                        ; implicit-def: $vgpr6
	s_and_saveexec_b64 s[6:7], vcc
	s_xor_b64 s[6:7], exec, s[6:7]
; %bb.103:                              ;   in Loop: Header=BB232_12 Depth=1
	v_bfe_u32 v6, v7, 16, 1
	v_add3_u32 v6, v7, v6, s55
                                        ; implicit-def: $vgpr7
; %bb.104:                              ;   in Loop: Header=BB232_12 Depth=1
	s_andn2_saveexec_b64 s[6:7], s[6:7]
; %bb.105:                              ;   in Loop: Header=BB232_12 Depth=1
	v_or_b32_e32 v6, 0x10000, v7
	v_cmp_eq_u32_sdwa vcc, v7, v1 src0_sel:WORD_0 src1_sel:DWORD
	s_nop 1
	v_cndmask_b32_e32 v6, v6, v7, vcc
; %bb.106:                              ;   in Loop: Header=BB232_12 Depth=1
	s_or_b64 exec, exec, s[6:7]
	v_add_u32_e32 v0, 3, v0
	v_lshl_add_u64 v[8:9], v[0:1], 1, s[14:15]
	global_store_short_d16_hi v[8:9], v6, off
.LBB232_107:                            ;   in Loop: Header=BB232_12 Depth=1
	s_or_b64 exec, exec, s[38:39]
	v_add_u32_e32 v110, s48, v110
	v_add_u32_e32 v0, 4, v110
	v_cmp_gt_u32_e32 vcc, s27, v110
	v_cmp_le_u32_e64 s[6:7], s27, v0
	s_and_b64 s[6:7], vcc, s[6:7]
	s_and_saveexec_b64 s[8:9], s[6:7]
	s_cbranch_execz .LBB232_10
; %bb.108:                              ;   in Loop: Header=BB232_12 Depth=1
	v_cmp_ne_u32_e32 vcc, s17, v110
	s_and_saveexec_b64 s[10:11], vcc
	s_cbranch_execz .LBB232_9
; %bb.109:                              ;   in Loop: Header=BB232_12 Depth=1
	v_subrev_u32_e32 v0, s17, v110
	v_cmp_lt_u32_e32 vcc, 1, v0
	s_mov_b64 s[12:13], 0
	s_mov_b64 s[38:39], 0
	v_cndmask_b32_e32 v0, 1, v0, vcc
.LBB232_110:                            ;   Parent Loop BB232_12 Depth=1
                                        ; =>  This Inner Loop Header: Depth=2
	s_cmp_lg_u32 s38, 3
	s_cselect_b64 vcc, -1, 0
	s_cmp_lg_u32 s38, 2
	v_cndmask_b32_e32 v5, 0, v5, vcc
	s_cselect_b64 vcc, -1, 0
	s_cmp_lg_u32 s38, 1
	v_cndmask_b32_e32 v4, 0, v4, vcc
	;; [unrolled: 3-line block ×3, first 2 shown]
	s_cselect_b64 vcc, -1, 0
	s_add_u32 s38, s38, 1
	s_addc_u32 s39, s39, 0
	v_cmp_eq_u32_e64 s[6:7], s38, v0
	s_or_b64 s[12:13], s[6:7], s[12:13]
	v_cndmask_b32_e32 v2, 0, v2, vcc
	s_andn2_b64 exec, exec, s[12:13]
	s_cbranch_execnz .LBB232_110
; %bb.111:                              ;   in Loop: Header=BB232_12 Depth=1
	s_or_b64 exec, exec, s[12:13]
	s_branch .LBB232_9
.LBB232_112:
	s_endpgm
	.section	.rodata,"a",@progbits
	.p2align	6, 0x0
	.amdhsa_kernel _Z16wvSplitK_hf_big_I14__hip_bfloat16Li32ELi4ELi16ELi8ELi2ELi3EEviiiiiiPKT_S3_S3_PS1_ii
		.amdhsa_group_segment_fixed_size 65536
		.amdhsa_private_segment_fixed_size 0
		.amdhsa_kernarg_size 64
		.amdhsa_user_sgpr_count 2
		.amdhsa_user_sgpr_dispatch_ptr 0
		.amdhsa_user_sgpr_queue_ptr 0
		.amdhsa_user_sgpr_kernarg_segment_ptr 1
		.amdhsa_user_sgpr_dispatch_id 0
		.amdhsa_user_sgpr_kernarg_preload_length 0
		.amdhsa_user_sgpr_kernarg_preload_offset 0
		.amdhsa_user_sgpr_private_segment_size 0
		.amdhsa_uses_dynamic_stack 0
		.amdhsa_enable_private_segment 0
		.amdhsa_system_sgpr_workgroup_id_x 1
		.amdhsa_system_sgpr_workgroup_id_y 0
		.amdhsa_system_sgpr_workgroup_id_z 0
		.amdhsa_system_sgpr_workgroup_info 0
		.amdhsa_system_vgpr_workitem_id 1
		.amdhsa_next_free_vgpr 128
		.amdhsa_next_free_sgpr 56
		.amdhsa_accum_offset 128
		.amdhsa_reserve_vcc 1
		.amdhsa_float_round_mode_32 0
		.amdhsa_float_round_mode_16_64 0
		.amdhsa_float_denorm_mode_32 3
		.amdhsa_float_denorm_mode_16_64 3
		.amdhsa_dx10_clamp 1
		.amdhsa_ieee_mode 1
		.amdhsa_fp16_overflow 0
		.amdhsa_tg_split 0
		.amdhsa_exception_fp_ieee_invalid_op 0
		.amdhsa_exception_fp_denorm_src 0
		.amdhsa_exception_fp_ieee_div_zero 0
		.amdhsa_exception_fp_ieee_overflow 0
		.amdhsa_exception_fp_ieee_underflow 0
		.amdhsa_exception_fp_ieee_inexact 0
		.amdhsa_exception_int_div_zero 0
	.end_amdhsa_kernel
	.section	.text._Z16wvSplitK_hf_big_I14__hip_bfloat16Li32ELi4ELi16ELi8ELi2ELi3EEviiiiiiPKT_S3_S3_PS1_ii,"axG",@progbits,_Z16wvSplitK_hf_big_I14__hip_bfloat16Li32ELi4ELi16ELi8ELi2ELi3EEviiiiiiPKT_S3_S3_PS1_ii,comdat
.Lfunc_end232:
	.size	_Z16wvSplitK_hf_big_I14__hip_bfloat16Li32ELi4ELi16ELi8ELi2ELi3EEviiiiiiPKT_S3_S3_PS1_ii, .Lfunc_end232-_Z16wvSplitK_hf_big_I14__hip_bfloat16Li32ELi4ELi16ELi8ELi2ELi3EEviiiiiiPKT_S3_S3_PS1_ii
                                        ; -- End function
	.section	.AMDGPU.csdata,"",@progbits
; Kernel info:
; codeLenInByte = 6296
; NumSgprs: 62
; NumVgprs: 128
; NumAgprs: 0
; TotalNumVgprs: 128
; ScratchSize: 0
; MemoryBound: 0
; FloatMode: 240
; IeeeMode: 1
; LDSByteSize: 65536 bytes/workgroup (compile time only)
; SGPRBlocks: 7
; VGPRBlocks: 15
; NumSGPRsForWavesPerEU: 62
; NumVGPRsForWavesPerEU: 128
; AccumOffset: 128
; Occupancy: 2
; WaveLimiterHint : 0
; COMPUTE_PGM_RSRC2:SCRATCH_EN: 0
; COMPUTE_PGM_RSRC2:USER_SGPR: 2
; COMPUTE_PGM_RSRC2:TRAP_HANDLER: 0
; COMPUTE_PGM_RSRC2:TGID_X_EN: 1
; COMPUTE_PGM_RSRC2:TGID_Y_EN: 0
; COMPUTE_PGM_RSRC2:TGID_Z_EN: 0
; COMPUTE_PGM_RSRC2:TIDIG_COMP_CNT: 1
; COMPUTE_PGM_RSRC3_GFX90A:ACCUM_OFFSET: 31
; COMPUTE_PGM_RSRC3_GFX90A:TG_SPLIT: 0
	.section	.text._Z16wvSplitK_hf_sml_I14__hip_bfloat16Li64ELi1ELi16ELi8ELi4ELi3EEviiiiiiPKT_S3_S3_PS1_ii,"axG",@progbits,_Z16wvSplitK_hf_sml_I14__hip_bfloat16Li64ELi1ELi16ELi8ELi4ELi3EEviiiiiiPKT_S3_S3_PS1_ii,comdat
	.protected	_Z16wvSplitK_hf_sml_I14__hip_bfloat16Li64ELi1ELi16ELi8ELi4ELi3EEviiiiiiPKT_S3_S3_PS1_ii ; -- Begin function _Z16wvSplitK_hf_sml_I14__hip_bfloat16Li64ELi1ELi16ELi8ELi4ELi3EEviiiiiiPKT_S3_S3_PS1_ii
	.globl	_Z16wvSplitK_hf_sml_I14__hip_bfloat16Li64ELi1ELi16ELi8ELi4ELi3EEviiiiiiPKT_S3_S3_PS1_ii
	.p2align	8
	.type	_Z16wvSplitK_hf_sml_I14__hip_bfloat16Li64ELi1ELi16ELi8ELi4ELi3EEviiiiiiPKT_S3_S3_PS1_ii,@function
_Z16wvSplitK_hf_sml_I14__hip_bfloat16Li64ELi1ELi16ELi8ELi4ELi3EEviiiiiiPKT_S3_S3_PS1_ii: ; @_Z16wvSplitK_hf_sml_I14__hip_bfloat16Li64ELi1ELi16ELi8ELi4ELi3EEviiiiiiPKT_S3_S3_PS1_ii
; %bb.0:
	s_load_dwordx4 s[4:7], s[0:1], 0x0
	s_load_dwordx2 s[8:9], s[0:1], 0x10
	s_load_dwordx2 s[10:11], s[0:1], 0x28
	v_and_b32_e32 v2, 0x3ff, v0
	v_bfe_u32 v3, v0, 10, 10
	v_lshlrev_b32_e32 v82, 3, v2
	s_waitcnt lgkmcnt(0)
	s_mul_i32 s3, s6, 3
	v_lshl_add_u32 v4, v3, 9, v82
	s_min_u32 s3, s3, 0x8000
	v_cmp_gt_u32_e32 vcc, s3, v4
	s_and_saveexec_b64 s[12:13], vcc
	s_cbranch_execz .LBB233_3
; %bb.1:
	s_load_dwordx2 s[14:15], s[0:1], 0x20
	v_mov_b32_e32 v7, 0
	v_lshlrev_b32_e32 v6, 10, v3
	v_lshlrev_b32_e32 v8, 4, v2
	v_mov_b32_e32 v9, v7
	v_lshl_add_u64 v[0:1], v[6:7], 0, v[8:9]
	s_waitcnt lgkmcnt(0)
	v_lshl_add_u64 v[0:1], s[14:15], 0, v[0:1]
	v_add_u32_e32 v5, v6, v8
	s_mov_b64 s[14:15], 0
	s_mov_b64 s[16:17], 0x4000
.LBB233_2:                              ; =>This Inner Loop Header: Depth=1
	global_load_dwordx4 v[6:9], v[0:1], off
	v_add_u32_e32 v4, 0x2000, v4
	v_cmp_le_u32_e32 vcc, s3, v4
	v_lshl_add_u64 v[0:1], v[0:1], 0, s[16:17]
	s_or_b64 s[14:15], vcc, s[14:15]
	s_waitcnt vmcnt(0)
	ds_write_b128 v5, v[6:9]
	v_add_u32_e32 v5, 0x4000, v5
	s_andn2_b64 exec, exec, s[14:15]
	s_cbranch_execnz .LBB233_2
.LBB233_3:
	s_or_b64 exec, exec, s[12:13]
	s_load_dwordx2 s[20:21], s[0:1], 0x38
	s_waitcnt lgkmcnt(0)
	s_barrier
	v_cmp_gt_u32_e32 vcc, s20, v3
	s_and_saveexec_b64 s[12:13], vcc
	s_cbranch_execz .LBB233_34
; %bb.4:
	s_mul_i32 s2, s2, s20
	v_add_u32_e32 v60, s2, v3
	v_cmp_gt_u32_e32 vcc, s7, v60
	s_and_b64 exec, exec, vcc
	s_cbranch_execz .LBB233_34
; %bb.5:
	s_cmp_lg_u32 s4, 0
	s_cselect_b64 s[2:3], -1, 0
	s_add_i32 s28, s4, -8
	s_add_i32 s29, s7, -1
	s_cmp_lg_u64 s[10:11], 0
	s_cselect_b64 s[18:19], -1, 0
	s_abs_i32 s22, s9
	v_cvt_f32_u32_e32 v0, s8
	v_cvt_f32_u32_e32 v1, s22
	s_mul_i32 s9, s21, s20
	s_sub_i32 s20, 0, s8
	v_rcp_iflag_f32_e32 v0, v0
	v_rcp_iflag_f32_e32 v1, v1
	s_load_dwordx2 s[12:13], s[0:1], 0x18
	s_load_dwordx2 s[14:15], s[0:1], 0x30
	v_cmp_eq_u32_e64 s[0:1], 63, v2
	v_mul_f32_e32 v0, 0x4f7ffffe, v0
	v_mul_f32_e32 v1, 0x4f7ffffe, v1
	v_cvt_u32_f32_e32 v0, v0
	v_cvt_u32_f32_e32 v1, v1
	s_mov_b64 s[16:17], 0
	v_mov_b32_e32 v63, 0
	v_mul_lo_u32 v3, s20, v0
	s_sub_i32 s20, 0, s22
	v_readfirstlane_b32 s21, v1
	s_mul_i32 s20, s20, s21
	s_mul_hi_u32 s20, s21, s20
	s_add_i32 s21, s21, s20
	s_sub_i32 s20, 1, s22
	s_cmp_lt_u32 s22, 2
	s_cselect_b32 s20, s20, 1
	s_sub_i32 s23, s20, s22
	s_cmp_ge_u32 s20, s22
	s_cselect_b32 s30, s23, s20
	s_lshr_b32 s20, s21, 31
	s_mul_i32 s20, s20, s22
	s_sub_i32 s20, 2, s20
	s_sub_i32 s21, s20, s22
	s_cmp_ge_u32 s20, s22
	s_cselect_b32 s20, s21, s20
	s_sub_i32 s21, s20, s22
	v_mul_hi_u32 v3, v0, v3
	s_cmp_ge_u32 s20, s22
	v_add_u32_e32 v83, v0, v3
	s_cselect_b32 s31, s21, s20
	v_cndmask_b32_e64 v0, 0, 1, s[2:3]
	s_mul_i32 s30, s30, s8
	s_mul_i32 s31, s31, s8
	s_lshl_b32 s33, s6, 2
	v_lshlrev_b32_e32 v84, 4, v2
	s_lshl_b32 s6, s6, 1
	v_cmp_ne_u32_e64 s[2:3], 1, v0
	s_mov_b32 s34, 0x7f800000
	s_movk_i32 s35, 0x7fff
	s_branch .LBB233_8
.LBB233_6:                              ;   in Loop: Header=BB233_8 Depth=1
	s_or_b64 exec, exec, s[22:23]
	v_add_u32_e32 v62, s7, v62
	v_lshl_add_u64 v[2:3], v[62:63], 1, s[14:15]
	global_store_short_d16_hi v[2:3], v0, off
.LBB233_7:                              ;   in Loop: Header=BB233_8 Depth=1
	s_or_b64 exec, exec, s[20:21]
	v_add_u32_e32 v60, s9, v60
	v_cmp_le_u32_e32 vcc, s7, v60
	s_or_b64 s[16:17], vcc, s[16:17]
	s_andn2_b64 exec, exec, s[16:17]
	s_cbranch_execz .LBB233_34
.LBB233_8:                              ; =>This Loop Header: Depth=1
                                        ;     Child Loop BB233_14 Depth 2
	s_and_b64 vcc, exec, s[2:3]
	v_mov_b32_e32 v3, v63
	v_mov_b32_e32 v2, v63
	v_mov_b32_e32 v1, v63
	v_mov_b32_e32 v0, v63
	v_mov_b32_e32 v7, v63
	v_mov_b32_e32 v6, v63
	v_mov_b32_e32 v5, v63
	v_mov_b32_e32 v4, v63
	v_mov_b32_e32 v11, v63
	v_mov_b32_e32 v10, v63
	v_mov_b32_e32 v9, v63
	v_mov_b32_e32 v8, v63
	s_cbranch_vccnz .LBB233_19
; %bb.9:                                ;   in Loop: Header=BB233_8 Depth=1
	v_min_u32_e32 v0, s29, v60
	v_mul_lo_u32 v62, v0, s5
	v_mov_b32_e32 v8, 0
	s_waitcnt lgkmcnt(0)
	v_lshl_add_u64 v[64:65], v[62:63], 1, s[12:13]
	s_mov_b32 s36, 0
	v_mov_b32_e32 v61, v84
	v_mov_b32_e32 v9, v8
	;; [unrolled: 1-line block ×12, first 2 shown]
	s_branch .LBB233_14
.LBB233_10:                             ;   in Loop: Header=BB233_14 Depth=2
	s_or_b64 exec, exec, s[26:27]
.LBB233_11:                             ;   in Loop: Header=BB233_14 Depth=2
	s_or_b64 exec, exec, s[24:25]
.LBB233_12:                             ;   in Loop: Header=BB233_14 Depth=2
	s_or_b64 exec, exec, s[22:23]
.LBB233_13:                             ;   in Loop: Header=BB233_14 Depth=2
	s_or_b64 exec, exec, s[20:21]
	s_waitcnt vmcnt(3) lgkmcnt(1)
	v_mfma_f32_4x4x4_16b_bf16 v[8:11], v[48:49], v[24:25], v[8:11]
	s_addk_i32 s36, 0x800
	v_mfma_f32_4x4x4_16b_bf16 v[4:7], v[28:29], v[24:25], v[4:7]
	v_add_u32_e32 v61, 0x1000, v61
	v_mfma_f32_4x4x4_16b_bf16 v[0:3], v[68:69], v[24:25], v[0:3]
	s_cmp_ge_u32 s36, s4
	v_mfma_f32_4x4x4_16b_bf16 v[8:11], v[50:51], v[26:27], v[8:11]
	v_mfma_f32_4x4x4_16b_bf16 v[4:7], v[30:31], v[26:27], v[4:7]
	s_waitcnt lgkmcnt(0)
	v_mfma_f32_4x4x4_16b_bf16 v[0:3], v[66:67], v[26:27], v[0:3]
	s_waitcnt vmcnt(2)
	v_mfma_f32_4x4x4_16b_bf16 v[8:11], v[44:45], v[16:17], v[8:11]
	v_mfma_f32_4x4x4_16b_bf16 v[4:7], v[32:33], v[16:17], v[4:7]
	v_mfma_f32_4x4x4_16b_bf16 v[0:3], v[72:73], v[16:17], v[0:3]
	v_mfma_f32_4x4x4_16b_bf16 v[8:11], v[46:47], v[18:19], v[8:11]
	v_mfma_f32_4x4x4_16b_bf16 v[4:7], v[34:35], v[18:19], v[4:7]
	v_mfma_f32_4x4x4_16b_bf16 v[0:3], v[74:75], v[18:19], v[0:3]
	s_waitcnt vmcnt(1)
	v_mfma_f32_4x4x4_16b_bf16 v[8:11], v[40:41], v[20:21], v[8:11]
	v_mfma_f32_4x4x4_16b_bf16 v[4:7], v[36:37], v[20:21], v[4:7]
	v_mfma_f32_4x4x4_16b_bf16 v[0:3], v[76:77], v[20:21], v[0:3]
	v_mfma_f32_4x4x4_16b_bf16 v[8:11], v[42:43], v[22:23], v[8:11]
	v_mfma_f32_4x4x4_16b_bf16 v[4:7], v[38:39], v[22:23], v[4:7]
	;; [unrolled: 7-line block ×3, first 2 shown]
	v_mfma_f32_4x4x4_16b_bf16 v[0:3], v[70:71], v[14:15], v[0:3]
	s_cbranch_scc1 .LBB233_19
.LBB233_14:                             ;   Parent Loop BB233_8 Depth=1
                                        ; =>  This Inner Loop Header: Depth=2
	v_add_u32_e32 v32, s36, v82
	v_min_u32_e32 v62, s28, v32
	v_add_u32_e32 v88, 0x200, v32
	v_lshl_add_u64 v[12:13], v[62:63], 1, v[64:65]
	v_min_u32_e32 v62, s28, v88
	v_add_u32_e32 v86, 0x400, v32
	v_lshl_add_u64 v[14:15], v[62:63], 1, v[64:65]
	;; [unrolled: 3-line block ×3, first 2 shown]
	v_min_u32_e32 v62, s28, v85
	global_load_dwordx4 v[24:27], v[12:13], off nt
	global_load_dwordx4 v[16:19], v[14:15], off nt
	v_lshl_add_u64 v[30:31], v[62:63], 1, v[64:65]
	global_load_dwordx4 v[20:23], v[28:29], off nt
	global_load_dwordx4 v[12:15], v[30:31], off nt
	v_cmp_gt_u32_e32 vcc, s4, v32
	v_mov_b32_e32 v80, 0
	v_mov_b32_e32 v81, 0
	;; [unrolled: 1-line block ×48, first 2 shown]
	s_and_saveexec_b64 s[20:21], vcc
	s_cbranch_execz .LBB233_13
; %bb.15:                               ;   in Loop: Header=BB233_14 Depth=2
	v_add_u32_e32 v62, s6, v61
	v_add_u32_e32 v87, s33, v61
	ds_read_b128 v[28:31], v62
	ds_read2_b32 v[68:69], v87 offset1:1
	ds_read_b128 v[48:51], v61
	ds_read2_b32 v[66:67], v87 offset0:2 offset1:3
	v_cmp_gt_u32_e32 vcc, s4, v88
	v_mov_b32_e32 v71, 0
	v_mov_b32_e32 v70, 0
	;; [unrolled: 1-line block ×36, first 2 shown]
	s_and_saveexec_b64 s[22:23], vcc
	s_cbranch_execz .LBB233_12
; %bb.16:                               ;   in Loop: Header=BB233_14 Depth=2
	v_add_u32_e32 v36, 0x400, v87
	ds_read_b128 v[32:35], v62 offset:1024
	ds_read2_b32 v[72:73], v36 offset1:1
	v_add_u32_e32 v36, 0x408, v87
	ds_read_b128 v[44:47], v61 offset:1024
	ds_read2_b32 v[74:75], v36 offset1:1
	v_cmp_gt_u32_e32 vcc, s4, v86
	v_mov_b32_e32 v71, 0
	v_mov_b32_e32 v70, 0
	;; [unrolled: 1-line block ×24, first 2 shown]
	s_and_saveexec_b64 s[24:25], vcc
	s_cbranch_execz .LBB233_11
; %bb.17:                               ;   in Loop: Header=BB233_14 Depth=2
	v_add_u32_e32 v40, 0x800, v87
	ds_read_b128 v[36:39], v62 offset:2048
	ds_read2_b32 v[76:77], v40 offset1:1
	v_add_u32_e32 v52, 0x808, v87
	ds_read_b128 v[40:43], v61 offset:2048
	ds_read2_b32 v[78:79], v52 offset1:1
	v_cmp_gt_u32_e32 vcc, s4, v85
	v_mov_b32_e32 v71, 0
	v_mov_b32_e32 v70, 0
	;; [unrolled: 1-line block ×12, first 2 shown]
	s_and_saveexec_b64 s[26:27], vcc
	s_cbranch_execz .LBB233_10
; %bb.18:                               ;   in Loop: Header=BB233_14 Depth=2
	v_add_u32_e32 v52, 0xc00, v87
	ds_read_b128 v[56:59], v62 offset:3072
	ds_read2_b32 v[80:81], v52 offset1:1
	v_add_u32_e32 v62, 0xc08, v87
	ds_read_b128 v[52:55], v61 offset:3072
	ds_read2_b32 v[70:71], v62 offset1:1
	s_branch .LBB233_10
.LBB233_19:                             ;   in Loop: Header=BB233_8 Depth=1
	; sched_barrier mask(0x00000000)
	s_nop 1
	v_cvt_i32_f32_e32 v9, v9
	v_cvt_i32_f32_e32 v10, v10
	;; [unrolled: 1-line block ×4, first 2 shown]
	v_cvt_f32_i32_dpp v9, v9 row_shl:1 row_mask:0xf bank_mask:0xf bound_ctrl:1
	v_cvt_i32_f32_e32 v1, v1
	v_cvt_f32_i32_dpp v10, v10 row_shl:2 row_mask:0xf bank_mask:0xf bound_ctrl:1
	v_cvt_i32_f32_e32 v6, v6
	v_cvt_i32_f32_e32 v2, v2
	v_cvt_f32_i32_dpp v11, v11 row_shl:3 row_mask:0xf bank_mask:0xf bound_ctrl:1
	v_cvt_i32_f32_e32 v7, v7
	v_cvt_i32_f32_e32 v3, v3
	v_add_f32_e32 v8, v8, v9
	v_cvt_f32_i32_dpp v5, v5 row_shl:1 row_mask:0xf bank_mask:0xf bound_ctrl:1
	v_cvt_f32_i32_dpp v1, v1 row_shl:1 row_mask:0xf bank_mask:0xf bound_ctrl:1
	v_add_f32_e32 v8, v8, v10
	v_cvt_f32_i32_dpp v6, v6 row_shl:2 row_mask:0xf bank_mask:0xf bound_ctrl:1
	v_cvt_f32_i32_dpp v2, v2 row_shl:2 row_mask:0xf bank_mask:0xf bound_ctrl:1
	;; [unrolled: 3-line block ×3, first 2 shown]
	v_cvt_i32_f32_e32 v9, v8
	v_add_f32_e32 v4, v4, v5
	v_add_f32_e32 v0, v0, v1
	;; [unrolled: 1-line block ×6, first 2 shown]
	v_cvt_f32_i32_dpp v9, v9 row_shl:4 row_mask:0xf bank_mask:0xf bound_ctrl:1
	v_cvt_i32_f32_e32 v7, v4
	v_cvt_i32_f32_e32 v1, v0
	v_add_f32_e32 v5, v8, v9
	v_cvt_f32_i32_dpp v3, v7 row_shl:4 row_mask:0xf bank_mask:0xf bound_ctrl:1
	v_cvt_f32_i32_dpp v1, v1 row_shl:4 row_mask:0xf bank_mask:0xf bound_ctrl:1
	v_cvt_i32_f32_e32 v6, v5
	v_add_f32_e32 v3, v4, v3
	v_add_f32_e32 v0, v0, v1
	v_cvt_f32_i32_dpp v2, v6 row_shl:8 row_mask:0xf bank_mask:0xf bound_ctrl:1
	v_cvt_i32_f32_e32 v4, v3
	v_cvt_i32_f32_e32 v1, v0
	v_add_f32_e32 v2, v5, v2
	v_cvt_f32_i32_dpp v4, v4 row_shl:8 row_mask:0xf bank_mask:0xf bound_ctrl:1
	v_cvt_f32_i32_dpp v1, v1 row_shl:8 row_mask:0xf bank_mask:0xf bound_ctrl:1
	v_cvt_i32_f32_e32 v2, v2
	v_add_f32_e32 v3, v3, v4
	v_add_f32_e32 v0, v0, v1
	v_cvt_f32_i32_dpp v2, v2 row_shr:15 row_mask:0xf bank_mask:0xf bound_ctrl:1
	v_cvt_i32_f32_e32 v3, v3
	v_cvt_i32_f32_e32 v0, v0
	s_nop 0
	v_cvt_f32_i32_dpp v1, v3 row_shr:15 row_mask:0xf bank_mask:0xf bound_ctrl:1
	v_cvt_i32_f32_e32 v3, v2
	v_cvt_f32_i32_dpp v0, v0 row_shr:15 row_mask:0xf bank_mask:0xf bound_ctrl:1
	v_cvt_i32_f32_e32 v4, v1
	v_cvt_f32_i32_dpp v3, v3 row_bcast:15 row_mask:0xf bank_mask:0xf bound_ctrl:1
	v_cvt_i32_f32_e32 v6, v0
	v_cvt_f32_i32_dpp v4, v4 row_bcast:15 row_mask:0xf bank_mask:0xf bound_ctrl:1
	v_add_f32_e32 v5, v2, v3
	v_cvt_f32_i32_dpp v3, v6 row_bcast:15 row_mask:0xf bank_mask:0xf bound_ctrl:1
	v_cvt_i32_f32_e32 v6, v5
	v_add_f32_e32 v2, v1, v4
	v_cvt_i32_f32_e32 v1, v2
	v_add_f32_e32 v0, v0, v3
	v_cvt_i32_f32_e32 v3, v0
	v_mov_b32_dpp v7, v6 row_bcast:31 row_mask:0xf bank_mask:0xf bound_ctrl:1
	v_mov_b32_dpp v4, v1 row_bcast:31 row_mask:0xf bank_mask:0xf bound_ctrl:1
	;; [unrolled: 1-line block ×3, first 2 shown]
	s_and_saveexec_b64 s[20:21], s[0:1]
	s_cbranch_execz .LBB233_7
; %bb.20:                               ;   in Loop: Header=BB233_8 Depth=1
	s_andn2_b64 vcc, exec, s[18:19]
	v_mov_b32_e32 v8, 0
	v_mov_b32_e32 v6, 0
	;; [unrolled: 1-line block ×3, first 2 shown]
	s_cbranch_vccnz .LBB233_22
; %bb.21:                               ;   in Loop: Header=BB233_8 Depth=1
	v_mul_hi_u32 v3, v60, v83
	v_mul_lo_u32 v3, v3, s8
	v_sub_u32_e32 v3, v60, v3
	v_subrev_u32_e32 v6, s8, v3
	v_cmp_le_u32_e32 vcc, s8, v3
	v_mov_b32_e32 v9, v63
	s_nop 0
	v_cndmask_b32_e32 v3, v3, v6, vcc
	v_subrev_u32_e32 v6, s8, v3
	v_cmp_le_u32_e32 vcc, s8, v3
	s_nop 1
	v_cndmask_b32_e32 v62, v3, v6, vcc
	v_lshl_add_u64 v[10:11], v[62:63], 1, s[10:11]
	v_add_u32_e32 v8, s30, v62
	v_add_u32_e32 v62, s31, v62
	v_lshl_add_u64 v[12:13], v[8:9], 1, s[10:11]
	v_lshl_add_u64 v[14:15], v[62:63], 1, s[10:11]
	global_load_ushort v8, v[10:11], off
	global_load_ushort v6, v[12:13], off
	;; [unrolled: 1-line block ×3, first 2 shown]
.LBB233_22:                             ;   in Loop: Header=BB233_8 Depth=1
	v_cvt_f32_i32_e32 v7, v7
	v_add_f32_e32 v5, v5, v7
	s_waitcnt vmcnt(2)
	v_lshlrev_b32_e32 v7, 16, v8
	v_add_f32_e32 v7, v5, v7
	v_and_b32_e32 v5, 0x7f800000, v7
	v_cmp_ne_u32_e32 vcc, s34, v5
                                        ; implicit-def: $vgpr5
	s_and_saveexec_b64 s[22:23], vcc
	s_xor_b64 s[22:23], exec, s[22:23]
; %bb.23:                               ;   in Loop: Header=BB233_8 Depth=1
	v_bfe_u32 v5, v7, 16, 1
	v_add3_u32 v5, v7, v5, s35
                                        ; implicit-def: $vgpr7
; %bb.24:                               ;   in Loop: Header=BB233_8 Depth=1
	s_andn2_saveexec_b64 s[22:23], s[22:23]
; %bb.25:                               ;   in Loop: Header=BB233_8 Depth=1
	v_or_b32_e32 v5, 0x10000, v7
	v_cmp_eq_u32_sdwa vcc, v7, v63 src0_sel:WORD_0 src1_sel:DWORD
	s_nop 1
	v_cndmask_b32_e32 v5, v5, v7, vcc
; %bb.26:                               ;   in Loop: Header=BB233_8 Depth=1
	s_or_b64 exec, exec, s[22:23]
	v_cvt_f32_i32_e32 v4, v4
	v_mov_b32_e32 v61, v63
	s_waitcnt lgkmcnt(0)
	v_lshl_add_u64 v[8:9], v[60:61], 1, s[14:15]
	global_store_short_d16_hi v[8:9], v5, off
	v_add_f32_e32 v2, v2, v4
	s_waitcnt vmcnt(2)
	v_lshlrev_b32_e32 v4, 16, v6
	v_add_f32_e32 v4, v2, v4
	v_and_b32_e32 v2, 0x7f800000, v4
	v_cmp_ne_u32_e32 vcc, s34, v2
                                        ; implicit-def: $vgpr2
	s_and_saveexec_b64 s[22:23], vcc
	s_xor_b64 s[22:23], exec, s[22:23]
; %bb.27:                               ;   in Loop: Header=BB233_8 Depth=1
	v_bfe_u32 v2, v4, 16, 1
	v_add3_u32 v2, v4, v2, s35
                                        ; implicit-def: $vgpr4
; %bb.28:                               ;   in Loop: Header=BB233_8 Depth=1
	s_andn2_saveexec_b64 s[22:23], s[22:23]
; %bb.29:                               ;   in Loop: Header=BB233_8 Depth=1
	v_or_b32_e32 v2, 0x10000, v4
	v_cmp_eq_u32_sdwa vcc, v4, v63 src0_sel:WORD_0 src1_sel:DWORD
	s_nop 1
	v_cndmask_b32_e32 v2, v2, v4, vcc
; %bb.30:                               ;   in Loop: Header=BB233_8 Depth=1
	s_or_b64 exec, exec, s[22:23]
	v_cvt_f32_i32_e32 v1, v1
	v_add_u32_e32 v62, s7, v60
	v_lshl_add_u64 v[4:5], v[62:63], 1, s[14:15]
	global_store_short_d16_hi v[4:5], v2, off
	v_add_f32_e32 v0, v0, v1
	s_waitcnt vmcnt(2)
	v_lshlrev_b32_e32 v1, 16, v3
	v_add_f32_e32 v1, v0, v1
	v_and_b32_e32 v0, 0x7f800000, v1
	v_cmp_ne_u32_e32 vcc, s34, v0
                                        ; implicit-def: $vgpr0
	s_and_saveexec_b64 s[22:23], vcc
	s_xor_b64 s[22:23], exec, s[22:23]
; %bb.31:                               ;   in Loop: Header=BB233_8 Depth=1
	v_bfe_u32 v0, v1, 16, 1
	v_add3_u32 v0, v1, v0, s35
                                        ; implicit-def: $vgpr1
; %bb.32:                               ;   in Loop: Header=BB233_8 Depth=1
	s_andn2_saveexec_b64 s[22:23], s[22:23]
	s_cbranch_execz .LBB233_6
; %bb.33:                               ;   in Loop: Header=BB233_8 Depth=1
	v_or_b32_e32 v0, 0x10000, v1
	v_cmp_eq_u32_sdwa vcc, v1, v63 src0_sel:WORD_0 src1_sel:DWORD
	s_nop 1
	v_cndmask_b32_e32 v0, v0, v1, vcc
	s_branch .LBB233_6
.LBB233_34:
	s_endpgm
	.section	.rodata,"a",@progbits
	.p2align	6, 0x0
	.amdhsa_kernel _Z16wvSplitK_hf_sml_I14__hip_bfloat16Li64ELi1ELi16ELi8ELi4ELi3EEviiiiiiPKT_S3_S3_PS1_ii
		.amdhsa_group_segment_fixed_size 65536
		.amdhsa_private_segment_fixed_size 0
		.amdhsa_kernarg_size 64
		.amdhsa_user_sgpr_count 2
		.amdhsa_user_sgpr_dispatch_ptr 0
		.amdhsa_user_sgpr_queue_ptr 0
		.amdhsa_user_sgpr_kernarg_segment_ptr 1
		.amdhsa_user_sgpr_dispatch_id 0
		.amdhsa_user_sgpr_kernarg_preload_length 0
		.amdhsa_user_sgpr_kernarg_preload_offset 0
		.amdhsa_user_sgpr_private_segment_size 0
		.amdhsa_uses_dynamic_stack 0
		.amdhsa_enable_private_segment 0
		.amdhsa_system_sgpr_workgroup_id_x 1
		.amdhsa_system_sgpr_workgroup_id_y 0
		.amdhsa_system_sgpr_workgroup_id_z 0
		.amdhsa_system_sgpr_workgroup_info 0
		.amdhsa_system_vgpr_workitem_id 1
		.amdhsa_next_free_vgpr 89
		.amdhsa_next_free_sgpr 37
		.amdhsa_accum_offset 92
		.amdhsa_reserve_vcc 1
		.amdhsa_float_round_mode_32 0
		.amdhsa_float_round_mode_16_64 0
		.amdhsa_float_denorm_mode_32 3
		.amdhsa_float_denorm_mode_16_64 3
		.amdhsa_dx10_clamp 1
		.amdhsa_ieee_mode 1
		.amdhsa_fp16_overflow 0
		.amdhsa_tg_split 0
		.amdhsa_exception_fp_ieee_invalid_op 0
		.amdhsa_exception_fp_denorm_src 0
		.amdhsa_exception_fp_ieee_div_zero 0
		.amdhsa_exception_fp_ieee_overflow 0
		.amdhsa_exception_fp_ieee_underflow 0
		.amdhsa_exception_fp_ieee_inexact 0
		.amdhsa_exception_int_div_zero 0
	.end_amdhsa_kernel
	.section	.text._Z16wvSplitK_hf_sml_I14__hip_bfloat16Li64ELi1ELi16ELi8ELi4ELi3EEviiiiiiPKT_S3_S3_PS1_ii,"axG",@progbits,_Z16wvSplitK_hf_sml_I14__hip_bfloat16Li64ELi1ELi16ELi8ELi4ELi3EEviiiiiiPKT_S3_S3_PS1_ii,comdat
.Lfunc_end233:
	.size	_Z16wvSplitK_hf_sml_I14__hip_bfloat16Li64ELi1ELi16ELi8ELi4ELi3EEviiiiiiPKT_S3_S3_PS1_ii, .Lfunc_end233-_Z16wvSplitK_hf_sml_I14__hip_bfloat16Li64ELi1ELi16ELi8ELi4ELi3EEviiiiiiPKT_S3_S3_PS1_ii
                                        ; -- End function
	.section	.AMDGPU.csdata,"",@progbits
; Kernel info:
; codeLenInByte = 2596
; NumSgprs: 43
; NumVgprs: 89
; NumAgprs: 0
; TotalNumVgprs: 89
; ScratchSize: 0
; MemoryBound: 0
; FloatMode: 240
; IeeeMode: 1
; LDSByteSize: 65536 bytes/workgroup (compile time only)
; SGPRBlocks: 5
; VGPRBlocks: 11
; NumSGPRsForWavesPerEU: 43
; NumVGPRsForWavesPerEU: 89
; AccumOffset: 92
; Occupancy: 4
; WaveLimiterHint : 0
; COMPUTE_PGM_RSRC2:SCRATCH_EN: 0
; COMPUTE_PGM_RSRC2:USER_SGPR: 2
; COMPUTE_PGM_RSRC2:TRAP_HANDLER: 0
; COMPUTE_PGM_RSRC2:TGID_X_EN: 1
; COMPUTE_PGM_RSRC2:TGID_Y_EN: 0
; COMPUTE_PGM_RSRC2:TGID_Z_EN: 0
; COMPUTE_PGM_RSRC2:TIDIG_COMP_CNT: 1
; COMPUTE_PGM_RSRC3_GFX90A:ACCUM_OFFSET: 22
; COMPUTE_PGM_RSRC3_GFX90A:TG_SPLIT: 0
	.section	.text._Z12wvSplitK_hf_I14__hip_bfloat16Li64ELi1ELi16ELi8ELi4ELi3EEviiiiiiPKT_S3_S3_PS1_ii,"axG",@progbits,_Z12wvSplitK_hf_I14__hip_bfloat16Li64ELi1ELi16ELi8ELi4ELi3EEviiiiiiPKT_S3_S3_PS1_ii,comdat
	.protected	_Z12wvSplitK_hf_I14__hip_bfloat16Li64ELi1ELi16ELi8ELi4ELi3EEviiiiiiPKT_S3_S3_PS1_ii ; -- Begin function _Z12wvSplitK_hf_I14__hip_bfloat16Li64ELi1ELi16ELi8ELi4ELi3EEviiiiiiPKT_S3_S3_PS1_ii
	.globl	_Z12wvSplitK_hf_I14__hip_bfloat16Li64ELi1ELi16ELi8ELi4ELi3EEviiiiiiPKT_S3_S3_PS1_ii
	.p2align	8
	.type	_Z12wvSplitK_hf_I14__hip_bfloat16Li64ELi1ELi16ELi8ELi4ELi3EEviiiiiiPKT_S3_S3_PS1_ii,@function
_Z12wvSplitK_hf_I14__hip_bfloat16Li64ELi1ELi16ELi8ELi4ELi3EEviiiiiiPKT_S3_S3_PS1_ii: ; @_Z12wvSplitK_hf_I14__hip_bfloat16Li64ELi1ELi16ELi8ELi4ELi3EEviiiiiiPKT_S3_S3_PS1_ii
; %bb.0:
	s_load_dwordx2 s[4:5], s[0:1], 0x38
	s_load_dwordx4 s[8:11], s[0:1], 0x0
	s_load_dwordx2 s[16:17], s[0:1], 0x10
	v_bfe_u32 v3, v0, 10, 10
	v_mov_b32_e32 v90, 1
	s_waitcnt lgkmcnt(0)
	s_mul_i32 s2, s2, s4
	v_add_u32_e32 v76, s2, v3
	v_add_u32_e32 v1, 1, v76
	v_cmp_gt_u32_e32 vcc, s11, v76
	v_cmp_le_u32_e64 s[2:3], s11, v1
	s_and_b64 s[6:7], vcc, s[2:3]
	s_and_saveexec_b64 s[2:3], s[6:7]
; %bb.1:
	v_subrev_u32_e32 v1, s11, v76
	v_cmp_eq_u32_e32 vcc, -1, v1
	s_add_i32 s6, s11, -1
	v_mov_b32_e32 v76, s6
	v_cndmask_b32_e64 v90, 0, 1, vcc
; %bb.2:
	s_or_b64 exec, exec, s[2:3]
	s_load_dwordx4 s[12:15], s[0:1], 0x20
	v_and_b32_e32 v2, 0x3ff, v0
	v_lshlrev_b32_e32 v91, 3, v2
	s_mul_i32 s2, s10, 3
	v_lshl_add_u32 v4, v3, 9, v91
	s_min_u32 s20, s2, 0x8000
	v_cmp_gt_u32_e32 vcc, s20, v4
	s_and_saveexec_b64 s[2:3], vcc
	s_cbranch_execz .LBB234_5
; %bb.3:
	v_mov_b32_e32 v7, 0
	v_lshlrev_b32_e32 v6, 10, v3
	v_lshlrev_b32_e32 v8, 4, v2
	v_mov_b32_e32 v9, v7
	v_lshl_add_u64 v[0:1], v[6:7], 0, v[8:9]
	s_waitcnt lgkmcnt(0)
	v_lshl_add_u64 v[0:1], s[12:13], 0, v[0:1]
	v_add_u32_e32 v5, v6, v8
	s_mov_b64 s[6:7], 0
	s_mov_b64 s[18:19], 0x4000
.LBB234_4:                              ; =>This Inner Loop Header: Depth=1
	global_load_dwordx4 v[6:9], v[0:1], off
	v_add_u32_e32 v4, 0x2000, v4
	v_cmp_le_u32_e32 vcc, s20, v4
	v_lshl_add_u64 v[0:1], v[0:1], 0, s[18:19]
	s_or_b64 s[6:7], vcc, s[6:7]
	s_waitcnt vmcnt(0)
	ds_write_b128 v5, v[6:9]
	v_add_u32_e32 v5, 0x4000, v5
	s_andn2_b64 exec, exec, s[6:7]
	s_cbranch_execnz .LBB234_4
.LBB234_5:
	s_or_b64 exec, exec, s[2:3]
	v_cmp_gt_u32_e32 vcc, s4, v3
	v_cmp_gt_u32_e64 s[2:3], s11, v76
	s_and_b64 s[2:3], vcc, s[2:3]
	s_waitcnt lgkmcnt(0)
	s_barrier
	s_and_saveexec_b64 s[6:7], s[2:3]
	s_cbranch_execz .LBB234_84
; %bb.6:
	s_cmp_lg_u32 s8, 0
	s_cselect_b64 s[2:3], -1, 0
	s_add_i32 s33, s8, -8
	s_add_i32 s38, s11, -1
	s_cmp_lg_u64 s[14:15], 0
	s_cselect_b64 s[24:25], -1, 0
	s_mul_i32 s39, s5, s4
	s_abs_i32 s4, s17
	v_cvt_f32_u32_e32 v0, s16
	v_cvt_f32_u32_e32 v1, s4
	s_sub_i32 s5, 0, s16
	s_sub_i32 s40, s39, s11
	v_rcp_iflag_f32_e32 v0, v0
	v_rcp_iflag_f32_e32 v1, v1
	s_add_i32 s40, s40, 2
	s_lshl_b32 s17, s10, 1
	v_mul_f32_e32 v0, 0x4f7ffffe, v0
	v_mul_f32_e32 v1, 0x4f7ffffe, v1
	v_cvt_u32_f32_e32 v0, v0
	v_cvt_u32_f32_e32 v1, v1
	s_load_dwordx2 s[18:19], s[0:1], 0x18
	s_load_dwordx2 s[20:21], s[0:1], 0x30
	v_cmp_eq_u32_e64 s[0:1], 63, v2
	v_mul_lo_u32 v3, s5, v0
	s_sub_i32 s5, 0, s4
	v_readfirstlane_b32 s6, v1
	s_mul_i32 s5, s5, s6
	s_mul_hi_u32 s5, s6, s5
	s_add_i32 s6, s6, s5
	s_sub_i32 s5, 1, s4
	s_cmp_lt_u32 s4, 2
	s_cselect_b32 s5, s5, 1
	s_sub_i32 s7, s5, s4
	s_cmp_ge_u32 s5, s4
	s_cselect_b32 s41, s7, s5
	s_lshr_b32 s5, s6, 31
	s_mul_i32 s5, s5, s4
	s_sub_i32 s5, 2, s5
	s_sub_i32 s6, s5, s4
	s_cmp_ge_u32 s5, s4
	s_cselect_b32 s5, s6, s5
	s_sub_i32 s6, s5, s4
	v_mul_hi_u32 v3, v0, v3
	s_cmp_ge_u32 s5, s4
	v_add_u32_e32 v92, v0, v3
	s_cselect_b32 s42, s6, s5
	v_cndmask_b32_e64 v0, 0, 1, s[2:3]
	s_mov_b64 s[22:23], 0
	v_mov_b32_e32 v79, 0
	s_mul_i32 s41, s41, s16
	s_mul_i32 s42, s42, s16
	v_lshlrev_b32_e32 v93, 4, v2
	s_lshl_b32 s43, s10, 2
	v_add_u32_e32 v94, s17, v91
	v_add_u32_e32 v95, s10, v91
	v_cmp_ne_u32_e64 s[2:3], 1, v0
	s_movk_i32 s10, 0x7fff
	s_mov_b32 s44, 0x7f800000
	s_mov_b32 s26, 0
	s_branch .LBB234_9
.LBB234_7:                              ;   in Loop: Header=BB234_9 Depth=1
	s_or_b64 exec, exec, s[6:7]
	v_add_u32_e32 v78, s11, v78
	v_lshl_add_u64 v[2:3], v[78:79], 1, s[20:21]
	global_store_short_d16_hi v[2:3], v0, off
.LBB234_8:                              ;   in Loop: Header=BB234_9 Depth=1
	s_or_b64 exec, exec, s[4:5]
	v_add_u32_e32 v0, s39, v76
	v_add_u32_e32 v1, 1, v0
	v_cmp_le_u32_e32 vcc, s11, v0
	v_cmp_gt_u32_e64 s[4:5], s11, v1
	v_add_u32_e32 v1, s40, v76
	v_cmp_eq_u32_e64 s[6:7], 1, v1
	v_mov_b32_e32 v1, s38
	s_or_b64 vcc, vcc, s[4:5]
	v_cndmask_b32_e32 v76, v1, v0, vcc
	v_cmp_le_u32_e64 s[4:5], s11, v76
	s_or_b64 vcc, vcc, s[6:7]
	s_or_b64 s[22:23], s[4:5], s[22:23]
	v_cndmask_b32_e32 v90, 0, v90, vcc
	s_andn2_b64 exec, exec, s[22:23]
	s_cbranch_execz .LBB234_84
.LBB234_9:                              ; =>This Loop Header: Depth=1
                                        ;     Child Loop BB234_16 Depth 2
	s_and_b64 vcc, exec, s[2:3]
	s_waitcnt vmcnt(0)
	v_mov_b32_e32 v3, v79
	v_mov_b32_e32 v2, v79
	;; [unrolled: 1-line block ×12, first 2 shown]
	s_cbranch_vccnz .LBB234_68
; %bb.10:                               ;   in Loop: Header=BB234_9 Depth=1
	v_min_u32_e32 v0, s38, v76
	v_mul_lo_u32 v78, v0, s9
	v_mov_b32_e32 v8, 0
	s_waitcnt lgkmcnt(0)
	v_lshl_add_u64 v[80:81], v[78:79], 1, s[18:19]
	s_mov_b32 s4, 0
	v_mov_b32_e32 v77, v93
	s_mov_b32 s45, 0
	v_mov_b32_e32 v9, v8
	v_mov_b32_e32 v10, v8
	;; [unrolled: 1-line block ×11, first 2 shown]
	s_branch .LBB234_16
.LBB234_11:                             ;   in Loop: Header=BB234_16 Depth=2
	s_or_b64 exec, exec, s[36:37]
.LBB234_12:                             ;   in Loop: Header=BB234_16 Depth=2
	s_or_b64 exec, exec, s[34:35]
.LBB234_13:                             ;   in Loop: Header=BB234_16 Depth=2
	s_or_b64 exec, exec, s[30:31]
.LBB234_14:                             ;   in Loop: Header=BB234_16 Depth=2
	s_or_b64 exec, exec, s[28:29]
.LBB234_15:                             ;   in Loop: Header=BB234_16 Depth=2
	s_or_b64 exec, exec, s[6:7]
	s_waitcnt vmcnt(0) lgkmcnt(0)
	v_mfma_f32_4x4x4_16b_bf16 v[8:11], v[28:29], v[20:21], v[8:11]
	s_addk_i32 s45, 0x800
	v_mfma_f32_4x4x4_16b_bf16 v[4:7], v[32:33], v[20:21], v[4:7]
	v_add_u32_e32 v77, 0x1000, v77
	v_mfma_f32_4x4x4_16b_bf16 v[0:3], v[36:37], v[20:21], v[0:3]
	s_cmp_ge_u32 s45, s8
	v_mfma_f32_4x4x4_16b_bf16 v[8:11], v[30:31], v[22:23], v[8:11]
	v_mfma_f32_4x4x4_16b_bf16 v[4:7], v[34:35], v[22:23], v[4:7]
	;; [unrolled: 1-line block ×21, first 2 shown]
	s_cbranch_scc1 .LBB234_68
.LBB234_16:                             ;   Parent Loop BB234_9 Depth=1
                                        ; =>  This Inner Loop Header: Depth=2
	v_add_u32_e32 v84, s45, v91
	v_min_u32_e32 v78, s33, v84
	v_add_u32_e32 v88, 0x200, v84
	v_lshl_add_u64 v[12:13], v[78:79], 1, v[80:81]
	v_min_u32_e32 v78, s33, v88
	v_add_u32_e32 v86, 0x400, v84
	v_lshl_add_u64 v[14:15], v[78:79], 1, v[80:81]
	;; [unrolled: 3-line block ×3, first 2 shown]
	v_min_u32_e32 v78, s33, v82
	global_load_dwordx4 v[20:23], v[12:13], off nt
	global_load_dwordx4 v[16:19], v[14:15], off nt
	v_lshl_add_u64 v[30:31], v[78:79], 1, v[80:81]
	global_load_dwordx4 v[24:27], v[28:29], off nt
	global_load_dwordx4 v[12:15], v[30:31], off nt
	s_mov_b32 s5, s4
	v_cmp_gt_u32_e32 vcc, s8, v84
	v_mov_b64_e32 v[28:29], s[4:5]
	v_mov_b32_e32 v71, 0
	v_mov_b32_e32 v70, 0
	;; [unrolled: 1-line block ×4, first 2 shown]
	v_mov_b64_e32 v[30:31], s[4:5]
	v_mov_b64_e32 v[40:41], s[4:5]
	;; [unrolled: 1-line block ×21, first 2 shown]
	s_and_saveexec_b64 s[6:7], vcc
	s_cbranch_execz .LBB234_15
; %bb.17:                               ;   in Loop: Header=BB234_16 Depth=2
	v_cmp_lt_u32_e32 vcc, s10, v84
                                        ; implicit-def: $vgpr28_vgpr29
	s_and_saveexec_b64 s[28:29], vcc
	s_xor_b64 s[28:29], exec, s[28:29]
	s_cbranch_execz .LBB234_19
; %bb.18:                               ;   in Loop: Header=BB234_16 Depth=2
	v_mov_b32_e32 v85, v79
	v_lshl_add_u64 v[28:29], v[84:85], 1, s[12:13]
	global_load_dwordx4 v[28:31], v[28:29], off
.LBB234_19:                             ;   in Loop: Header=BB234_16 Depth=2
	s_andn2_saveexec_b64 s[28:29], s[28:29]
	s_cbranch_execz .LBB234_21
; %bb.20:                               ;   in Loop: Header=BB234_16 Depth=2
	s_waitcnt vmcnt(0)
	ds_read_b128 v[28:31], v77
.LBB234_21:                             ;   in Loop: Header=BB234_16 Depth=2
	s_or_b64 exec, exec, s[28:29]
	v_add_u32_e32 v78, s45, v95
	v_cmp_lt_u32_e32 vcc, s10, v78
                                        ; implicit-def: $vgpr32_vgpr33
	s_and_saveexec_b64 s[28:29], vcc
	s_xor_b64 s[28:29], exec, s[28:29]
	s_cbranch_execz .LBB234_23
; %bb.22:                               ;   in Loop: Header=BB234_16 Depth=2
	v_lshl_add_u64 v[32:33], v[78:79], 1, s[12:13]
	global_load_dwordx4 v[32:35], v[32:33], off
.LBB234_23:                             ;   in Loop: Header=BB234_16 Depth=2
	s_andn2_saveexec_b64 s[28:29], s[28:29]
	s_cbranch_execz .LBB234_25
; %bb.24:                               ;   in Loop: Header=BB234_16 Depth=2
	s_waitcnt vmcnt(0)
	v_add_u32_e32 v32, s17, v77
	ds_read_b128 v[32:35], v32
.LBB234_25:                             ;   in Loop: Header=BB234_16 Depth=2
	s_or_b64 exec, exec, s[28:29]
	v_add_u32_e32 v84, s45, v94
	v_cmp_lt_u32_e32 vcc, s10, v84
                                        ; implicit-def: $vgpr36_vgpr37
	s_and_saveexec_b64 s[28:29], vcc
	s_xor_b64 s[28:29], exec, s[28:29]
	s_cbranch_execz .LBB234_27
; %bb.26:                               ;   in Loop: Header=BB234_16 Depth=2
	v_mov_b32_e32 v85, v79
	v_lshl_add_u64 v[36:37], v[84:85], 1, s[12:13]
	global_load_dwordx4 v[36:39], v[36:37], off
.LBB234_27:                             ;   in Loop: Header=BB234_16 Depth=2
	s_andn2_saveexec_b64 s[28:29], s[28:29]
	s_cbranch_execz .LBB234_29
; %bb.28:                               ;   in Loop: Header=BB234_16 Depth=2
	s_waitcnt vmcnt(0)
	v_add_u32_e32 v38, s43, v77
	ds_read2_b32 v[36:37], v38 offset1:1
	ds_read2_b32 v[38:39], v38 offset0:2 offset1:3
.LBB234_29:                             ;   in Loop: Header=BB234_16 Depth=2
	s_or_b64 exec, exec, s[28:29]
	s_mov_b32 s27, s26
	v_cmp_gt_u32_e32 vcc, s8, v88
	v_mov_b32_e32 v71, 0
	v_mov_b64_e32 v[40:41], s[26:27]
	v_mov_b32_e32 v70, 0
	v_mov_b32_e32 v69, 0
	;; [unrolled: 1-line block ×3, first 2 shown]
	v_mov_b64_e32 v[42:43], s[26:27]
	v_mov_b64_e32 v[52:53], s[26:27]
	;; [unrolled: 1-line block ×15, first 2 shown]
	s_and_saveexec_b64 s[28:29], vcc
	s_cbranch_execz .LBB234_14
; %bb.30:                               ;   in Loop: Header=BB234_16 Depth=2
	v_cmp_lt_u32_e32 vcc, s10, v88
                                        ; implicit-def: $vgpr40_vgpr41
	s_and_saveexec_b64 s[30:31], vcc
	s_xor_b64 s[30:31], exec, s[30:31]
	s_cbranch_execz .LBB234_32
; %bb.31:                               ;   in Loop: Header=BB234_16 Depth=2
	v_mov_b32_e32 v89, v79
	v_lshl_add_u64 v[40:41], v[88:89], 1, s[12:13]
	global_load_dwordx4 v[40:43], v[40:41], off
.LBB234_32:                             ;   in Loop: Header=BB234_16 Depth=2
	s_andn2_saveexec_b64 s[30:31], s[30:31]
	s_cbranch_execz .LBB234_34
; %bb.33:                               ;   in Loop: Header=BB234_16 Depth=2
	s_waitcnt vmcnt(0)
	ds_read_b128 v[40:43], v77 offset:1024
.LBB234_34:                             ;   in Loop: Header=BB234_16 Depth=2
	s_or_b64 exec, exec, s[30:31]
	v_add_u32_e32 v46, 0x200, v78
	v_cmp_lt_u32_e32 vcc, s10, v46
                                        ; implicit-def: $vgpr44_vgpr45
	s_and_saveexec_b64 s[30:31], vcc
	s_xor_b64 s[30:31], exec, s[30:31]
	s_cbranch_execz .LBB234_36
; %bb.35:                               ;   in Loop: Header=BB234_16 Depth=2
	v_mov_b32_e32 v47, v79
	v_lshl_add_u64 v[44:45], v[46:47], 1, s[12:13]
	global_load_dwordx4 v[44:47], v[44:45], off
.LBB234_36:                             ;   in Loop: Header=BB234_16 Depth=2
	s_andn2_saveexec_b64 s[30:31], s[30:31]
	s_cbranch_execz .LBB234_38
; %bb.37:                               ;   in Loop: Header=BB234_16 Depth=2
	s_waitcnt vmcnt(0)
	v_add_u32_e32 v44, s17, v77
	ds_read_b128 v[44:47], v44 offset:1024
.LBB234_38:                             ;   in Loop: Header=BB234_16 Depth=2
	s_or_b64 exec, exec, s[30:31]
	v_add_u32_e32 v50, 0x200, v84
	v_cmp_lt_u32_e32 vcc, s10, v50
                                        ; implicit-def: $vgpr48_vgpr49
	s_and_saveexec_b64 s[30:31], vcc
	s_xor_b64 s[30:31], exec, s[30:31]
	s_cbranch_execz .LBB234_40
; %bb.39:                               ;   in Loop: Header=BB234_16 Depth=2
	v_mov_b32_e32 v51, v79
	v_lshl_add_u64 v[48:49], v[50:51], 1, s[12:13]
	global_load_dwordx4 v[48:51], v[48:49], off
.LBB234_40:                             ;   in Loop: Header=BB234_16 Depth=2
	s_andn2_saveexec_b64 s[30:31], s[30:31]
	s_cbranch_execz .LBB234_42
; %bb.41:                               ;   in Loop: Header=BB234_16 Depth=2
	s_waitcnt vmcnt(0)
	v_add_u32_e32 v48, s43, v77
	v_add_u32_e32 v49, 0x400, v48
	;; [unrolled: 1-line block ×3, first 2 shown]
	ds_read2_b32 v[48:49], v49 offset1:1
	ds_read2_b32 v[50:51], v50 offset1:1
.LBB234_42:                             ;   in Loop: Header=BB234_16 Depth=2
	s_or_b64 exec, exec, s[30:31]
	s_mov_b32 s27, s26
	v_cmp_gt_u32_e32 vcc, s8, v86
	v_mov_b32_e32 v71, 0
	v_mov_b64_e32 v[52:53], s[26:27]
	v_mov_b32_e32 v70, 0
	v_mov_b32_e32 v69, 0
	;; [unrolled: 1-line block ×3, first 2 shown]
	v_mov_b64_e32 v[54:55], s[26:27]
	v_mov_b64_e32 v[64:65], s[26:27]
	;; [unrolled: 1-line block ×9, first 2 shown]
	s_and_saveexec_b64 s[30:31], vcc
	s_cbranch_execz .LBB234_13
; %bb.43:                               ;   in Loop: Header=BB234_16 Depth=2
	v_cmp_lt_u32_e32 vcc, s10, v86
                                        ; implicit-def: $vgpr52_vgpr53
	s_and_saveexec_b64 s[34:35], vcc
	s_xor_b64 s[34:35], exec, s[34:35]
	s_cbranch_execz .LBB234_45
; %bb.44:                               ;   in Loop: Header=BB234_16 Depth=2
	v_mov_b32_e32 v87, v79
	v_lshl_add_u64 v[52:53], v[86:87], 1, s[12:13]
	global_load_dwordx4 v[52:55], v[52:53], off
.LBB234_45:                             ;   in Loop: Header=BB234_16 Depth=2
	s_andn2_saveexec_b64 s[34:35], s[34:35]
	s_cbranch_execz .LBB234_47
; %bb.46:                               ;   in Loop: Header=BB234_16 Depth=2
	s_waitcnt vmcnt(0)
	ds_read_b128 v[52:55], v77 offset:2048
.LBB234_47:                             ;   in Loop: Header=BB234_16 Depth=2
	s_or_b64 exec, exec, s[34:35]
	v_add_u32_e32 v58, 0x400, v78
	v_cmp_lt_u32_e32 vcc, s10, v58
                                        ; implicit-def: $vgpr56_vgpr57
	s_and_saveexec_b64 s[34:35], vcc
	s_xor_b64 s[34:35], exec, s[34:35]
	s_cbranch_execz .LBB234_49
; %bb.48:                               ;   in Loop: Header=BB234_16 Depth=2
	v_mov_b32_e32 v59, v79
	v_lshl_add_u64 v[56:57], v[58:59], 1, s[12:13]
	global_load_dwordx4 v[56:59], v[56:57], off
.LBB234_49:                             ;   in Loop: Header=BB234_16 Depth=2
	s_andn2_saveexec_b64 s[34:35], s[34:35]
	s_cbranch_execz .LBB234_51
; %bb.50:                               ;   in Loop: Header=BB234_16 Depth=2
	s_waitcnt vmcnt(0)
	v_add_u32_e32 v56, s17, v77
	ds_read_b128 v[56:59], v56 offset:2048
.LBB234_51:                             ;   in Loop: Header=BB234_16 Depth=2
	s_or_b64 exec, exec, s[34:35]
	v_add_u32_e32 v62, 0x400, v84
	v_cmp_lt_u32_e32 vcc, s10, v62
                                        ; implicit-def: $vgpr60_vgpr61
	s_and_saveexec_b64 s[34:35], vcc
	s_xor_b64 s[34:35], exec, s[34:35]
	s_cbranch_execz .LBB234_53
; %bb.52:                               ;   in Loop: Header=BB234_16 Depth=2
	v_mov_b32_e32 v63, v79
	v_lshl_add_u64 v[60:61], v[62:63], 1, s[12:13]
	global_load_dwordx4 v[60:63], v[60:61], off
.LBB234_53:                             ;   in Loop: Header=BB234_16 Depth=2
	s_andn2_saveexec_b64 s[34:35], s[34:35]
	s_cbranch_execz .LBB234_55
; %bb.54:                               ;   in Loop: Header=BB234_16 Depth=2
	s_waitcnt vmcnt(0)
	v_add_u32_e32 v60, s43, v77
	v_add_u32_e32 v61, 0x800, v60
	;; [unrolled: 1-line block ×3, first 2 shown]
	ds_read2_b32 v[60:61], v61 offset1:1
	ds_read2_b32 v[62:63], v62 offset1:1
.LBB234_55:                             ;   in Loop: Header=BB234_16 Depth=2
	s_or_b64 exec, exec, s[34:35]
	s_mov_b32 s27, s26
	v_cmp_gt_u32_e32 vcc, s8, v82
	v_mov_b32_e32 v71, 0
	v_mov_b64_e32 v[64:65], s[26:27]
	v_mov_b32_e32 v70, 0
	v_mov_b32_e32 v69, 0
	;; [unrolled: 1-line block ×3, first 2 shown]
	v_mov_b64_e32 v[66:67], s[26:27]
	v_mov_b64_e32 v[72:73], s[26:27]
	;; [unrolled: 1-line block ×3, first 2 shown]
	s_and_saveexec_b64 s[34:35], vcc
	s_cbranch_execz .LBB234_12
; %bb.56:                               ;   in Loop: Header=BB234_16 Depth=2
	v_cmp_lt_u32_e32 vcc, s10, v82
                                        ; implicit-def: $vgpr64_vgpr65
	s_and_saveexec_b64 s[36:37], vcc
	s_xor_b64 s[36:37], exec, s[36:37]
	s_cbranch_execz .LBB234_58
; %bb.57:                               ;   in Loop: Header=BB234_16 Depth=2
	v_mov_b32_e32 v83, v79
	v_lshl_add_u64 v[64:65], v[82:83], 1, s[12:13]
	global_load_dwordx4 v[64:67], v[64:65], off
.LBB234_58:                             ;   in Loop: Header=BB234_16 Depth=2
	s_andn2_saveexec_b64 s[36:37], s[36:37]
	s_cbranch_execz .LBB234_60
; %bb.59:                               ;   in Loop: Header=BB234_16 Depth=2
	s_waitcnt vmcnt(0)
	ds_read_b128 v[64:67], v77 offset:3072
.LBB234_60:                             ;   in Loop: Header=BB234_16 Depth=2
	s_or_b64 exec, exec, s[36:37]
	v_add_u32_e32 v78, 0x600, v78
	v_cmp_lt_u32_e32 vcc, s10, v78
                                        ; implicit-def: $vgpr72_vgpr73
	s_and_saveexec_b64 s[36:37], vcc
	s_xor_b64 s[36:37], exec, s[36:37]
	s_cbranch_execz .LBB234_62
; %bb.61:                               ;   in Loop: Header=BB234_16 Depth=2
	v_lshl_add_u64 v[68:69], v[78:79], 1, s[12:13]
	global_load_dwordx4 v[72:75], v[68:69], off
.LBB234_62:                             ;   in Loop: Header=BB234_16 Depth=2
	s_andn2_saveexec_b64 s[36:37], s[36:37]
	s_cbranch_execz .LBB234_64
; %bb.63:                               ;   in Loop: Header=BB234_16 Depth=2
	v_add_u32_e32 v68, s17, v77
	s_waitcnt vmcnt(0)
	ds_read_b128 v[72:75], v68 offset:3072
.LBB234_64:                             ;   in Loop: Header=BB234_16 Depth=2
	s_or_b64 exec, exec, s[36:37]
	v_add_u32_e32 v78, 0x600, v84
	v_cmp_lt_u32_e32 vcc, s10, v78
                                        ; implicit-def: $vgpr71
	s_and_saveexec_b64 s[36:37], vcc
	s_xor_b64 s[36:37], exec, s[36:37]
	s_cbranch_execz .LBB234_66
; %bb.65:                               ;   in Loop: Header=BB234_16 Depth=2
	v_lshl_add_u64 v[68:69], v[78:79], 1, s[12:13]
	global_load_dwordx4 v[68:71], v[68:69], off
.LBB234_66:                             ;   in Loop: Header=BB234_16 Depth=2
	s_andn2_saveexec_b64 s[36:37], s[36:37]
	s_cbranch_execz .LBB234_11
; %bb.67:                               ;   in Loop: Header=BB234_16 Depth=2
	s_waitcnt vmcnt(0)
	v_add_u32_e32 v68, s43, v77
	v_add_u32_e32 v69, 0xc00, v68
	;; [unrolled: 1-line block ×3, first 2 shown]
	ds_read2_b32 v[68:69], v69 offset1:1
	ds_read2_b32 v[70:71], v70 offset1:1
	s_branch .LBB234_11
.LBB234_68:                             ;   in Loop: Header=BB234_9 Depth=1
	s_nop 1
	v_cvt_i32_f32_e32 v9, v9
	v_cvt_i32_f32_e32 v10, v10
	;; [unrolled: 1-line block ×4, first 2 shown]
	v_cvt_f32_i32_dpp v9, v9 row_shl:1 row_mask:0xf bank_mask:0xf bound_ctrl:1
	v_cvt_i32_f32_e32 v1, v1
	v_cvt_f32_i32_dpp v10, v10 row_shl:2 row_mask:0xf bank_mask:0xf bound_ctrl:1
	v_cvt_i32_f32_e32 v6, v6
	v_cvt_i32_f32_e32 v2, v2
	v_cvt_f32_i32_dpp v11, v11 row_shl:3 row_mask:0xf bank_mask:0xf bound_ctrl:1
	v_cvt_i32_f32_e32 v7, v7
	v_cvt_i32_f32_e32 v3, v3
	v_add_f32_e32 v8, v8, v9
	v_cvt_f32_i32_dpp v5, v5 row_shl:1 row_mask:0xf bank_mask:0xf bound_ctrl:1
	v_cvt_f32_i32_dpp v1, v1 row_shl:1 row_mask:0xf bank_mask:0xf bound_ctrl:1
	v_add_f32_e32 v8, v8, v10
	v_cvt_f32_i32_dpp v6, v6 row_shl:2 row_mask:0xf bank_mask:0xf bound_ctrl:1
	v_cvt_f32_i32_dpp v2, v2 row_shl:2 row_mask:0xf bank_mask:0xf bound_ctrl:1
	;; [unrolled: 3-line block ×3, first 2 shown]
	v_cvt_i32_f32_e32 v9, v8
	v_add_f32_e32 v4, v4, v5
	v_add_f32_e32 v0, v0, v1
	;; [unrolled: 1-line block ×6, first 2 shown]
	v_cvt_f32_i32_dpp v9, v9 row_shl:4 row_mask:0xf bank_mask:0xf bound_ctrl:1
	v_cvt_i32_f32_e32 v7, v4
	v_cvt_i32_f32_e32 v1, v0
	v_add_f32_e32 v5, v8, v9
	v_cvt_f32_i32_dpp v3, v7 row_shl:4 row_mask:0xf bank_mask:0xf bound_ctrl:1
	v_cvt_f32_i32_dpp v1, v1 row_shl:4 row_mask:0xf bank_mask:0xf bound_ctrl:1
	v_cvt_i32_f32_e32 v6, v5
	v_add_f32_e32 v3, v4, v3
	v_add_f32_e32 v0, v0, v1
	v_cvt_f32_i32_dpp v2, v6 row_shl:8 row_mask:0xf bank_mask:0xf bound_ctrl:1
	v_cvt_i32_f32_e32 v4, v3
	v_cvt_i32_f32_e32 v1, v0
	v_add_f32_e32 v2, v5, v2
	v_cvt_f32_i32_dpp v4, v4 row_shl:8 row_mask:0xf bank_mask:0xf bound_ctrl:1
	v_cvt_f32_i32_dpp v1, v1 row_shl:8 row_mask:0xf bank_mask:0xf bound_ctrl:1
	v_cvt_i32_f32_e32 v2, v2
	v_add_f32_e32 v3, v3, v4
	v_add_f32_e32 v0, v0, v1
	v_cvt_f32_i32_dpp v2, v2 row_shr:15 row_mask:0xf bank_mask:0xf bound_ctrl:1
	v_cvt_i32_f32_e32 v3, v3
	v_cvt_i32_f32_e32 v0, v0
	s_nop 0
	v_cvt_f32_i32_dpp v1, v3 row_shr:15 row_mask:0xf bank_mask:0xf bound_ctrl:1
	v_cvt_i32_f32_e32 v3, v2
	v_cvt_f32_i32_dpp v0, v0 row_shr:15 row_mask:0xf bank_mask:0xf bound_ctrl:1
	v_cvt_i32_f32_e32 v4, v1
	v_cvt_f32_i32_dpp v3, v3 row_bcast:15 row_mask:0xf bank_mask:0xf bound_ctrl:1
	v_cvt_i32_f32_e32 v6, v0
	v_cvt_f32_i32_dpp v4, v4 row_bcast:15 row_mask:0xf bank_mask:0xf bound_ctrl:1
	v_add_f32_e32 v5, v2, v3
	v_cvt_f32_i32_dpp v3, v6 row_bcast:15 row_mask:0xf bank_mask:0xf bound_ctrl:1
	v_cvt_i32_f32_e32 v6, v5
	v_add_f32_e32 v2, v1, v4
	v_cvt_i32_f32_e32 v1, v2
	v_add_f32_e32 v0, v0, v3
	v_cvt_i32_f32_e32 v3, v0
	v_mov_b32_dpp v7, v6 row_bcast:31 row_mask:0xf bank_mask:0xf bound_ctrl:1
	v_mov_b32_dpp v4, v1 row_bcast:31 row_mask:0xf bank_mask:0xf bound_ctrl:1
	;; [unrolled: 1-line block ×3, first 2 shown]
	s_and_saveexec_b64 s[4:5], s[0:1]
	s_cbranch_execz .LBB234_8
; %bb.69:                               ;   in Loop: Header=BB234_9 Depth=1
	s_andn2_b64 vcc, exec, s[24:25]
	v_mov_b32_e32 v8, 0
	v_mov_b32_e32 v6, 0
	;; [unrolled: 1-line block ×3, first 2 shown]
	s_cbranch_vccnz .LBB234_71
; %bb.70:                               ;   in Loop: Header=BB234_9 Depth=1
	v_mul_hi_u32 v3, v76, v92
	v_mul_lo_u32 v3, v3, s16
	v_sub_u32_e32 v3, v76, v3
	v_subrev_u32_e32 v6, s16, v3
	v_cmp_le_u32_e32 vcc, s16, v3
	v_mov_b32_e32 v9, v79
	s_nop 0
	v_cndmask_b32_e32 v3, v3, v6, vcc
	v_subrev_u32_e32 v6, s16, v3
	v_cmp_le_u32_e32 vcc, s16, v3
	s_nop 1
	v_cndmask_b32_e32 v78, v3, v6, vcc
	v_lshl_add_u64 v[10:11], v[78:79], 1, s[14:15]
	v_add_u32_e32 v8, s41, v78
	v_add_u32_e32 v78, s42, v78
	v_lshl_add_u64 v[12:13], v[8:9], 1, s[14:15]
	v_lshl_add_u64 v[14:15], v[78:79], 1, s[14:15]
	global_load_ushort v8, v[10:11], off
	global_load_ushort v6, v[12:13], off
	;; [unrolled: 1-line block ×3, first 2 shown]
.LBB234_71:                             ;   in Loop: Header=BB234_9 Depth=1
	v_cmp_ne_u32_e32 vcc, 0, v90
	s_and_b64 exec, exec, vcc
	s_cbranch_execz .LBB234_8
; %bb.72:                               ;   in Loop: Header=BB234_9 Depth=1
	v_cvt_f32_i32_e32 v7, v7
	v_add_f32_e32 v5, v5, v7
	s_waitcnt vmcnt(2)
	v_lshlrev_b32_e32 v7, 16, v8
	v_add_f32_e32 v7, v5, v7
	v_and_b32_e32 v5, 0x7f800000, v7
	v_cmp_ne_u32_e32 vcc, s44, v5
                                        ; implicit-def: $vgpr5
	s_and_saveexec_b64 s[6:7], vcc
	s_xor_b64 s[6:7], exec, s[6:7]
; %bb.73:                               ;   in Loop: Header=BB234_9 Depth=1
	v_bfe_u32 v5, v7, 16, 1
	v_add3_u32 v5, v7, v5, s10
                                        ; implicit-def: $vgpr7
; %bb.74:                               ;   in Loop: Header=BB234_9 Depth=1
	s_andn2_saveexec_b64 s[6:7], s[6:7]
; %bb.75:                               ;   in Loop: Header=BB234_9 Depth=1
	v_or_b32_e32 v5, 0x10000, v7
	v_cmp_eq_u32_sdwa vcc, v7, v79 src0_sel:WORD_0 src1_sel:DWORD
	s_nop 1
	v_cndmask_b32_e32 v5, v5, v7, vcc
; %bb.76:                               ;   in Loop: Header=BB234_9 Depth=1
	s_or_b64 exec, exec, s[6:7]
	v_cvt_f32_i32_e32 v4, v4
	v_mov_b32_e32 v77, v79
	s_waitcnt lgkmcnt(0)
	v_lshl_add_u64 v[8:9], v[76:77], 1, s[20:21]
	global_store_short_d16_hi v[8:9], v5, off
	v_add_f32_e32 v2, v2, v4
	s_waitcnt vmcnt(2)
	v_lshlrev_b32_e32 v4, 16, v6
	v_add_f32_e32 v4, v2, v4
	v_and_b32_e32 v2, 0x7f800000, v4
	v_cmp_ne_u32_e32 vcc, s44, v2
                                        ; implicit-def: $vgpr2
	s_and_saveexec_b64 s[6:7], vcc
	s_xor_b64 s[6:7], exec, s[6:7]
; %bb.77:                               ;   in Loop: Header=BB234_9 Depth=1
	v_bfe_u32 v2, v4, 16, 1
	v_add3_u32 v2, v4, v2, s10
                                        ; implicit-def: $vgpr4
; %bb.78:                               ;   in Loop: Header=BB234_9 Depth=1
	s_andn2_saveexec_b64 s[6:7], s[6:7]
; %bb.79:                               ;   in Loop: Header=BB234_9 Depth=1
	v_or_b32_e32 v2, 0x10000, v4
	v_cmp_eq_u32_sdwa vcc, v4, v79 src0_sel:WORD_0 src1_sel:DWORD
	s_nop 1
	v_cndmask_b32_e32 v2, v2, v4, vcc
; %bb.80:                               ;   in Loop: Header=BB234_9 Depth=1
	s_or_b64 exec, exec, s[6:7]
	v_cvt_f32_i32_e32 v1, v1
	v_add_u32_e32 v78, s11, v76
	v_lshl_add_u64 v[4:5], v[78:79], 1, s[20:21]
	global_store_short_d16_hi v[4:5], v2, off
	v_add_f32_e32 v0, v0, v1
	s_waitcnt vmcnt(2)
	v_lshlrev_b32_e32 v1, 16, v3
	v_add_f32_e32 v1, v0, v1
	v_and_b32_e32 v0, 0x7f800000, v1
	v_cmp_ne_u32_e32 vcc, s44, v0
                                        ; implicit-def: $vgpr0
	s_and_saveexec_b64 s[6:7], vcc
	s_xor_b64 s[6:7], exec, s[6:7]
; %bb.81:                               ;   in Loop: Header=BB234_9 Depth=1
	v_bfe_u32 v0, v1, 16, 1
	v_add3_u32 v0, v1, v0, s10
                                        ; implicit-def: $vgpr1
; %bb.82:                               ;   in Loop: Header=BB234_9 Depth=1
	s_andn2_saveexec_b64 s[6:7], s[6:7]
	s_cbranch_execz .LBB234_7
; %bb.83:                               ;   in Loop: Header=BB234_9 Depth=1
	v_or_b32_e32 v0, 0x10000, v1
	v_cmp_eq_u32_sdwa vcc, v1, v79 src0_sel:WORD_0 src1_sel:DWORD
	s_nop 1
	v_cndmask_b32_e32 v0, v0, v1, vcc
	s_branch .LBB234_7
.LBB234_84:
	s_endpgm
	.section	.rodata,"a",@progbits
	.p2align	6, 0x0
	.amdhsa_kernel _Z12wvSplitK_hf_I14__hip_bfloat16Li64ELi1ELi16ELi8ELi4ELi3EEviiiiiiPKT_S3_S3_PS1_ii
		.amdhsa_group_segment_fixed_size 65536
		.amdhsa_private_segment_fixed_size 0
		.amdhsa_kernarg_size 64
		.amdhsa_user_sgpr_count 2
		.amdhsa_user_sgpr_dispatch_ptr 0
		.amdhsa_user_sgpr_queue_ptr 0
		.amdhsa_user_sgpr_kernarg_segment_ptr 1
		.amdhsa_user_sgpr_dispatch_id 0
		.amdhsa_user_sgpr_kernarg_preload_length 0
		.amdhsa_user_sgpr_kernarg_preload_offset 0
		.amdhsa_user_sgpr_private_segment_size 0
		.amdhsa_uses_dynamic_stack 0
		.amdhsa_enable_private_segment 0
		.amdhsa_system_sgpr_workgroup_id_x 1
		.amdhsa_system_sgpr_workgroup_id_y 0
		.amdhsa_system_sgpr_workgroup_id_z 0
		.amdhsa_system_sgpr_workgroup_info 0
		.amdhsa_system_vgpr_workitem_id 1
		.amdhsa_next_free_vgpr 96
		.amdhsa_next_free_sgpr 46
		.amdhsa_accum_offset 96
		.amdhsa_reserve_vcc 1
		.amdhsa_float_round_mode_32 0
		.amdhsa_float_round_mode_16_64 0
		.amdhsa_float_denorm_mode_32 3
		.amdhsa_float_denorm_mode_16_64 3
		.amdhsa_dx10_clamp 1
		.amdhsa_ieee_mode 1
		.amdhsa_fp16_overflow 0
		.amdhsa_tg_split 0
		.amdhsa_exception_fp_ieee_invalid_op 0
		.amdhsa_exception_fp_denorm_src 0
		.amdhsa_exception_fp_ieee_div_zero 0
		.amdhsa_exception_fp_ieee_overflow 0
		.amdhsa_exception_fp_ieee_underflow 0
		.amdhsa_exception_fp_ieee_inexact 0
		.amdhsa_exception_int_div_zero 0
	.end_amdhsa_kernel
	.section	.text._Z12wvSplitK_hf_I14__hip_bfloat16Li64ELi1ELi16ELi8ELi4ELi3EEviiiiiiPKT_S3_S3_PS1_ii,"axG",@progbits,_Z12wvSplitK_hf_I14__hip_bfloat16Li64ELi1ELi16ELi8ELi4ELi3EEviiiiiiPKT_S3_S3_PS1_ii,comdat
.Lfunc_end234:
	.size	_Z12wvSplitK_hf_I14__hip_bfloat16Li64ELi1ELi16ELi8ELi4ELi3EEviiiiiiPKT_S3_S3_PS1_ii, .Lfunc_end234-_Z12wvSplitK_hf_I14__hip_bfloat16Li64ELi1ELi16ELi8ELi4ELi3EEviiiiiiPKT_S3_S3_PS1_ii
                                        ; -- End function
	.section	.AMDGPU.csdata,"",@progbits
; Kernel info:
; codeLenInByte = 3220
; NumSgprs: 52
; NumVgprs: 96
; NumAgprs: 0
; TotalNumVgprs: 96
; ScratchSize: 0
; MemoryBound: 1
; FloatMode: 240
; IeeeMode: 1
; LDSByteSize: 65536 bytes/workgroup (compile time only)
; SGPRBlocks: 6
; VGPRBlocks: 11
; NumSGPRsForWavesPerEU: 52
; NumVGPRsForWavesPerEU: 96
; AccumOffset: 96
; Occupancy: 4
; WaveLimiterHint : 0
; COMPUTE_PGM_RSRC2:SCRATCH_EN: 0
; COMPUTE_PGM_RSRC2:USER_SGPR: 2
; COMPUTE_PGM_RSRC2:TRAP_HANDLER: 0
; COMPUTE_PGM_RSRC2:TGID_X_EN: 1
; COMPUTE_PGM_RSRC2:TGID_Y_EN: 0
; COMPUTE_PGM_RSRC2:TGID_Z_EN: 0
; COMPUTE_PGM_RSRC2:TIDIG_COMP_CNT: 1
; COMPUTE_PGM_RSRC3_GFX90A:ACCUM_OFFSET: 23
; COMPUTE_PGM_RSRC3_GFX90A:TG_SPLIT: 0
	.section	.text._Z16wvSplitK_hf_big_I14__hip_bfloat16Li64ELi1ELi16ELi8ELi4ELi3EEviiiiiiPKT_S3_S3_PS1_ii,"axG",@progbits,_Z16wvSplitK_hf_big_I14__hip_bfloat16Li64ELi1ELi16ELi8ELi4ELi3EEviiiiiiPKT_S3_S3_PS1_ii,comdat
	.protected	_Z16wvSplitK_hf_big_I14__hip_bfloat16Li64ELi1ELi16ELi8ELi4ELi3EEviiiiiiPKT_S3_S3_PS1_ii ; -- Begin function _Z16wvSplitK_hf_big_I14__hip_bfloat16Li64ELi1ELi16ELi8ELi4ELi3EEviiiiiiPKT_S3_S3_PS1_ii
	.globl	_Z16wvSplitK_hf_big_I14__hip_bfloat16Li64ELi1ELi16ELi8ELi4ELi3EEviiiiiiPKT_S3_S3_PS1_ii
	.p2align	8
	.type	_Z16wvSplitK_hf_big_I14__hip_bfloat16Li64ELi1ELi16ELi8ELi4ELi3EEviiiiiiPKT_S3_S3_PS1_ii,@function
_Z16wvSplitK_hf_big_I14__hip_bfloat16Li64ELi1ELi16ELi8ELi4ELi3EEviiiiiiPKT_S3_S3_PS1_ii: ; @_Z16wvSplitK_hf_big_I14__hip_bfloat16Li64ELi1ELi16ELi8ELi4ELi3EEviiiiiiPKT_S3_S3_PS1_ii
; %bb.0:
	s_load_dwordx2 s[4:5], s[0:1], 0x38
	v_bfe_u32 v1, v0, 10, 10
	s_waitcnt lgkmcnt(0)
	v_cmp_gt_u32_e32 vcc, s4, v1
	s_and_saveexec_b64 s[6:7], vcc
	s_cbranch_execz .LBB235_50
; %bb.1:
	s_load_dwordx4 s[20:23], s[0:1], 0x0
	s_mul_i32 s2, s2, s4
	v_add_u32_e32 v76, s2, v1
	v_add_u32_e32 v2, 1, v76
	v_mov_b32_e32 v82, 1
	s_waitcnt lgkmcnt(0)
	v_cmp_gt_u32_e32 vcc, s23, v76
	v_cmp_le_u32_e64 s[2:3], s23, v2
	s_and_b64 s[6:7], vcc, s[2:3]
	s_and_saveexec_b64 s[2:3], s[6:7]
; %bb.2:
	v_subrev_u32_e32 v2, s23, v76
	v_cmp_eq_u32_e32 vcc, -1, v2
	s_add_i32 s6, s23, -1
	v_mov_b32_e32 v76, s6
	v_cndmask_b32_e64 v82, 0, 1, vcc
; %bb.3:
	s_or_b64 exec, exec, s[2:3]
	s_abs_i32 s2, s4
	v_cvt_f32_u32_e32 v2, s2
	s_sub_i32 s7, 0, s2
	s_abs_i32 s6, s23
	s_ashr_i32 s3, s23, 31
	v_rcp_iflag_f32_e32 v2, v2
	s_nop 0
	v_mul_f32_e32 v2, 0x4f7ffffe, v2
	v_cvt_u32_f32_e32 v2, v2
	s_nop 0
	v_readfirstlane_b32 s8, v2
	s_mul_i32 s7, s7, s8
	s_mul_hi_u32 s7, s8, s7
	s_add_i32 s8, s8, s7
	s_mul_hi_u32 s7, s6, s8
	s_mul_i32 s7, s7, s2
	s_sub_i32 s6, s6, s7
	s_sub_i32 s7, s6, s2
	s_cmp_ge_u32 s6, s2
	s_cselect_b32 s6, s7, s6
	s_sub_i32 s7, s6, s2
	s_cmp_ge_u32 s6, s2
	s_cselect_b32 s2, s7, s6
	s_xor_b32 s2, s2, s3
	s_sub_i32 s2, s2, s3
	s_add_i32 s3, s4, s23
	s_sub_i32 s3, s3, s2
	s_cmp_eq_u32 s2, 0
	s_cselect_b32 s33, s23, s3
	v_cmp_gt_u32_e32 vcc, s33, v76
	s_and_b64 exec, exec, vcc
	s_cbranch_execz .LBB235_50
; %bb.4:
	s_load_dwordx8 s[12:19], s[0:1], 0x10
	s_min_u32 s38, s22, 0x2800
	s_cmp_lg_u32 s20, 0
	s_cselect_b64 s[2:3], -1, 0
	s_cmp_lg_u32 s22, 0
	s_cselect_b64 s[6:7], -1, 0
	s_lshl_b32 s39, s4, 9
	s_add_i32 s40, s20, -8
	s_add_i32 s41, s23, -1
	s_waitcnt lgkmcnt(0)
	s_cmp_lg_u64 s[18:19], 0
	s_cselect_b64 s[26:27], -1, 0
	s_abs_i32 s8, s13
	v_cvt_f32_u32_e32 v2, s12
	v_cvt_f32_u32_e32 v3, s8
	s_mul_i32 s42, s5, s4
	s_sub_i32 s5, s42, s23
	v_rcp_iflag_f32_e32 v2, v2
	v_rcp_iflag_f32_e32 v3, v3
	s_add_i32 s13, s5, 2
	s_sub_i32 s5, 0, s12
	v_mul_f32_e32 v2, 0x4f7ffffe, v2
	v_mul_f32_e32 v3, 0x4f7ffffe, v3
	v_cvt_u32_f32_e32 v2, v2
	v_cvt_u32_f32_e32 v3, v3
	s_load_dwordx2 s[10:11], s[0:1], 0x30
	v_and_b32_e32 v0, 0x3ff, v0
	v_mul_lo_u32 v4, s5, v2
	s_sub_i32 s5, 0, s8
	v_readfirstlane_b32 s9, v3
	s_mul_i32 s5, s5, s9
	s_mul_hi_u32 s5, s9, s5
	s_add_i32 s9, s9, s5
	s_sub_i32 s5, 1, s8
	s_cmp_lt_u32 s8, 2
	s_cselect_b32 s5, s5, 1
	s_sub_i32 s28, s5, s8
	s_cmp_ge_u32 s5, s8
	s_cselect_b32 s43, s28, s5
	s_lshr_b32 s5, s9, 31
	s_mul_i32 s5, s5, s8
	s_sub_i32 s5, 2, s5
	s_sub_i32 s9, s5, s8
	s_cmp_ge_u32 s5, s8
	s_cselect_b32 s5, s9, s5
	v_lshlrev_b32_e32 v83, 3, v0
	v_cmp_eq_u32_e64 s[0:1], 63, v0
	s_sub_i32 s9, s5, s8
	v_lshlrev_b32_e32 v0, 4, v0
	s_cmp_ge_u32 s5, s8
	v_lshl_add_u32 v85, v1, 10, v0
	v_cndmask_b32_e64 v0, 0, 1, s[2:3]
	v_mul_hi_u32 v4, v2, v4
	s_cselect_b32 s44, s9, s5
	v_lshl_add_u32 v86, v1, 9, v83
	v_cmp_ne_u32_e64 s[2:3], 1, v0
	v_cndmask_b32_e64 v0, 0, 1, s[6:7]
	s_mov_b64 s[24:25], 0
	v_add_u32_e32 v84, v2, v4
	v_mov_b32_e32 v79, 0
	s_mul_i32 s43, s43, s12
	s_mul_i32 s44, s44, s12
	s_lshl_b32 s45, s38, 2
	s_lshl_b32 s46, s4, 10
	;; [unrolled: 1-line block ×3, first 2 shown]
	v_lshl_add_u32 v87, s22, 1, v86
	v_add_u32_e32 v88, s22, v86
	v_cmp_ne_u32_e64 s[4:5], 1, v0
	s_mov_b32 s48, 0x7f800000
	s_movk_i32 s49, 0x7fff
	s_branch .LBB235_7
.LBB235_5:                              ;   in Loop: Header=BB235_7 Depth=1
	s_or_b64 exec, exec, s[6:7]
.LBB235_6:                              ;   in Loop: Header=BB235_7 Depth=1
	s_or_b64 exec, exec, s[8:9]
	v_cmp_le_u32_e32 vcc, s33, v12
	s_or_b64 s[24:25], vcc, s[24:25]
	v_mov_b32_e32 v76, v12
	s_andn2_b64 exec, exec, s[24:25]
	s_cbranch_execz .LBB235_50
.LBB235_7:                              ; =>This Loop Header: Depth=1
                                        ;     Child Loop BB235_14 Depth 2
                                        ;       Child Loop BB235_19 Depth 3
	s_and_b64 vcc, exec, s[2:3]
	s_waitcnt vmcnt(0)
	v_mov_b32_e32 v3, v79
	v_mov_b32_e32 v2, v79
	;; [unrolled: 1-line block ×12, first 2 shown]
	s_cbranch_vccnz .LBB235_28
; %bb.8:                                ;   in Loop: Header=BB235_7 Depth=1
	v_min_u32_e32 v0, s41, v76
	v_mul_lo_u32 v78, v0, s21
	v_mov_b32_e32 v8, 0
	v_cmp_gt_u32_e64 s[6:7], s23, v76
	v_lshl_add_u64 v[80:81], v[78:79], 1, s[14:15]
	s_mov_b32 s50, 0
	s_mov_b32 s51, 0
	v_mov_b32_e32 v9, v8
	v_mov_b32_e32 v10, v8
	;; [unrolled: 1-line block ×11, first 2 shown]
	s_branch .LBB235_14
.LBB235_9:                              ;   in Loop: Header=BB235_14 Depth=2
	s_or_b64 exec, exec, s[36:37]
.LBB235_10:                             ;   in Loop: Header=BB235_14 Depth=2
	s_or_b64 exec, exec, s[34:35]
.LBB235_11:                             ;   in Loop: Header=BB235_14 Depth=2
	s_or_b64 exec, exec, s[30:31]
.LBB235_12:                             ;   in Loop: Header=BB235_14 Depth=2
	s_or_b64 exec, exec, s[28:29]
	s_waitcnt vmcnt(3) lgkmcnt(0)
	v_mfma_f32_4x4x4_16b_bf16 v[8:11], v[72:73], v[24:25], v[8:11]
	v_mfma_f32_4x4x4_16b_bf16 v[4:7], v[40:41], v[24:25], v[4:7]
	v_mfma_f32_4x4x4_16b_bf16 v[0:3], v[32:33], v[24:25], v[0:3]
	v_mfma_f32_4x4x4_16b_bf16 v[8:11], v[74:75], v[26:27], v[8:11]
	v_mfma_f32_4x4x4_16b_bf16 v[4:7], v[42:43], v[26:27], v[4:7]
	v_mfma_f32_4x4x4_16b_bf16 v[0:3], v[34:35], v[26:27], v[0:3]
	s_waitcnt vmcnt(2)
	v_mfma_f32_4x4x4_16b_bf16 v[8:11], v[60:61], v[16:17], v[8:11]
	v_mfma_f32_4x4x4_16b_bf16 v[4:7], v[52:53], v[16:17], v[4:7]
	v_mfma_f32_4x4x4_16b_bf16 v[0:3], v[36:37], v[16:17], v[0:3]
	v_mfma_f32_4x4x4_16b_bf16 v[8:11], v[62:63], v[18:19], v[8:11]
	v_mfma_f32_4x4x4_16b_bf16 v[4:7], v[54:55], v[18:19], v[4:7]
	v_mfma_f32_4x4x4_16b_bf16 v[0:3], v[38:39], v[18:19], v[0:3]
	s_waitcnt vmcnt(1)
	;; [unrolled: 7-line block ×3, first 2 shown]
	v_mfma_f32_4x4x4_16b_bf16 v[8:11], v[44:45], v[12:13], v[8:11]
	v_mfma_f32_4x4x4_16b_bf16 v[4:7], v[68:69], v[12:13], v[4:7]
	;; [unrolled: 1-line block ×6, first 2 shown]
.LBB235_13:                             ;   in Loop: Header=BB235_14 Depth=2
	s_or_b64 exec, exec, s[8:9]
	s_addk_i32 s51, 0x800
	s_cmp_ge_u32 s51, s20
	s_cbranch_scc1 .LBB235_28
.LBB235_14:                             ;   Parent Loop BB235_7 Depth=1
                                        ; =>  This Loop Header: Depth=2
                                        ;       Child Loop BB235_19 Depth 3
	s_cmp_eq_u32 s51, 0
	s_cselect_b64 s[8:9], -1, 0
	s_add_i32 s28, s50, s38
	s_cmp_eq_u32 s51, s28
	s_cselect_b64 s[30:31], -1, 0
	s_or_b64 s[30:31], s[8:9], s[30:31]
	s_andn2_b64 vcc, exec, s[30:31]
	s_cbranch_vccz .LBB235_16
; %bb.15:                               ;   in Loop: Header=BB235_14 Depth=2
	s_and_saveexec_b64 s[8:9], s[6:7]
	s_cbranch_execz .LBB235_13
	s_branch .LBB235_23
.LBB235_16:                             ;   in Loop: Header=BB235_14 Depth=2
	s_and_b64 s[8:9], s[8:9], exec
	s_cselect_b32 s50, s50, s28
	s_and_b64 vcc, exec, s[4:5]
	s_waitcnt lgkmcnt(0)
	s_barrier
	s_cbranch_vccnz .LBB235_22
; %bb.17:                               ;   in Loop: Header=BB235_14 Depth=2
	v_add_u32_e32 v12, s50, v87
	v_add_u32_e32 v13, s50, v88
	;; [unrolled: 1-line block ×3, first 2 shown]
	s_mov_b32 s34, 0
	s_mov_b64 s[28:29], 0
	v_mov_b32_e32 v15, v85
                                        ; implicit-def: $sgpr30_sgpr31
	s_branch .LBB235_19
.LBB235_18:                             ;   in Loop: Header=BB235_19 Depth=3
	s_or_b64 exec, exec, s[8:9]
	s_and_b64 s[8:9], exec, s[30:31]
	s_or_b64 s[28:29], s[8:9], s[28:29]
	s_andn2_b64 exec, exec, s[28:29]
	s_cbranch_execz .LBB235_21
.LBB235_19:                             ;   Parent Loop BB235_7 Depth=1
                                        ;     Parent Loop BB235_14 Depth=2
                                        ; =>    This Inner Loop Header: Depth=3
	v_add_u32_e32 v16, s34, v86
	v_add_u32_e32 v78, s34, v14
	v_cmp_gt_u32_e32 vcc, s22, v78
	v_cmp_gt_u32_e64 s[8:9], s38, v16
	s_and_b64 s[36:37], s[8:9], vcc
	s_or_b64 s[30:31], s[30:31], exec
	s_and_saveexec_b64 s[8:9], s[36:37]
	s_cbranch_execz .LBB235_18
; %bb.20:                               ;   in Loop: Header=BB235_19 Depth=3
	v_lshl_add_u64 v[24:25], v[78:79], 1, s[16:17]
	v_add_u32_e32 v78, s34, v13
	v_lshl_add_u64 v[26:27], v[78:79], 1, s[16:17]
	v_add_u32_e32 v78, s34, v12
	global_load_dwordx4 v[16:19], v[24:25], off
	global_load_dwordx4 v[20:23], v[26:27], off
	v_lshl_add_u64 v[24:25], v[78:79], 1, s[16:17]
	global_load_dwordx4 v[24:27], v[24:25], off
	s_add_i32 s34, s34, s39
	s_cmp_ge_u32 s34, s38
	s_cselect_b64 s[36:37], -1, 0
	s_andn2_b64 s[30:31], s[30:31], exec
	s_and_b64 s[36:37], s[36:37], exec
	v_add_u32_e32 v28, s47, v15
	v_add_u32_e32 v29, s45, v15
	s_or_b64 s[30:31], s[30:31], s[36:37]
	s_waitcnt vmcnt(2)
	ds_write_b128 v15, v[16:19]
	v_add_u32_e32 v15, s46, v15
	s_waitcnt vmcnt(1)
	ds_write2_b64 v28, v[20:21], v[22:23] offset1:1
	s_waitcnt vmcnt(0)
	ds_write2_b32 v29, v24, v25 offset1:1
	ds_write2_b32 v29, v26, v27 offset0:2 offset1:3
	s_branch .LBB235_18
.LBB235_21:                             ;   in Loop: Header=BB235_14 Depth=2
	s_or_b64 exec, exec, s[28:29]
.LBB235_22:                             ;   in Loop: Header=BB235_14 Depth=2
	s_waitcnt lgkmcnt(0)
	s_barrier
	s_and_saveexec_b64 s[8:9], s[6:7]
	s_cbranch_execz .LBB235_13
.LBB235_23:                             ;   in Loop: Header=BB235_14 Depth=2
	v_add_u32_e32 v90, s51, v83
	v_min_u32_e32 v78, s40, v90
	v_add_u32_e32 v92, 0x200, v90
	v_lshl_add_u64 v[12:13], v[78:79], 1, v[80:81]
	v_min_u32_e32 v78, s40, v92
	v_add_u32_e32 v89, 0x400, v90
	v_lshl_add_u64 v[14:15], v[78:79], 1, v[80:81]
	;; [unrolled: 3-line block ×3, first 2 shown]
	v_min_u32_e32 v78, s40, v77
	global_load_dwordx4 v[24:27], v[12:13], off nt
	global_load_dwordx4 v[16:19], v[14:15], off nt
	v_lshl_add_u64 v[30:31], v[78:79], 1, v[80:81]
	global_load_dwordx4 v[20:23], v[28:29], off nt
	global_load_dwordx4 v[12:15], v[30:31], off nt
	v_cmp_gt_u32_e32 vcc, s20, v90
	v_mov_b32_e32 v28, 0
	v_mov_b32_e32 v29, 0
	v_mov_b32_e32 v66, 0
	v_mov_b32_e32 v67, 0
	v_mov_b32_e32 v64, 0
	v_mov_b32_e32 v65, 0
	v_mov_b32_e32 v38, 0
	v_mov_b32_e32 v39, 0
	v_mov_b32_e32 v36, 0
	v_mov_b32_e32 v37, 0
	v_mov_b32_e32 v34, 0
	v_mov_b32_e32 v35, 0
	v_mov_b32_e32 v32, 0
	v_mov_b32_e32 v33, 0
	v_mov_b32_e32 v70, 0
	v_mov_b32_e32 v71, 0
	v_mov_b32_e32 v68, 0
	v_mov_b32_e32 v69, 0
	v_mov_b32_e32 v58, 0
	v_mov_b32_e32 v59, 0
	v_mov_b32_e32 v56, 0
	v_mov_b32_e32 v57, 0
	v_mov_b32_e32 v54, 0
	v_mov_b32_e32 v55, 0
	v_mov_b32_e32 v52, 0
	v_mov_b32_e32 v53, 0
	v_mov_b32_e32 v42, 0
	v_mov_b32_e32 v43, 0
	v_mov_b32_e32 v40, 0
	v_mov_b32_e32 v41, 0
	v_mov_b32_e32 v46, 0
	v_mov_b32_e32 v47, 0
	v_mov_b32_e32 v44, 0
	v_mov_b32_e32 v45, 0
	v_mov_b32_e32 v50, 0
	v_mov_b32_e32 v51, 0
	v_mov_b32_e32 v48, 0
	v_mov_b32_e32 v49, 0
	v_mov_b32_e32 v62, 0
	v_mov_b32_e32 v63, 0
	v_mov_b32_e32 v60, 0
	v_mov_b32_e32 v61, 0
	v_mov_b32_e32 v74, 0
	v_mov_b32_e32 v75, 0
	v_mov_b32_e32 v72, 0
	v_mov_b32_e32 v73, 0
	v_mov_b32_e32 v30, 0
	v_mov_b32_e32 v31, 0
	s_and_saveexec_b64 s[28:29], vcc
	s_cbranch_execz .LBB235_12
; %bb.24:                               ;   in Loop: Header=BB235_14 Depth=2
	v_subrev_u32_e32 v28, s50, v90
	v_lshlrev_b32_e32 v91, 1, v28
	v_add_u32_e32 v90, s47, v91
	v_add_u32_e32 v78, s47, v90
	ds_read_b128 v[72:75], v91
	ds_read_b128 v[40:43], v90
	;; [unrolled: 1-line block ×3, first 2 shown]
	v_cmp_gt_u32_e32 vcc, s20, v92
	v_mov_b32_e32 v31, 0
	v_mov_b32_e32 v30, 0
	;; [unrolled: 1-line block ×36, first 2 shown]
	s_and_saveexec_b64 s[30:31], vcc
	s_cbranch_execz .LBB235_11
; %bb.25:                               ;   in Loop: Header=BB235_14 Depth=2
	ds_read_b128 v[60:63], v91 offset:1024
	ds_read_b128 v[52:55], v90 offset:1024
	;; [unrolled: 1-line block ×3, first 2 shown]
	v_cmp_gt_u32_e32 vcc, s20, v89
	v_mov_b32_e32 v31, 0
	v_mov_b32_e32 v30, 0
	;; [unrolled: 1-line block ×24, first 2 shown]
	s_and_saveexec_b64 s[34:35], vcc
	s_cbranch_execz .LBB235_10
; %bb.26:                               ;   in Loop: Header=BB235_14 Depth=2
	ds_read_b128 v[48:51], v91 offset:2048
	ds_read_b128 v[56:59], v90 offset:2048
	;; [unrolled: 1-line block ×3, first 2 shown]
	v_cmp_gt_u32_e32 vcc, s20, v77
	v_mov_b32_e32 v31, 0
	v_mov_b32_e32 v30, 0
	;; [unrolled: 1-line block ×12, first 2 shown]
	s_and_saveexec_b64 s[36:37], vcc
	s_cbranch_execz .LBB235_9
; %bb.27:                               ;   in Loop: Header=BB235_14 Depth=2
	ds_read_b128 v[44:47], v91 offset:3072
	ds_read_b128 v[68:71], v90 offset:3072
	;; [unrolled: 1-line block ×3, first 2 shown]
	s_branch .LBB235_9
.LBB235_28:                             ;   in Loop: Header=BB235_7 Depth=1
	v_cmp_le_u32_e32 vcc, s23, v76
                                        ; implicit-def: $vgpr12
	s_and_saveexec_b64 s[6:7], vcc
	s_xor_b64 s[6:7], exec, s[6:7]
; %bb.29:                               ;   in Loop: Header=BB235_7 Depth=1
	v_add_u32_e32 v12, s42, v76
                                        ; implicit-def: $vgpr76
                                        ; implicit-def: $vgpr3
                                        ; implicit-def: $vgpr7
                                        ; implicit-def: $vgpr11
; %bb.30:                               ;   in Loop: Header=BB235_7 Depth=1
	s_andn2_saveexec_b64 s[8:9], s[6:7]
	s_cbranch_execz .LBB235_6
; %bb.31:                               ;   in Loop: Header=BB235_7 Depth=1
	v_cvt_i32_f32_e32 v9, v9
	v_cvt_i32_f32_e32 v10, v10
	v_cvt_i32_f32_e32 v11, v11
	v_cvt_i32_f32_e32 v5, v5
	v_cvt_f32_i32_dpp v9, v9 row_shl:1 row_mask:0xf bank_mask:0xf bound_ctrl:1
	v_cvt_i32_f32_e32 v1, v1
	v_cvt_f32_i32_dpp v10, v10 row_shl:2 row_mask:0xf bank_mask:0xf bound_ctrl:1
	v_cvt_i32_f32_e32 v6, v6
	v_cvt_i32_f32_e32 v2, v2
	v_cvt_f32_i32_dpp v11, v11 row_shl:3 row_mask:0xf bank_mask:0xf bound_ctrl:1
	v_cvt_i32_f32_e32 v7, v7
	v_cvt_i32_f32_e32 v3, v3
	v_add_f32_e32 v8, v8, v9
	v_cvt_f32_i32_dpp v5, v5 row_shl:1 row_mask:0xf bank_mask:0xf bound_ctrl:1
	v_cvt_f32_i32_dpp v1, v1 row_shl:1 row_mask:0xf bank_mask:0xf bound_ctrl:1
	v_add_f32_e32 v8, v8, v10
	v_cvt_f32_i32_dpp v6, v6 row_shl:2 row_mask:0xf bank_mask:0xf bound_ctrl:1
	v_cvt_f32_i32_dpp v2, v2 row_shl:2 row_mask:0xf bank_mask:0xf bound_ctrl:1
	;; [unrolled: 3-line block ×3, first 2 shown]
	v_cvt_i32_f32_e32 v9, v8
	v_add_f32_e32 v4, v4, v5
	v_add_f32_e32 v0, v0, v1
	;; [unrolled: 1-line block ×6, first 2 shown]
	v_cvt_f32_i32_dpp v9, v9 row_shl:4 row_mask:0xf bank_mask:0xf bound_ctrl:1
	v_cvt_i32_f32_e32 v7, v4
	v_cvt_i32_f32_e32 v1, v0
	v_add_f32_e32 v5, v8, v9
	v_cvt_f32_i32_dpp v3, v7 row_shl:4 row_mask:0xf bank_mask:0xf bound_ctrl:1
	v_cvt_f32_i32_dpp v1, v1 row_shl:4 row_mask:0xf bank_mask:0xf bound_ctrl:1
	v_cvt_i32_f32_e32 v6, v5
	v_add_f32_e32 v3, v4, v3
	v_add_f32_e32 v0, v0, v1
	v_cvt_f32_i32_dpp v2, v6 row_shl:8 row_mask:0xf bank_mask:0xf bound_ctrl:1
	v_cvt_i32_f32_e32 v4, v3
	v_cvt_i32_f32_e32 v1, v0
	v_add_f32_e32 v2, v5, v2
	v_cvt_f32_i32_dpp v4, v4 row_shl:8 row_mask:0xf bank_mask:0xf bound_ctrl:1
	v_cvt_f32_i32_dpp v1, v1 row_shl:8 row_mask:0xf bank_mask:0xf bound_ctrl:1
	v_cvt_i32_f32_e32 v2, v2
	v_add_f32_e32 v3, v3, v4
	v_add_f32_e32 v0, v0, v1
	v_cvt_f32_i32_dpp v2, v2 row_shr:15 row_mask:0xf bank_mask:0xf bound_ctrl:1
	v_cvt_i32_f32_e32 v3, v3
	v_cvt_i32_f32_e32 v0, v0
	s_nop 0
	v_cvt_f32_i32_dpp v1, v3 row_shr:15 row_mask:0xf bank_mask:0xf bound_ctrl:1
	v_cvt_i32_f32_e32 v3, v2
	v_cvt_f32_i32_dpp v0, v0 row_shr:15 row_mask:0xf bank_mask:0xf bound_ctrl:1
	v_cvt_i32_f32_e32 v4, v1
	v_cvt_f32_i32_dpp v3, v3 row_bcast:15 row_mask:0xf bank_mask:0xf bound_ctrl:1
	v_cvt_i32_f32_e32 v6, v0
	v_cvt_f32_i32_dpp v4, v4 row_bcast:15 row_mask:0xf bank_mask:0xf bound_ctrl:1
	v_add_f32_e32 v5, v2, v3
	v_cvt_f32_i32_dpp v3, v6 row_bcast:15 row_mask:0xf bank_mask:0xf bound_ctrl:1
	v_cvt_i32_f32_e32 v6, v5
	v_add_f32_e32 v2, v1, v4
	v_cvt_i32_f32_e32 v1, v2
	v_add_f32_e32 v0, v0, v3
	v_cvt_i32_f32_e32 v3, v0
	v_mov_b32_dpp v7, v6 row_bcast:31 row_mask:0xf bank_mask:0xf bound_ctrl:1
	v_mov_b32_dpp v4, v1 row_bcast:31 row_mask:0xf bank_mask:0xf bound_ctrl:1
	;; [unrolled: 1-line block ×3, first 2 shown]
	s_and_saveexec_b64 s[6:7], s[0:1]
	s_cbranch_execz .LBB235_48
; %bb.32:                               ;   in Loop: Header=BB235_7 Depth=1
	s_andn2_b64 vcc, exec, s[26:27]
	v_mov_b32_e32 v8, 0
	v_mov_b32_e32 v6, 0
	;; [unrolled: 1-line block ×3, first 2 shown]
	s_cbranch_vccnz .LBB235_34
; %bb.33:                               ;   in Loop: Header=BB235_7 Depth=1
	v_mul_hi_u32 v3, v76, v84
	v_mul_lo_u32 v3, v3, s12
	v_sub_u32_e32 v3, v76, v3
	v_subrev_u32_e32 v6, s12, v3
	v_cmp_le_u32_e32 vcc, s12, v3
	v_mov_b32_e32 v9, v79
	s_nop 0
	v_cndmask_b32_e32 v3, v3, v6, vcc
	v_subrev_u32_e32 v6, s12, v3
	v_cmp_le_u32_e32 vcc, s12, v3
	s_nop 1
	v_cndmask_b32_e32 v78, v3, v6, vcc
	v_lshl_add_u64 v[10:11], v[78:79], 1, s[18:19]
	v_add_u32_e32 v8, s43, v78
	v_add_u32_e32 v78, s44, v78
	v_lshl_add_u64 v[12:13], v[8:9], 1, s[18:19]
	v_lshl_add_u64 v[14:15], v[78:79], 1, s[18:19]
	global_load_ushort v8, v[10:11], off
	global_load_ushort v6, v[12:13], off
	global_load_ushort v3, v[14:15], off
.LBB235_34:                             ;   in Loop: Header=BB235_7 Depth=1
	v_cmp_ne_u32_e32 vcc, 0, v82
	s_and_b64 exec, exec, vcc
	s_cbranch_execz .LBB235_48
; %bb.35:                               ;   in Loop: Header=BB235_7 Depth=1
	v_cvt_f32_i32_e32 v7, v7
	v_add_f32_e32 v5, v5, v7
	s_waitcnt vmcnt(2)
	v_lshlrev_b32_e32 v7, 16, v8
	v_add_f32_e32 v7, v5, v7
	v_and_b32_e32 v5, 0x7f800000, v7
	v_cmp_ne_u32_e32 vcc, s48, v5
                                        ; implicit-def: $vgpr5
	s_and_saveexec_b64 s[28:29], vcc
	s_xor_b64 s[28:29], exec, s[28:29]
; %bb.36:                               ;   in Loop: Header=BB235_7 Depth=1
	v_bfe_u32 v5, v7, 16, 1
	v_add3_u32 v5, v7, v5, s49
                                        ; implicit-def: $vgpr7
; %bb.37:                               ;   in Loop: Header=BB235_7 Depth=1
	s_andn2_saveexec_b64 s[28:29], s[28:29]
; %bb.38:                               ;   in Loop: Header=BB235_7 Depth=1
	v_or_b32_e32 v5, 0x10000, v7
	v_cmp_eq_u32_sdwa vcc, v7, v79 src0_sel:WORD_0 src1_sel:DWORD
	s_nop 1
	v_cndmask_b32_e32 v5, v5, v7, vcc
; %bb.39:                               ;   in Loop: Header=BB235_7 Depth=1
	s_or_b64 exec, exec, s[28:29]
	v_cvt_f32_i32_e32 v4, v4
	v_mov_b32_e32 v77, v79
	s_waitcnt lgkmcnt(0)
	v_lshl_add_u64 v[8:9], v[76:77], 1, s[10:11]
	global_store_short_d16_hi v[8:9], v5, off
	v_add_f32_e32 v2, v2, v4
	s_waitcnt vmcnt(2)
	v_lshlrev_b32_e32 v4, 16, v6
	v_add_f32_e32 v4, v2, v4
	v_and_b32_e32 v2, 0x7f800000, v4
	v_cmp_ne_u32_e32 vcc, s48, v2
                                        ; implicit-def: $vgpr2
	s_and_saveexec_b64 s[28:29], vcc
	s_xor_b64 s[28:29], exec, s[28:29]
; %bb.40:                               ;   in Loop: Header=BB235_7 Depth=1
	v_bfe_u32 v2, v4, 16, 1
	v_add3_u32 v2, v4, v2, s49
                                        ; implicit-def: $vgpr4
; %bb.41:                               ;   in Loop: Header=BB235_7 Depth=1
	s_andn2_saveexec_b64 s[28:29], s[28:29]
; %bb.42:                               ;   in Loop: Header=BB235_7 Depth=1
	v_or_b32_e32 v2, 0x10000, v4
	v_cmp_eq_u32_sdwa vcc, v4, v79 src0_sel:WORD_0 src1_sel:DWORD
	s_nop 1
	v_cndmask_b32_e32 v2, v2, v4, vcc
; %bb.43:                               ;   in Loop: Header=BB235_7 Depth=1
	s_or_b64 exec, exec, s[28:29]
	v_cvt_f32_i32_e32 v1, v1
	v_add_u32_e32 v78, s23, v76
	v_lshl_add_u64 v[4:5], v[78:79], 1, s[10:11]
	global_store_short_d16_hi v[4:5], v2, off
	v_add_f32_e32 v0, v0, v1
	s_waitcnt vmcnt(2)
	v_lshlrev_b32_e32 v1, 16, v3
	v_add_f32_e32 v1, v0, v1
	v_and_b32_e32 v0, 0x7f800000, v1
	v_cmp_ne_u32_e32 vcc, s48, v0
                                        ; implicit-def: $vgpr0
	s_and_saveexec_b64 s[28:29], vcc
	s_xor_b64 s[28:29], exec, s[28:29]
; %bb.44:                               ;   in Loop: Header=BB235_7 Depth=1
	v_bfe_u32 v0, v1, 16, 1
	v_add3_u32 v0, v1, v0, s49
                                        ; implicit-def: $vgpr1
; %bb.45:                               ;   in Loop: Header=BB235_7 Depth=1
	s_andn2_saveexec_b64 s[28:29], s[28:29]
; %bb.46:                               ;   in Loop: Header=BB235_7 Depth=1
	v_or_b32_e32 v0, 0x10000, v1
	v_cmp_eq_u32_sdwa vcc, v1, v79 src0_sel:WORD_0 src1_sel:DWORD
	s_nop 1
	v_cndmask_b32_e32 v0, v0, v1, vcc
; %bb.47:                               ;   in Loop: Header=BB235_7 Depth=1
	s_or_b64 exec, exec, s[28:29]
	v_add_u32_e32 v78, s23, v78
	v_lshl_add_u64 v[2:3], v[78:79], 1, s[10:11]
	global_store_short_d16_hi v[2:3], v0, off
.LBB235_48:                             ;   in Loop: Header=BB235_7 Depth=1
	s_or_b64 exec, exec, s[6:7]
	v_add_u32_e32 v12, s42, v76
	v_add_u32_e32 v0, 1, v12
	v_cmp_gt_u32_e32 vcc, s23, v12
	v_cmp_le_u32_e64 s[6:7], s23, v0
	s_and_b64 s[28:29], vcc, s[6:7]
	s_and_saveexec_b64 s[6:7], s[28:29]
	s_cbranch_execz .LBB235_5
; %bb.49:                               ;   in Loop: Header=BB235_7 Depth=1
	v_add_u32_e32 v0, s13, v76
	v_cmp_eq_u32_e32 vcc, 1, v0
	v_mov_b32_e32 v12, s41
	s_nop 0
	v_cndmask_b32_e32 v82, 0, v82, vcc
	s_branch .LBB235_5
.LBB235_50:
	s_endpgm
	.section	.rodata,"a",@progbits
	.p2align	6, 0x0
	.amdhsa_kernel _Z16wvSplitK_hf_big_I14__hip_bfloat16Li64ELi1ELi16ELi8ELi4ELi3EEviiiiiiPKT_S3_S3_PS1_ii
		.amdhsa_group_segment_fixed_size 65536
		.amdhsa_private_segment_fixed_size 0
		.amdhsa_kernarg_size 64
		.amdhsa_user_sgpr_count 2
		.amdhsa_user_sgpr_dispatch_ptr 0
		.amdhsa_user_sgpr_queue_ptr 0
		.amdhsa_user_sgpr_kernarg_segment_ptr 1
		.amdhsa_user_sgpr_dispatch_id 0
		.amdhsa_user_sgpr_kernarg_preload_length 0
		.amdhsa_user_sgpr_kernarg_preload_offset 0
		.amdhsa_user_sgpr_private_segment_size 0
		.amdhsa_uses_dynamic_stack 0
		.amdhsa_enable_private_segment 0
		.amdhsa_system_sgpr_workgroup_id_x 1
		.amdhsa_system_sgpr_workgroup_id_y 0
		.amdhsa_system_sgpr_workgroup_id_z 0
		.amdhsa_system_sgpr_workgroup_info 0
		.amdhsa_system_vgpr_workitem_id 1
		.amdhsa_next_free_vgpr 93
		.amdhsa_next_free_sgpr 52
		.amdhsa_accum_offset 96
		.amdhsa_reserve_vcc 1
		.amdhsa_float_round_mode_32 0
		.amdhsa_float_round_mode_16_64 0
		.amdhsa_float_denorm_mode_32 3
		.amdhsa_float_denorm_mode_16_64 3
		.amdhsa_dx10_clamp 1
		.amdhsa_ieee_mode 1
		.amdhsa_fp16_overflow 0
		.amdhsa_tg_split 0
		.amdhsa_exception_fp_ieee_invalid_op 0
		.amdhsa_exception_fp_denorm_src 0
		.amdhsa_exception_fp_ieee_div_zero 0
		.amdhsa_exception_fp_ieee_overflow 0
		.amdhsa_exception_fp_ieee_underflow 0
		.amdhsa_exception_fp_ieee_inexact 0
		.amdhsa_exception_int_div_zero 0
	.end_amdhsa_kernel
	.section	.text._Z16wvSplitK_hf_big_I14__hip_bfloat16Li64ELi1ELi16ELi8ELi4ELi3EEviiiiiiPKT_S3_S3_PS1_ii,"axG",@progbits,_Z16wvSplitK_hf_big_I14__hip_bfloat16Li64ELi1ELi16ELi8ELi4ELi3EEviiiiiiPKT_S3_S3_PS1_ii,comdat
.Lfunc_end235:
	.size	_Z16wvSplitK_hf_big_I14__hip_bfloat16Li64ELi1ELi16ELi8ELi4ELi3EEviiiiiiPKT_S3_S3_PS1_ii, .Lfunc_end235-_Z16wvSplitK_hf_big_I14__hip_bfloat16Li64ELi1ELi16ELi8ELi4ELi3EEviiiiiiPKT_S3_S3_PS1_ii
                                        ; -- End function
	.section	.AMDGPU.csdata,"",@progbits
; Kernel info:
; codeLenInByte = 3004
; NumSgprs: 58
; NumVgprs: 93
; NumAgprs: 0
; TotalNumVgprs: 93
; ScratchSize: 0
; MemoryBound: 0
; FloatMode: 240
; IeeeMode: 1
; LDSByteSize: 65536 bytes/workgroup (compile time only)
; SGPRBlocks: 7
; VGPRBlocks: 11
; NumSGPRsForWavesPerEU: 58
; NumVGPRsForWavesPerEU: 93
; AccumOffset: 96
; Occupancy: 4
; WaveLimiterHint : 0
; COMPUTE_PGM_RSRC2:SCRATCH_EN: 0
; COMPUTE_PGM_RSRC2:USER_SGPR: 2
; COMPUTE_PGM_RSRC2:TRAP_HANDLER: 0
; COMPUTE_PGM_RSRC2:TGID_X_EN: 1
; COMPUTE_PGM_RSRC2:TGID_Y_EN: 0
; COMPUTE_PGM_RSRC2:TGID_Z_EN: 0
; COMPUTE_PGM_RSRC2:TIDIG_COMP_CNT: 1
; COMPUTE_PGM_RSRC3_GFX90A:ACCUM_OFFSET: 23
; COMPUTE_PGM_RSRC3_GFX90A:TG_SPLIT: 0
	.section	.text._Z16wvSplitK_hf_sml_I14__hip_bfloat16Li64ELi2ELi16ELi8ELi2ELi3EEviiiiiiPKT_S3_S3_PS1_ii,"axG",@progbits,_Z16wvSplitK_hf_sml_I14__hip_bfloat16Li64ELi2ELi16ELi8ELi2ELi3EEviiiiiiPKT_S3_S3_PS1_ii,comdat
	.protected	_Z16wvSplitK_hf_sml_I14__hip_bfloat16Li64ELi2ELi16ELi8ELi2ELi3EEviiiiiiPKT_S3_S3_PS1_ii ; -- Begin function _Z16wvSplitK_hf_sml_I14__hip_bfloat16Li64ELi2ELi16ELi8ELi2ELi3EEviiiiiiPKT_S3_S3_PS1_ii
	.globl	_Z16wvSplitK_hf_sml_I14__hip_bfloat16Li64ELi2ELi16ELi8ELi2ELi3EEviiiiiiPKT_S3_S3_PS1_ii
	.p2align	8
	.type	_Z16wvSplitK_hf_sml_I14__hip_bfloat16Li64ELi2ELi16ELi8ELi2ELi3EEviiiiiiPKT_S3_S3_PS1_ii,@function
_Z16wvSplitK_hf_sml_I14__hip_bfloat16Li64ELi2ELi16ELi8ELi2ELi3EEviiiiiiPKT_S3_S3_PS1_ii: ; @_Z16wvSplitK_hf_sml_I14__hip_bfloat16Li64ELi2ELi16ELi8ELi2ELi3EEviiiiiiPKT_S3_S3_PS1_ii
; %bb.0:
	s_load_dwordx4 s[4:7], s[0:1], 0x0
	s_load_dwordx2 s[8:9], s[0:1], 0x10
	s_load_dwordx2 s[10:11], s[0:1], 0x28
	v_and_b32_e32 v2, 0x3ff, v0
	v_bfe_u32 v3, v0, 10, 10
	v_lshlrev_b32_e32 v72, 3, v2
	s_waitcnt lgkmcnt(0)
	s_mul_i32 s3, s6, 3
	v_lshl_add_u32 v4, v3, 9, v72
	s_min_u32 s3, s3, 0x8000
	v_cmp_gt_u32_e32 vcc, s3, v4
	s_and_saveexec_b64 s[12:13], vcc
	s_cbranch_execz .LBB236_3
; %bb.1:
	s_load_dwordx2 s[14:15], s[0:1], 0x20
	v_mov_b32_e32 v7, 0
	v_lshlrev_b32_e32 v6, 10, v3
	v_lshlrev_b32_e32 v8, 4, v2
	v_mov_b32_e32 v9, v7
	v_lshl_add_u64 v[0:1], v[6:7], 0, v[8:9]
	s_waitcnt lgkmcnt(0)
	v_lshl_add_u64 v[0:1], s[14:15], 0, v[0:1]
	v_add_u32_e32 v5, v6, v8
	s_mov_b64 s[14:15], 0
	s_mov_b64 s[16:17], 0x4000
.LBB236_2:                              ; =>This Inner Loop Header: Depth=1
	global_load_dwordx4 v[6:9], v[0:1], off
	v_add_u32_e32 v4, 0x2000, v4
	v_cmp_le_u32_e32 vcc, s3, v4
	v_lshl_add_u64 v[0:1], v[0:1], 0, s[16:17]
	s_or_b64 s[14:15], vcc, s[14:15]
	s_waitcnt vmcnt(0)
	ds_write_b128 v5, v[6:9]
	v_add_u32_e32 v5, 0x4000, v5
	s_andn2_b64 exec, exec, s[14:15]
	s_cbranch_execnz .LBB236_2
.LBB236_3:
	s_or_b64 exec, exec, s[12:13]
	s_load_dwordx2 s[16:17], s[0:1], 0x38
	s_waitcnt lgkmcnt(0)
	s_barrier
	v_cmp_gt_u32_e32 vcc, s16, v3
	s_and_saveexec_b64 s[12:13], vcc
	s_cbranch_execz .LBB236_42
; %bb.4:
	s_mul_i32 s2, s2, s16
	v_add_lshl_u32 v56, s2, v3, 1
	v_cmp_gt_u32_e32 vcc, s7, v56
	s_and_b64 exec, exec, vcc
	s_cbranch_execz .LBB236_42
; %bb.5:
	s_cmp_lg_u32 s4, 0
	s_cselect_b64 s[2:3], -1, 0
	s_add_i32 s24, s4, -8
	s_add_i32 s25, s7, -1
	s_cmp_lg_u64 s[10:11], 0
	s_cselect_b64 s[18:19], -1, 0
	s_abs_i32 s21, s9
	v_cvt_f32_u32_e32 v0, s8
	v_cvt_f32_u32_e32 v1, s21
	s_mul_i32 s20, s16, s17
	s_lshl_b32 s9, s20, 1
	v_rcp_iflag_f32_e32 v0, v0
	v_rcp_iflag_f32_e32 v1, v1
	s_sub_i32 s20, 0, s8
	s_load_dwordx2 s[12:13], s[0:1], 0x18
	s_load_dwordx2 s[14:15], s[0:1], 0x30
	v_mul_f32_e32 v0, 0x4f7ffffe, v0
	v_mul_f32_e32 v1, 0x4f7ffffe, v1
	v_cvt_u32_f32_e32 v0, v0
	v_cvt_u32_f32_e32 v1, v1
	v_cmp_eq_u32_e64 s[0:1], 63, v2
	s_mov_b64 s[16:17], 0
	v_mul_lo_u32 v3, s20, v0
	s_sub_i32 s20, 0, s21
	v_readfirstlane_b32 s22, v1
	s_mul_i32 s20, s20, s22
	s_mul_hi_u32 s20, s22, s20
	s_add_i32 s22, s22, s20
	s_sub_i32 s20, 1, s21
	s_cmp_lt_u32 s21, 2
	s_cselect_b32 s20, s20, 1
	s_sub_i32 s23, s20, s21
	s_cmp_ge_u32 s20, s21
	s_cselect_b32 s26, s23, s20
	s_lshr_b32 s20, s22, 31
	s_mul_i32 s20, s20, s21
	s_sub_i32 s20, 2, s20
	s_sub_i32 s22, s20, s21
	s_cmp_ge_u32 s20, s21
	s_cselect_b32 s20, s22, s20
	s_sub_i32 s22, s20, s21
	v_mul_hi_u32 v3, v0, v3
	s_cmp_ge_u32 s20, s21
	v_add_u32_e32 v73, v0, v3
	s_cselect_b32 s27, s22, s20
	v_cndmask_b32_e64 v0, 0, 1, s[2:3]
	v_mov_b32_e32 v59, 0
	s_mul_i32 s26, s26, s8
	s_mul_i32 s27, s27, s8
	s_lshl_b32 s28, s6, 2
	v_lshlrev_b32_e32 v74, 4, v2
	s_lshl_b32 s6, s6, 1
	v_cmp_ne_u32_e64 s[2:3], 1, v0
	s_mov_b32 s29, 0x7f800000
	s_movk_i32 s30, 0x7fff
	s_branch .LBB236_8
.LBB236_6:                              ;   in Loop: Header=BB236_8 Depth=1
	s_or_b64 exec, exec, s[22:23]
	global_store_short_d16_hi v[0:1], v3, off offset:2
.LBB236_7:                              ;   in Loop: Header=BB236_8 Depth=1
	s_or_b64 exec, exec, s[20:21]
	v_add_u32_e32 v56, s9, v56
	v_cmp_le_u32_e32 vcc, s7, v56
	s_or_b64 s[16:17], vcc, s[16:17]
	s_andn2_b64 exec, exec, s[16:17]
	s_cbranch_execz .LBB236_42
.LBB236_8:                              ; =>This Loop Header: Depth=1
                                        ;     Child Loop BB236_12 Depth 2
	s_and_b64 vcc, exec, s[2:3]
	v_mov_b32_e32 v7, v59
	v_mov_b32_e32 v6, v59
	;; [unrolled: 1-line block ×24, first 2 shown]
	s_cbranch_vccnz .LBB236_15
; %bb.9:                                ;   in Loop: Header=BB236_8 Depth=1
	v_min_u32_e32 v0, s25, v56
	v_mul_lo_u32 v58, v0, s5
	v_or_b32_e32 v0, 1, v56
	v_min_u32_e32 v0, s25, v0
	v_mul_lo_u32 v0, v0, s5
	v_mov_b32_e32 v1, v59
	v_mov_b32_e32 v16, 0
	s_mov_b32 s31, 0
	v_lshlrev_b64 v[60:61], 1, v[58:59]
	v_lshlrev_b64 v[62:63], 1, v[0:1]
	v_mov_b32_e32 v57, v74
	v_mov_b32_e32 v17, v16
	;; [unrolled: 1-line block ×24, first 2 shown]
	s_branch .LBB236_12
.LBB236_10:                             ;   in Loop: Header=BB236_12 Depth=2
	s_or_b64 exec, exec, s[22:23]
.LBB236_11:                             ;   in Loop: Header=BB236_12 Depth=2
	s_or_b64 exec, exec, s[20:21]
	s_waitcnt vmcnt(3) lgkmcnt(1)
	v_mfma_f32_4x4x4_16b_bf16 v[20:23], v[52:53], v[36:37], v[20:23]
	s_addk_i32 s31, 0x400
	s_waitcnt vmcnt(2)
	v_mfma_f32_4x4x4_16b_bf16 v[16:19], v[52:53], v[32:33], v[16:19]
	v_add_u32_e32 v57, 0x800, v57
	v_mfma_f32_4x4x4_16b_bf16 v[12:15], v[44:45], v[36:37], v[12:15]
	s_cmp_ge_u32 s31, s4
	v_mfma_f32_4x4x4_16b_bf16 v[8:11], v[44:45], v[32:33], v[8:11]
	v_mfma_f32_4x4x4_16b_bf16 v[0:3], v[70:71], v[36:37], v[0:3]
	;; [unrolled: 1-line block ×7, first 2 shown]
	s_waitcnt lgkmcnt(0)
	v_mfma_f32_4x4x4_16b_bf16 v[0:3], v[68:69], v[38:39], v[0:3]
	v_mfma_f32_4x4x4_16b_bf16 v[4:7], v[68:69], v[34:35], v[4:7]
	s_waitcnt vmcnt(1)
	v_mfma_f32_4x4x4_16b_bf16 v[20:23], v[48:49], v[28:29], v[20:23]
	s_waitcnt vmcnt(0)
	v_mfma_f32_4x4x4_16b_bf16 v[16:19], v[48:49], v[24:25], v[16:19]
	v_mfma_f32_4x4x4_16b_bf16 v[12:15], v[40:41], v[28:29], v[12:15]
	;; [unrolled: 1-line block ×11, first 2 shown]
	s_cbranch_scc1 .LBB236_15
.LBB236_12:                             ;   Parent Loop BB236_8 Depth=1
                                        ; =>  This Inner Loop Header: Depth=2
	v_add_u32_e32 v44, s31, v72
	v_min_u32_e32 v58, s24, v44
	s_waitcnt lgkmcnt(0)
	v_lshl_add_u64 v[24:25], v[58:59], 1, s[12:13]
	v_add_u32_e32 v75, 0x200, v44
	v_lshl_add_u64 v[26:27], v[24:25], 0, v[60:61]
	v_lshl_add_u64 v[24:25], v[24:25], 0, v[62:63]
	v_min_u32_e32 v58, s24, v75
	global_load_dwordx4 v[36:39], v[26:27], off nt
	global_load_dwordx4 v[32:35], v[24:25], off nt
	v_lshl_add_u64 v[24:25], v[58:59], 1, s[12:13]
	v_lshl_add_u64 v[40:41], v[24:25], 0, v[60:61]
	;; [unrolled: 1-line block ×3, first 2 shown]
	global_load_dwordx4 v[28:31], v[40:41], off nt
	global_load_dwordx4 v[24:27], v[42:43], off nt
	v_cmp_gt_u32_e32 vcc, s4, v44
	v_mov_b32_e32 v64, 0
	v_mov_b32_e32 v65, 0
	;; [unrolled: 1-line block ×24, first 2 shown]
	s_and_saveexec_b64 s[20:21], vcc
	s_cbranch_execz .LBB236_11
; %bb.13:                               ;   in Loop: Header=BB236_12 Depth=2
	v_add_u32_e32 v58, s6, v57
	v_add_u32_e32 v76, s28, v57
	ds_read_b128 v[44:47], v58
	ds_read2_b32 v[70:71], v76 offset1:1
	ds_read_b128 v[52:55], v57
	ds_read2_b32 v[68:69], v76 offset0:2 offset1:3
	v_cmp_gt_u32_e32 vcc, s4, v75
	v_mov_b32_e32 v49, 0
	v_mov_b32_e32 v48, 0
	;; [unrolled: 1-line block ×12, first 2 shown]
	s_and_saveexec_b64 s[22:23], vcc
	s_cbranch_execz .LBB236_10
; %bb.14:                               ;   in Loop: Header=BB236_12 Depth=2
	v_add_u32_e32 v48, 0x400, v76
	ds_read_b128 v[40:43], v58 offset:1024
	ds_read2_b32 v[66:67], v48 offset1:1
	v_add_u32_e32 v58, 0x408, v76
	ds_read_b128 v[48:51], v57 offset:1024
	ds_read2_b32 v[64:65], v58 offset1:1
	s_branch .LBB236_10
.LBB236_15:                             ;   in Loop: Header=BB236_8 Depth=1
	; sched_barrier mask(0x00000000)
	v_cvt_i32_f32_e32 v21, v21
	v_cvt_i32_f32_e32 v22, v22
	;; [unrolled: 1-line block ×4, first 2 shown]
	v_cvt_f32_i32_dpp v21, v21 row_shl:1 row_mask:0xf bank_mask:0xf bound_ctrl:1
	v_cvt_f32_i32_dpp v22, v22 row_shl:2 row_mask:0xf bank_mask:0xf bound_ctrl:1
	v_cvt_i32_f32_e32 v18, v18
	v_cvt_f32_i32_dpp v23, v23 row_shl:3 row_mask:0xf bank_mask:0xf bound_ctrl:1
	v_cvt_i32_f32_e32 v19, v19
	v_add_f32_e32 v20, v20, v21
	v_cvt_f32_i32_dpp v17, v17 row_shl:1 row_mask:0xf bank_mask:0xf bound_ctrl:1
	v_add_f32_e32 v20, v20, v22
	v_cvt_f32_i32_dpp v18, v18 row_shl:2 row_mask:0xf bank_mask:0xf bound_ctrl:1
	v_add_f32_e32 v20, v20, v23
	v_cvt_f32_i32_dpp v19, v19 row_shl:3 row_mask:0xf bank_mask:0xf bound_ctrl:1
	v_cvt_i32_f32_e32 v21, v20
	v_add_f32_e32 v16, v16, v17
	v_add_f32_e32 v16, v16, v18
	;; [unrolled: 1-line block ×3, first 2 shown]
	v_cvt_i32_f32_e32 v17, v16
	v_cvt_f32_i32_dpp v18, v21 row_shl:4 row_mask:0xf bank_mask:0xf bound_ctrl:1
	v_cvt_i32_f32_e32 v1, v1
	v_cvt_i32_f32_e32 v13, v13
	v_cvt_f32_i32_dpp v17, v17 row_shl:4 row_mask:0xf bank_mask:0xf bound_ctrl:1
	v_add_f32_e32 v18, v20, v18
	v_cvt_i32_f32_e32 v19, v18
	v_cvt_i32_f32_e32 v2, v2
	v_add_f32_e32 v16, v16, v17
	v_cvt_i32_f32_e32 v17, v16
	v_cvt_f32_i32_dpp v19, v19 row_shl:8 row_mask:0xf bank_mask:0xf bound_ctrl:1
	v_cvt_i32_f32_e32 v14, v14
	v_cvt_i32_f32_e32 v15, v15
	v_cvt_f32_i32_dpp v17, v17 row_shl:8 row_mask:0xf bank_mask:0xf bound_ctrl:1
	v_add_f32_e32 v18, v18, v19
	v_cvt_i32_f32_e32 v18, v18
	v_cvt_f32_i32_dpp v1, v1 row_shl:1 row_mask:0xf bank_mask:0xf bound_ctrl:1
	v_add_f32_e32 v16, v16, v17
	v_cvt_i32_f32_e32 v16, v16
	v_cvt_f32_i32_dpp v17, v18 row_shr:15 row_mask:0xf bank_mask:0xf bound_ctrl:1
	v_cvt_f32_i32_dpp v13, v13 row_shl:1 row_mask:0xf bank_mask:0xf bound_ctrl:1
	v_cvt_i32_f32_e32 v9, v9
	v_cvt_f32_i32_dpp v2, v2 row_shl:2 row_mask:0xf bank_mask:0xf bound_ctrl:1
	v_cvt_i32_f32_e32 v3, v3
	;; [unrolled: 2-line block ×4, first 2 shown]
	v_cvt_i32_f32_e32 v18, v17
	v_cvt_f32_i32_dpp v16, v16 row_shr:15 row_mask:0xf bank_mask:0xf bound_ctrl:1
	v_add_f32_e32 v0, v0, v1
	v_add_f32_e32 v12, v12, v13
	v_cvt_f32_i32_dpp v9, v9 row_shl:1 row_mask:0xf bank_mask:0xf bound_ctrl:1
	v_add_f32_e32 v0, v0, v2
	v_cvt_f32_i32_dpp v1, v3 row_shl:3 row_mask:0xf bank_mask:0xf bound_ctrl:1
	v_cvt_i32_f32_e32 v2, v5
	v_add_f32_e32 v12, v12, v14
	v_cvt_f32_i32_dpp v10, v10 row_shl:2 row_mask:0xf bank_mask:0xf bound_ctrl:1
	v_cvt_i32_f32_e32 v3, v6
	;; [unrolled: 3-line block ×3, first 2 shown]
	v_cvt_f32_i32_dpp v18, v18 row_bcast:15 row_mask:0xf bank_mask:0xf bound_ctrl:1
	v_cvt_i32_f32_e32 v19, v16
	v_cvt_i32_f32_e32 v12, v14
	v_add_f32_e32 v8, v8, v9
	v_add_f32_e32 v0, v0, v1
	v_cvt_f32_i32_dpp v1, v2 row_shl:1 row_mask:0xf bank_mask:0xf bound_ctrl:1
	v_add_f32_e32 v8, v8, v10
	v_cvt_f32_i32_dpp v2, v3 row_shl:2 row_mask:0xf bank_mask:0xf bound_ctrl:1
	;; [unrolled: 2-line block ×3, first 2 shown]
	v_cvt_f32_i32_dpp v15, v19 row_bcast:15 row_mask:0xf bank_mask:0xf bound_ctrl:1
	v_add_f32_e32 v13, v17, v18
	v_cvt_f32_i32_dpp v17, v12 row_shl:4 row_mask:0xf bank_mask:0xf bound_ctrl:1
	v_cvt_i32_f32_e32 v10, v9
	v_add_f32_e32 v1, v4, v1
	v_add_f32_e32 v1, v1, v2
	;; [unrolled: 1-line block ×5, first 2 shown]
	v_cvt_f32_i32_dpp v10, v10 row_shl:4 row_mask:0xf bank_mask:0xf bound_ctrl:1
	v_cvt_i32_f32_e32 v5, v0
	v_cvt_i32_f32_e32 v2, v1
	;; [unrolled: 1-line block ×3, first 2 shown]
	v_add_f32_e32 v9, v9, v10
	v_cvt_f32_i32_dpp v4, v5 row_shl:4 row_mask:0xf bank_mask:0xf bound_ctrl:1
	v_cvt_f32_i32_dpp v2, v2 row_shl:4 row_mask:0xf bank_mask:0xf bound_ctrl:1
	;; [unrolled: 1-line block ×3, first 2 shown]
	v_cvt_i32_f32_e32 v10, v9
	v_add_f32_e32 v0, v0, v4
	v_add_f32_e32 v1, v1, v2
	;; [unrolled: 1-line block ×3, first 2 shown]
	v_cvt_f32_i32_dpp v3, v10 row_shl:8 row_mask:0xf bank_mask:0xf bound_ctrl:1
	v_cvt_i32_f32_e32 v4, v0
	v_cvt_i32_f32_e32 v2, v1
	;; [unrolled: 1-line block ×3, first 2 shown]
	v_add_f32_e32 v3, v9, v3
	v_cvt_f32_i32_dpp v4, v4 row_shl:8 row_mask:0xf bank_mask:0xf bound_ctrl:1
	v_cvt_f32_i32_dpp v2, v2 row_shl:8 row_mask:0xf bank_mask:0xf bound_ctrl:1
	v_cvt_f32_i32_dpp v5, v11 row_shr:15 row_mask:0xf bank_mask:0xf bound_ctrl:1
	v_cvt_i32_f32_e32 v3, v3
	v_add_f32_e32 v0, v0, v4
	v_add_f32_e32 v1, v1, v2
	v_cvt_i32_f32_e32 v6, v5
	v_cvt_f32_i32_dpp v3, v3 row_shr:15 row_mask:0xf bank_mask:0xf bound_ctrl:1
	v_cvt_i32_f32_e32 v0, v0
	v_cvt_i32_f32_e32 v1, v1
	v_cvt_f32_i32_dpp v2, v6 row_bcast:15 row_mask:0xf bank_mask:0xf bound_ctrl:1
	v_cvt_i32_f32_e32 v4, v3
	v_cvt_f32_i32_dpp v0, v0 row_shr:15 row_mask:0xf bank_mask:0xf bound_ctrl:1
	v_cvt_f32_i32_dpp v1, v1 row_shr:15 row_mask:0xf bank_mask:0xf bound_ctrl:1
	v_add_f32_e32 v11, v5, v2
	v_cvt_f32_i32_dpp v4, v4 row_bcast:15 row_mask:0xf bank_mask:0xf bound_ctrl:1
	v_cvt_i32_f32_e32 v2, v0
	v_cvt_i32_f32_e32 v5, v1
	v_cvt_i32_f32_e32 v18, v13
	v_add_f32_e32 v7, v3, v4
	v_cvt_f32_i32_dpp v2, v2 row_bcast:15 row_mask:0xf bank_mask:0xf bound_ctrl:1
	v_cvt_f32_i32_dpp v3, v5 row_bcast:15 row_mask:0xf bank_mask:0xf bound_ctrl:1
	v_cvt_i32_f32_e32 v15, v12
	v_cvt_i32_f32_e32 v6, v11
	v_add_f32_e32 v4, v0, v2
	v_add_f32_e32 v2, v1, v3
	v_cvt_i32_f32_e32 v5, v7
	v_cvt_i32_f32_e32 v0, v4
	;; [unrolled: 1-line block ×3, first 2 shown]
	v_mov_b32_dpp v14, v18 row_bcast:31 row_mask:0xf bank_mask:0xf bound_ctrl:1
	v_mov_b32_dpp v8, v15 row_bcast:31 row_mask:0xf bank_mask:0xf bound_ctrl:1
	;; [unrolled: 1-line block ×6, first 2 shown]
	s_and_saveexec_b64 s[20:21], s[0:1]
	s_cbranch_execz .LBB236_7
; %bb.16:                               ;   in Loop: Header=BB236_8 Depth=1
	s_andn2_b64 vcc, exec, s[18:19]
	v_mov_b32_e32 v0, 0
	v_mov_b32_e32 v18, 0
	;; [unrolled: 1-line block ×6, first 2 shown]
	s_cbranch_vccnz .LBB236_18
; %bb.17:                               ;   in Loop: Header=BB236_8 Depth=1
	v_mul_hi_u32 v0, v56, v73
	v_mul_lo_u32 v0, v0, s8
	v_sub_u32_e32 v0, v56, v0
	v_subrev_u32_e32 v1, s8, v0
	v_cmp_le_u32_e32 vcc, s8, v0
	v_mov_b32_e32 v17, v59
	s_nop 0
	v_cndmask_b32_e32 v0, v0, v1, vcc
	v_subrev_u32_e32 v1, s8, v0
	v_cmp_le_u32_e32 vcc, s8, v0
	s_nop 1
	v_cndmask_b32_e32 v58, v0, v1, vcc
	v_or_b32_e32 v0, 1, v56
	v_mul_hi_u32 v1, v0, v73
	v_mul_lo_u32 v1, v1, s8
	v_sub_u32_e32 v0, v0, v1
	v_subrev_u32_e32 v1, s8, v0
	v_cmp_le_u32_e32 vcc, s8, v0
	v_lshl_add_u64 v[20:21], v[58:59], 1, s[10:11]
	v_add_u32_e32 v16, s26, v58
	v_cndmask_b32_e32 v0, v0, v1, vcc
	v_subrev_u32_e32 v1, s8, v0
	v_cmp_le_u32_e32 vcc, s8, v0
	v_add_u32_e32 v58, s27, v58
	v_lshl_add_u64 v[24:25], v[16:17], 1, s[10:11]
	v_cndmask_b32_e32 v0, v0, v1, vcc
	v_mov_b32_e32 v1, v59
	v_add_u32_e32 v16, s26, v0
	v_lshl_add_u64 v[28:29], v[58:59], 1, s[10:11]
	v_add_u32_e32 v58, s27, v0
	v_lshl_add_u64 v[22:23], v[0:1], 1, s[10:11]
	v_lshl_add_u64 v[26:27], v[16:17], 1, s[10:11]
	;; [unrolled: 1-line block ×3, first 2 shown]
	global_load_ushort v0, v[20:21], off
	global_load_ushort v18, v[22:23], off
	;; [unrolled: 1-line block ×6, first 2 shown]
.LBB236_18:                             ;   in Loop: Header=BB236_8 Depth=1
	v_cvt_f32_i32_e32 v1, v14
	s_waitcnt vmcnt(5)
	v_lshlrev_b32_e32 v0, 16, v0
	v_add_f32_e32 v1, v13, v1
	v_add_f32_e32 v0, v1, v0
	v_and_b32_e32 v1, 0x7f800000, v0
	v_cmp_ne_u32_e32 vcc, s29, v1
                                        ; implicit-def: $vgpr13
	s_and_saveexec_b64 s[22:23], vcc
	s_xor_b64 s[22:23], exec, s[22:23]
; %bb.19:                               ;   in Loop: Header=BB236_8 Depth=1
	v_bfe_u32 v1, v0, 16, 1
	v_add3_u32 v13, v0, v1, s30
                                        ; implicit-def: $vgpr0
; %bb.20:                               ;   in Loop: Header=BB236_8 Depth=1
	s_andn2_saveexec_b64 s[22:23], s[22:23]
; %bb.21:                               ;   in Loop: Header=BB236_8 Depth=1
	v_or_b32_e32 v1, 0x10000, v0
	v_cmp_eq_u32_sdwa vcc, v0, v59 src0_sel:WORD_0 src1_sel:DWORD
	s_nop 1
	v_cndmask_b32_e32 v13, v1, v0, vcc
; %bb.22:                               ;   in Loop: Header=BB236_8 Depth=1
	s_or_b64 exec, exec, s[22:23]
	v_cvt_f32_i32_e32 v8, v8
	v_mov_b32_e32 v57, v59
	s_waitcnt lgkmcnt(0)
	v_lshl_add_u64 v[0:1], v[56:57], 1, s[14:15]
	global_store_short_d16_hi v[0:1], v13, off
	v_add_f32_e32 v8, v12, v8
	s_waitcnt vmcnt(5)
	v_lshlrev_b32_e32 v12, 16, v18
	v_add_f32_e32 v8, v8, v12
	v_and_b32_e32 v12, 0x7f800000, v8
	v_cmp_ne_u32_e32 vcc, s29, v12
                                        ; implicit-def: $vgpr12
	s_and_saveexec_b64 s[22:23], vcc
	s_xor_b64 s[22:23], exec, s[22:23]
; %bb.23:                               ;   in Loop: Header=BB236_8 Depth=1
	v_bfe_u32 v12, v8, 16, 1
	v_add3_u32 v12, v8, v12, s30
                                        ; implicit-def: $vgpr8
; %bb.24:                               ;   in Loop: Header=BB236_8 Depth=1
	s_andn2_saveexec_b64 s[22:23], s[22:23]
; %bb.25:                               ;   in Loop: Header=BB236_8 Depth=1
	v_or_b32_e32 v12, 0x10000, v8
	v_cmp_eq_u32_sdwa vcc, v8, v59 src0_sel:WORD_0 src1_sel:DWORD
	s_nop 1
	v_cndmask_b32_e32 v12, v12, v8, vcc
; %bb.26:                               ;   in Loop: Header=BB236_8 Depth=1
	s_or_b64 exec, exec, s[22:23]
	v_cvt_f32_i32_e32 v8, v15
	global_store_short_d16_hi v[0:1], v12, off offset:2
	s_waitcnt vmcnt(5)
	v_lshlrev_b32_e32 v1, 16, v17
	v_add_f32_e32 v0, v11, v8
	v_add_f32_e32 v1, v0, v1
	v_and_b32_e32 v0, 0x7f800000, v1
	v_cmp_ne_u32_e32 vcc, s29, v0
                                        ; implicit-def: $vgpr0
	s_and_saveexec_b64 s[22:23], vcc
	s_xor_b64 s[22:23], exec, s[22:23]
; %bb.27:                               ;   in Loop: Header=BB236_8 Depth=1
	v_bfe_u32 v0, v1, 16, 1
	v_add3_u32 v0, v1, v0, s30
                                        ; implicit-def: $vgpr1
; %bb.28:                               ;   in Loop: Header=BB236_8 Depth=1
	s_andn2_saveexec_b64 s[22:23], s[22:23]
; %bb.29:                               ;   in Loop: Header=BB236_8 Depth=1
	v_or_b32_e32 v0, 0x10000, v1
	v_cmp_eq_u32_sdwa vcc, v1, v59 src0_sel:WORD_0 src1_sel:DWORD
	s_nop 1
	v_cndmask_b32_e32 v0, v0, v1, vcc
; %bb.30:                               ;   in Loop: Header=BB236_8 Depth=1
	s_or_b64 exec, exec, s[22:23]
	v_cvt_f32_i32_e32 v1, v9
	v_add_u32_e32 v58, s7, v56
	v_lshl_add_u64 v[8:9], v[58:59], 1, s[14:15]
	global_store_short_d16_hi v[8:9], v0, off
	v_add_f32_e32 v0, v7, v1
	s_waitcnt vmcnt(5)
	v_lshlrev_b32_e32 v1, 16, v16
	v_add_f32_e32 v1, v0, v1
	v_and_b32_e32 v0, 0x7f800000, v1
	v_cmp_ne_u32_e32 vcc, s29, v0
                                        ; implicit-def: $vgpr0
	s_and_saveexec_b64 s[22:23], vcc
	s_xor_b64 s[22:23], exec, s[22:23]
; %bb.31:                               ;   in Loop: Header=BB236_8 Depth=1
	v_bfe_u32 v0, v1, 16, 1
	v_add3_u32 v0, v1, v0, s30
                                        ; implicit-def: $vgpr1
; %bb.32:                               ;   in Loop: Header=BB236_8 Depth=1
	s_andn2_saveexec_b64 s[22:23], s[22:23]
; %bb.33:                               ;   in Loop: Header=BB236_8 Depth=1
	v_or_b32_e32 v0, 0x10000, v1
	v_cmp_eq_u32_sdwa vcc, v1, v59 src0_sel:WORD_0 src1_sel:DWORD
	s_nop 1
	v_cndmask_b32_e32 v0, v0, v1, vcc
; %bb.34:                               ;   in Loop: Header=BB236_8 Depth=1
	s_or_b64 exec, exec, s[22:23]
	v_cvt_f32_i32_e32 v1, v5
	v_add_u32_e32 v8, 1, v58
	v_mov_b32_e32 v9, v59
	v_lshl_add_u64 v[8:9], v[8:9], 1, s[14:15]
	v_add_f32_e32 v1, v4, v1
	global_store_short_d16_hi v[8:9], v0, off
	s_waitcnt vmcnt(5)
	v_lshlrev_b32_e32 v0, 16, v10
	v_add_f32_e32 v0, v1, v0
	v_and_b32_e32 v1, 0x7f800000, v0
	v_cmp_ne_u32_e32 vcc, s29, v1
                                        ; implicit-def: $vgpr4
	s_and_saveexec_b64 s[22:23], vcc
	s_xor_b64 s[22:23], exec, s[22:23]
; %bb.35:                               ;   in Loop: Header=BB236_8 Depth=1
	v_bfe_u32 v1, v0, 16, 1
	v_add3_u32 v4, v0, v1, s30
                                        ; implicit-def: $vgpr0
; %bb.36:                               ;   in Loop: Header=BB236_8 Depth=1
	s_andn2_saveexec_b64 s[22:23], s[22:23]
; %bb.37:                               ;   in Loop: Header=BB236_8 Depth=1
	v_or_b32_e32 v1, 0x10000, v0
	v_cmp_eq_u32_sdwa vcc, v0, v59 src0_sel:WORD_0 src1_sel:DWORD
	s_nop 1
	v_cndmask_b32_e32 v4, v1, v0, vcc
; %bb.38:                               ;   in Loop: Header=BB236_8 Depth=1
	s_or_b64 exec, exec, s[22:23]
	v_cvt_f32_i32_e32 v3, v3
	v_add_u32_e32 v58, s7, v58
	v_lshl_add_u64 v[0:1], v[58:59], 1, s[14:15]
	global_store_short_d16_hi v[0:1], v4, off
	v_add_f32_e32 v2, v2, v3
	s_waitcnt vmcnt(5)
	v_lshlrev_b32_e32 v3, 16, v6
	v_add_f32_e32 v2, v2, v3
	v_and_b32_e32 v3, 0x7f800000, v2
	v_cmp_ne_u32_e32 vcc, s29, v3
                                        ; implicit-def: $vgpr3
	s_and_saveexec_b64 s[22:23], vcc
	s_xor_b64 s[22:23], exec, s[22:23]
; %bb.39:                               ;   in Loop: Header=BB236_8 Depth=1
	v_bfe_u32 v3, v2, 16, 1
	v_add3_u32 v3, v2, v3, s30
                                        ; implicit-def: $vgpr2
; %bb.40:                               ;   in Loop: Header=BB236_8 Depth=1
	s_andn2_saveexec_b64 s[22:23], s[22:23]
	s_cbranch_execz .LBB236_6
; %bb.41:                               ;   in Loop: Header=BB236_8 Depth=1
	v_or_b32_e32 v3, 0x10000, v2
	v_cmp_eq_u32_sdwa vcc, v2, v59 src0_sel:WORD_0 src1_sel:DWORD
	s_nop 1
	v_cndmask_b32_e32 v3, v3, v2, vcc
	s_branch .LBB236_6
.LBB236_42:
	s_endpgm
	.section	.rodata,"a",@progbits
	.p2align	6, 0x0
	.amdhsa_kernel _Z16wvSplitK_hf_sml_I14__hip_bfloat16Li64ELi2ELi16ELi8ELi2ELi3EEviiiiiiPKT_S3_S3_PS1_ii
		.amdhsa_group_segment_fixed_size 65536
		.amdhsa_private_segment_fixed_size 0
		.amdhsa_kernarg_size 64
		.amdhsa_user_sgpr_count 2
		.amdhsa_user_sgpr_dispatch_ptr 0
		.amdhsa_user_sgpr_queue_ptr 0
		.amdhsa_user_sgpr_kernarg_segment_ptr 1
		.amdhsa_user_sgpr_dispatch_id 0
		.amdhsa_user_sgpr_kernarg_preload_length 0
		.amdhsa_user_sgpr_kernarg_preload_offset 0
		.amdhsa_user_sgpr_private_segment_size 0
		.amdhsa_uses_dynamic_stack 0
		.amdhsa_enable_private_segment 0
		.amdhsa_system_sgpr_workgroup_id_x 1
		.amdhsa_system_sgpr_workgroup_id_y 0
		.amdhsa_system_sgpr_workgroup_id_z 0
		.amdhsa_system_sgpr_workgroup_info 0
		.amdhsa_system_vgpr_workitem_id 1
		.amdhsa_next_free_vgpr 77
		.amdhsa_next_free_sgpr 32
		.amdhsa_accum_offset 80
		.amdhsa_reserve_vcc 1
		.amdhsa_float_round_mode_32 0
		.amdhsa_float_round_mode_16_64 0
		.amdhsa_float_denorm_mode_32 3
		.amdhsa_float_denorm_mode_16_64 3
		.amdhsa_dx10_clamp 1
		.amdhsa_ieee_mode 1
		.amdhsa_fp16_overflow 0
		.amdhsa_tg_split 0
		.amdhsa_exception_fp_ieee_invalid_op 0
		.amdhsa_exception_fp_denorm_src 0
		.amdhsa_exception_fp_ieee_div_zero 0
		.amdhsa_exception_fp_ieee_overflow 0
		.amdhsa_exception_fp_ieee_underflow 0
		.amdhsa_exception_fp_ieee_inexact 0
		.amdhsa_exception_int_div_zero 0
	.end_amdhsa_kernel
	.section	.text._Z16wvSplitK_hf_sml_I14__hip_bfloat16Li64ELi2ELi16ELi8ELi2ELi3EEviiiiiiPKT_S3_S3_PS1_ii,"axG",@progbits,_Z16wvSplitK_hf_sml_I14__hip_bfloat16Li64ELi2ELi16ELi8ELi2ELi3EEviiiiiiPKT_S3_S3_PS1_ii,comdat
.Lfunc_end236:
	.size	_Z16wvSplitK_hf_sml_I14__hip_bfloat16Li64ELi2ELi16ELi8ELi2ELi3EEviiiiiiPKT_S3_S3_PS1_ii, .Lfunc_end236-_Z16wvSplitK_hf_sml_I14__hip_bfloat16Li64ELi2ELi16ELi8ELi2ELi3EEviiiiiiPKT_S3_S3_PS1_ii
                                        ; -- End function
	.section	.AMDGPU.csdata,"",@progbits
; Kernel info:
; codeLenInByte = 3032
; NumSgprs: 38
; NumVgprs: 77
; NumAgprs: 0
; TotalNumVgprs: 77
; ScratchSize: 0
; MemoryBound: 0
; FloatMode: 240
; IeeeMode: 1
; LDSByteSize: 65536 bytes/workgroup (compile time only)
; SGPRBlocks: 4
; VGPRBlocks: 9
; NumSGPRsForWavesPerEU: 38
; NumVGPRsForWavesPerEU: 77
; AccumOffset: 80
; Occupancy: 4
; WaveLimiterHint : 0
; COMPUTE_PGM_RSRC2:SCRATCH_EN: 0
; COMPUTE_PGM_RSRC2:USER_SGPR: 2
; COMPUTE_PGM_RSRC2:TRAP_HANDLER: 0
; COMPUTE_PGM_RSRC2:TGID_X_EN: 1
; COMPUTE_PGM_RSRC2:TGID_Y_EN: 0
; COMPUTE_PGM_RSRC2:TGID_Z_EN: 0
; COMPUTE_PGM_RSRC2:TIDIG_COMP_CNT: 1
; COMPUTE_PGM_RSRC3_GFX90A:ACCUM_OFFSET: 19
; COMPUTE_PGM_RSRC3_GFX90A:TG_SPLIT: 0
	.section	.text._Z12wvSplitK_hf_I14__hip_bfloat16Li64ELi2ELi16ELi8ELi2ELi3EEviiiiiiPKT_S3_S3_PS1_ii,"axG",@progbits,_Z12wvSplitK_hf_I14__hip_bfloat16Li64ELi2ELi16ELi8ELi2ELi3EEviiiiiiPKT_S3_S3_PS1_ii,comdat
	.protected	_Z12wvSplitK_hf_I14__hip_bfloat16Li64ELi2ELi16ELi8ELi2ELi3EEviiiiiiPKT_S3_S3_PS1_ii ; -- Begin function _Z12wvSplitK_hf_I14__hip_bfloat16Li64ELi2ELi16ELi8ELi2ELi3EEviiiiiiPKT_S3_S3_PS1_ii
	.globl	_Z12wvSplitK_hf_I14__hip_bfloat16Li64ELi2ELi16ELi8ELi2ELi3EEviiiiiiPKT_S3_S3_PS1_ii
	.p2align	8
	.type	_Z12wvSplitK_hf_I14__hip_bfloat16Li64ELi2ELi16ELi8ELi2ELi3EEviiiiiiPKT_S3_S3_PS1_ii,@function
_Z12wvSplitK_hf_I14__hip_bfloat16Li64ELi2ELi16ELi8ELi2ELi3EEviiiiiiPKT_S3_S3_PS1_ii: ; @_Z12wvSplitK_hf_I14__hip_bfloat16Li64ELi2ELi16ELi8ELi2ELi3EEviiiiiiPKT_S3_S3_PS1_ii
; %bb.0:
	s_load_dwordx2 s[4:5], s[0:1], 0x38
	s_load_dwordx4 s[8:11], s[0:1], 0x0
	s_load_dwordx2 s[16:17], s[0:1], 0x10
	v_bfe_u32 v3, v0, 10, 10
	s_mov_b32 s6, 1
	s_waitcnt lgkmcnt(0)
	s_mul_i32 s2, s2, s4
	v_add_lshl_u32 v66, s2, v3, 1
	v_add_u32_e32 v1, 2, v66
	v_cmp_gt_u32_e32 vcc, s11, v66
	v_cmp_le_u32_e64 s[2:3], s11, v1
	s_mov_b32 s7, s6
	s_and_b64 s[12:13], vcc, s[2:3]
	v_mov_b64_e32 v[64:65], s[6:7]
	s_and_saveexec_b64 s[2:3], s[12:13]
	s_cbranch_execz .LBB237_6
; %bb.1:
	s_add_i32 s20, s11, -2
	v_cmp_ne_u32_e32 vcc, s20, v66
	v_mov_b64_e32 v[64:65], s[6:7]
	s_and_saveexec_b64 s[6:7], vcc
	s_cbranch_execz .LBB237_5
; %bb.2:
	v_subrev_u32_e32 v1, s20, v66
	s_mov_b32 s12, 1
	v_cmp_lt_u32_e32 vcc, 1, v1
	s_mov_b64 s[14:15], 0
	s_mov_b64 s[18:19], 0
	v_cndmask_b32_e32 v2, 1, v1, vcc
	s_mov_b32 s13, s12
.LBB237_3:                              ; =>This Inner Loop Header: Depth=1
	s_cmp_lg_u32 s18, 1
	s_cselect_b32 s13, s13, 0
	s_cmp_lg_u32 s18, 0
	s_cselect_b32 s12, s12, 0
	s_add_u32 s18, s18, 1
	s_addc_u32 s19, s19, 0
	v_cmp_eq_u32_e32 vcc, s18, v2
	s_or_b64 s[14:15], vcc, s[14:15]
	v_mov_b64_e32 v[64:65], s[12:13]
	s_andn2_b64 exec, exec, s[14:15]
	s_cbranch_execnz .LBB237_3
; %bb.4:
	s_or_b64 exec, exec, s[14:15]
	v_mov_b32_e32 v66, s20
.LBB237_5:
	s_or_b64 exec, exec, s[6:7]
.LBB237_6:
	s_or_b64 exec, exec, s[2:3]
	s_load_dwordx4 s[12:15], s[0:1], 0x20
	v_and_b32_e32 v2, 0x3ff, v0
	v_lshlrev_b32_e32 v80, 3, v2
	s_mul_i32 s2, s10, 3
	v_lshl_add_u32 v4, v3, 9, v80
	s_min_u32 s20, s2, 0x8000
	v_cmp_gt_u32_e32 vcc, s20, v4
	s_and_saveexec_b64 s[2:3], vcc
	s_cbranch_execz .LBB237_9
; %bb.7:
	v_mov_b32_e32 v7, 0
	v_lshlrev_b32_e32 v6, 10, v3
	v_lshlrev_b32_e32 v8, 4, v2
	v_mov_b32_e32 v9, v7
	v_lshl_add_u64 v[0:1], v[6:7], 0, v[8:9]
	s_waitcnt lgkmcnt(0)
	v_lshl_add_u64 v[0:1], s[12:13], 0, v[0:1]
	v_add_u32_e32 v5, v6, v8
	s_mov_b64 s[6:7], 0
	s_mov_b64 s[18:19], 0x4000
.LBB237_8:                              ; =>This Inner Loop Header: Depth=1
	global_load_dwordx4 v[6:9], v[0:1], off
	v_add_u32_e32 v4, 0x2000, v4
	v_cmp_le_u32_e32 vcc, s20, v4
	v_lshl_add_u64 v[0:1], v[0:1], 0, s[18:19]
	s_or_b64 s[6:7], vcc, s[6:7]
	s_waitcnt vmcnt(0)
	ds_write_b128 v5, v[6:9]
	v_add_u32_e32 v5, 0x4000, v5
	s_andn2_b64 exec, exec, s[6:7]
	s_cbranch_execnz .LBB237_8
.LBB237_9:
	s_or_b64 exec, exec, s[2:3]
	v_cmp_gt_u32_e32 vcc, s4, v3
	v_cmp_gt_u32_e64 s[2:3], s11, v66
	s_and_b64 s[2:3], vcc, s[2:3]
	s_waitcnt lgkmcnt(0)
	s_barrier
	s_and_saveexec_b64 s[6:7], s[2:3]
	s_cbranch_execz .LBB237_88
; %bb.10:
	s_cmp_lg_u32 s8, 0
	s_cselect_b64 s[2:3], -1, 0
	s_add_i32 s33, s8, -8
	s_add_i32 s36, s11, -1
	s_mul_i32 s4, s4, s5
	s_cmp_lg_u64 s[14:15], 0
	s_cselect_b64 s[24:25], -1, 0
	s_lshl_b32 s37, s4, 1
	s_abs_i32 s4, s17
	v_cvt_f32_u32_e32 v0, s16
	v_cvt_f32_u32_e32 v1, s4
	s_sub_i32 s5, 0, s16
	s_add_i32 s17, s11, -2
	v_rcp_iflag_f32_e32 v0, v0
	v_rcp_iflag_f32_e32 v1, v1
	s_load_dwordx2 s[18:19], s[0:1], 0x18
	s_load_dwordx2 s[20:21], s[0:1], 0x30
	v_cmp_eq_u32_e64 s[0:1], 63, v2
	v_mul_f32_e32 v0, 0x4f7ffffe, v0
	v_mul_f32_e32 v1, 0x4f7ffffe, v1
	v_cvt_u32_f32_e32 v0, v0
	v_cvt_u32_f32_e32 v1, v1
	s_mov_b64 s[22:23], 0
	v_mov_b32_e32 v69, 0
	v_mul_lo_u32 v3, s5, v0
	s_sub_i32 s5, 0, s4
	v_readfirstlane_b32 s6, v1
	s_mul_i32 s5, s5, s6
	s_mul_hi_u32 s5, s6, s5
	s_add_i32 s6, s6, s5
	s_sub_i32 s5, 1, s4
	s_cmp_lt_u32 s4, 2
	s_cselect_b32 s5, s5, 1
	s_sub_i32 s7, s5, s4
	s_cmp_ge_u32 s5, s4
	s_cselect_b32 s38, s7, s5
	s_lshr_b32 s5, s6, 31
	s_mul_i32 s5, s5, s4
	s_sub_i32 s5, 2, s5
	s_sub_i32 s6, s5, s4
	s_cmp_ge_u32 s5, s4
	s_cselect_b32 s5, s6, s5
	s_sub_i32 s6, s5, s4
	v_mul_hi_u32 v3, v0, v3
	s_cmp_ge_u32 s5, s4
	v_add_u32_e32 v81, v0, v3
	s_cselect_b32 s39, s6, s5
	s_lshl_b32 s40, s10, 1
	v_cndmask_b32_e64 v0, 0, 1, s[2:3]
	s_mul_i32 s38, s38, s16
	s_mul_i32 s39, s39, s16
	v_lshlrev_b32_e32 v82, 4, v2
	s_lshl_b32 s41, s10, 2
	v_add_u32_e32 v83, s40, v80
	v_add_u32_e32 v84, s10, v80
	v_cmp_ne_u32_e64 s[2:3], 1, v0
	s_movk_i32 s10, 0x7fff
	s_mov_b32 s42, 0x7f800000
	s_mov_b32 s26, 0
	s_branch .LBB237_13
.LBB237_11:                             ;   in Loop: Header=BB237_13 Depth=1
	s_or_b64 exec, exec, s[28:29]
	v_mov_b32_e32 v66, s17
.LBB237_12:                             ;   in Loop: Header=BB237_13 Depth=1
	s_or_b64 exec, exec, s[6:7]
	v_cmp_le_u32_e32 vcc, s11, v66
	s_or_b64 s[22:23], vcc, s[22:23]
	s_andn2_b64 exec, exec, s[22:23]
	s_cbranch_execz .LBB237_88
.LBB237_13:                             ; =>This Loop Header: Depth=1
                                        ;     Child Loop BB237_18 Depth 2
                                        ;     Child Loop BB237_86 Depth 2
	s_and_b64 vcc, exec, s[2:3]
	v_add_u32_e32 v70, 1, v66
	s_waitcnt vmcnt(1)
	v_mov_b32_e32 v7, v69
	v_mov_b32_e32 v6, v69
	;; [unrolled: 1-line block ×3, first 2 shown]
	s_waitcnt vmcnt(0)
	v_mov_b32_e32 v4, v69
	v_mov_b32_e32 v3, v69
	v_mov_b32_e32 v2, v69
	v_mov_b32_e32 v1, v69
	v_mov_b32_e32 v0, v69
	v_mov_b32_e32 v11, v69
	v_mov_b32_e32 v10, v69
	v_mov_b32_e32 v9, v69
	v_mov_b32_e32 v8, v69
	v_mov_b32_e32 v15, v69
	v_mov_b32_e32 v14, v69
	v_mov_b32_e32 v13, v69
	v_mov_b32_e32 v12, v69
	v_mov_b32_e32 v23, v69
	v_mov_b32_e32 v22, v69
	v_mov_b32_e32 v21, v69
	v_mov_b32_e32 v20, v69
	v_mov_b32_e32 v19, v69
	v_mov_b32_e32 v18, v69
	v_mov_b32_e32 v17, v69
	v_mov_b32_e32 v16, v69
	s_cbranch_vccnz .LBB237_44
; %bb.14:                               ;   in Loop: Header=BB237_13 Depth=1
	v_min_u32_e32 v0, s36, v66
	v_mul_lo_u32 v68, v0, s9
	v_min_u32_e32 v0, s36, v70
	v_mul_lo_u32 v0, v0, s9
	v_mov_b32_e32 v1, v69
	v_mov_b32_e32 v16, 0
	s_mov_b32 s4, 0
	v_lshlrev_b64 v[72:73], 1, v[68:69]
	v_lshlrev_b64 v[74:75], 1, v[0:1]
	v_mov_b32_e32 v67, v82
	s_mov_b32 s34, 0
	v_mov_b32_e32 v17, v16
	v_mov_b32_e32 v18, v16
	;; [unrolled: 1-line block ×23, first 2 shown]
	s_branch .LBB237_18
.LBB237_15:                             ;   in Loop: Header=BB237_18 Depth=2
	s_or_b64 exec, exec, s[30:31]
.LBB237_16:                             ;   in Loop: Header=BB237_18 Depth=2
	s_or_b64 exec, exec, s[28:29]
.LBB237_17:                             ;   in Loop: Header=BB237_18 Depth=2
	s_or_b64 exec, exec, s[6:7]
	s_waitcnt vmcnt(0) lgkmcnt(0)
	v_mfma_f32_4x4x4_16b_bf16 v[20:23], v[40:41], v[32:33], v[20:23]
	s_addk_i32 s34, 0x400
	v_mfma_f32_4x4x4_16b_bf16 v[16:19], v[40:41], v[28:29], v[16:19]
	v_add_u32_e32 v67, 0x800, v67
	v_mfma_f32_4x4x4_16b_bf16 v[12:15], v[44:45], v[32:33], v[12:15]
	s_cmp_ge_u32 s34, s8
	v_mfma_f32_4x4x4_16b_bf16 v[8:11], v[44:45], v[28:29], v[8:11]
	v_mfma_f32_4x4x4_16b_bf16 v[0:3], v[48:49], v[32:33], v[0:3]
	;; [unrolled: 1-line block ×21, first 2 shown]
	s_cbranch_scc1 .LBB237_44
.LBB237_18:                             ;   Parent Loop BB237_13 Depth=1
                                        ; =>  This Inner Loop Header: Depth=2
	v_add_u32_e32 v78, s34, v80
	v_min_u32_e32 v68, s33, v78
	s_waitcnt lgkmcnt(0)
	v_lshl_add_u64 v[24:25], v[68:69], 1, s[18:19]
	v_add_u32_e32 v76, 0x200, v78
	v_lshl_add_u64 v[26:27], v[24:25], 0, v[72:73]
	v_lshl_add_u64 v[24:25], v[24:25], 0, v[74:75]
	v_min_u32_e32 v68, s33, v76
	global_load_dwordx4 v[32:35], v[26:27], off nt
	global_load_dwordx4 v[28:31], v[24:25], off nt
	v_lshl_add_u64 v[24:25], v[68:69], 1, s[18:19]
	v_lshl_add_u64 v[40:41], v[24:25], 0, v[72:73]
	;; [unrolled: 1-line block ×3, first 2 shown]
	global_load_dwordx4 v[36:39], v[40:41], off nt
	global_load_dwordx4 v[24:27], v[42:43], off nt
	s_mov_b32 s5, s4
	v_cmp_gt_u32_e32 vcc, s8, v78
	v_mov_b64_e32 v[40:41], s[4:5]
	v_mov_b32_e32 v61, 0
	v_mov_b32_e32 v60, 0
	;; [unrolled: 1-line block ×4, first 2 shown]
	v_mov_b64_e32 v[42:43], s[4:5]
	v_mov_b64_e32 v[52:53], s[4:5]
	;; [unrolled: 1-line block ×9, first 2 shown]
	s_and_saveexec_b64 s[6:7], vcc
	s_cbranch_execz .LBB237_17
; %bb.19:                               ;   in Loop: Header=BB237_18 Depth=2
	v_cmp_lt_u32_e32 vcc, s10, v78
                                        ; implicit-def: $vgpr40_vgpr41
	s_and_saveexec_b64 s[28:29], vcc
	s_xor_b64 s[28:29], exec, s[28:29]
	s_cbranch_execz .LBB237_21
; %bb.20:                               ;   in Loop: Header=BB237_18 Depth=2
	v_mov_b32_e32 v79, v69
	v_lshl_add_u64 v[40:41], v[78:79], 1, s[12:13]
	global_load_dwordx4 v[40:43], v[40:41], off
.LBB237_21:                             ;   in Loop: Header=BB237_18 Depth=2
	s_andn2_saveexec_b64 s[28:29], s[28:29]
	s_cbranch_execz .LBB237_23
; %bb.22:                               ;   in Loop: Header=BB237_18 Depth=2
	s_waitcnt vmcnt(0)
	ds_read_b128 v[40:43], v67
.LBB237_23:                             ;   in Loop: Header=BB237_18 Depth=2
	s_or_b64 exec, exec, s[28:29]
	v_add_u32_e32 v68, s34, v84
	v_cmp_lt_u32_e32 vcc, s10, v68
                                        ; implicit-def: $vgpr44_vgpr45
	s_and_saveexec_b64 s[28:29], vcc
	s_xor_b64 s[28:29], exec, s[28:29]
	s_cbranch_execz .LBB237_25
; %bb.24:                               ;   in Loop: Header=BB237_18 Depth=2
	v_lshl_add_u64 v[44:45], v[68:69], 1, s[12:13]
	global_load_dwordx4 v[44:47], v[44:45], off
.LBB237_25:                             ;   in Loop: Header=BB237_18 Depth=2
	s_andn2_saveexec_b64 s[28:29], s[28:29]
	s_cbranch_execz .LBB237_27
; %bb.26:                               ;   in Loop: Header=BB237_18 Depth=2
	s_waitcnt vmcnt(0)
	v_add_u32_e32 v44, s40, v67
	ds_read_b128 v[44:47], v44
.LBB237_27:                             ;   in Loop: Header=BB237_18 Depth=2
	s_or_b64 exec, exec, s[28:29]
	v_add_u32_e32 v78, s34, v83
	v_cmp_lt_u32_e32 vcc, s10, v78
                                        ; implicit-def: $vgpr48_vgpr49
	s_and_saveexec_b64 s[28:29], vcc
	s_xor_b64 s[28:29], exec, s[28:29]
	s_cbranch_execz .LBB237_29
; %bb.28:                               ;   in Loop: Header=BB237_18 Depth=2
	v_mov_b32_e32 v79, v69
	v_lshl_add_u64 v[48:49], v[78:79], 1, s[12:13]
	global_load_dwordx4 v[48:51], v[48:49], off
.LBB237_29:                             ;   in Loop: Header=BB237_18 Depth=2
	s_andn2_saveexec_b64 s[28:29], s[28:29]
	s_cbranch_execz .LBB237_31
; %bb.30:                               ;   in Loop: Header=BB237_18 Depth=2
	s_waitcnt vmcnt(0)
	v_add_u32_e32 v50, s41, v67
	ds_read2_b32 v[48:49], v50 offset1:1
	ds_read2_b32 v[50:51], v50 offset0:2 offset1:3
.LBB237_31:                             ;   in Loop: Header=BB237_18 Depth=2
	s_or_b64 exec, exec, s[28:29]
	s_mov_b32 s27, s26
	v_cmp_gt_u32_e32 vcc, s8, v76
	v_mov_b32_e32 v61, 0
	v_mov_b64_e32 v[52:53], s[26:27]
	v_mov_b32_e32 v60, 0
	v_mov_b32_e32 v63, 0
	;; [unrolled: 1-line block ×3, first 2 shown]
	v_mov_b64_e32 v[54:55], s[26:27]
	v_mov_b64_e32 v[56:57], s[26:27]
	;; [unrolled: 1-line block ×3, first 2 shown]
	s_and_saveexec_b64 s[28:29], vcc
	s_cbranch_execz .LBB237_16
; %bb.32:                               ;   in Loop: Header=BB237_18 Depth=2
	v_cmp_lt_u32_e32 vcc, s10, v76
                                        ; implicit-def: $vgpr52_vgpr53
	s_and_saveexec_b64 s[30:31], vcc
	s_xor_b64 s[30:31], exec, s[30:31]
	s_cbranch_execz .LBB237_34
; %bb.33:                               ;   in Loop: Header=BB237_18 Depth=2
	v_mov_b32_e32 v77, v69
	v_lshl_add_u64 v[52:53], v[76:77], 1, s[12:13]
	global_load_dwordx4 v[52:55], v[52:53], off
.LBB237_34:                             ;   in Loop: Header=BB237_18 Depth=2
	s_andn2_saveexec_b64 s[30:31], s[30:31]
	s_cbranch_execz .LBB237_36
; %bb.35:                               ;   in Loop: Header=BB237_18 Depth=2
	s_waitcnt vmcnt(0)
	ds_read_b128 v[52:55], v67 offset:1024
.LBB237_36:                             ;   in Loop: Header=BB237_18 Depth=2
	s_or_b64 exec, exec, s[30:31]
	v_add_u32_e32 v68, 0x200, v68
	v_cmp_lt_u32_e32 vcc, s10, v68
                                        ; implicit-def: $vgpr56_vgpr57
	s_and_saveexec_b64 s[30:31], vcc
	s_xor_b64 s[30:31], exec, s[30:31]
	s_cbranch_execz .LBB237_38
; %bb.37:                               ;   in Loop: Header=BB237_18 Depth=2
	v_lshl_add_u64 v[56:57], v[68:69], 1, s[12:13]
	global_load_dwordx4 v[56:59], v[56:57], off
.LBB237_38:                             ;   in Loop: Header=BB237_18 Depth=2
	s_andn2_saveexec_b64 s[30:31], s[30:31]
	s_cbranch_execz .LBB237_40
; %bb.39:                               ;   in Loop: Header=BB237_18 Depth=2
	s_waitcnt vmcnt(0)
	v_add_u32_e32 v56, s40, v67
	ds_read_b128 v[56:59], v56 offset:1024
.LBB237_40:                             ;   in Loop: Header=BB237_18 Depth=2
	s_or_b64 exec, exec, s[30:31]
	v_add_u32_e32 v68, 0x200, v78
	v_cmp_lt_u32_e32 vcc, s10, v68
                                        ; implicit-def: $vgpr61
	s_and_saveexec_b64 s[30:31], vcc
	s_xor_b64 s[30:31], exec, s[30:31]
	s_cbranch_execz .LBB237_42
; %bb.41:                               ;   in Loop: Header=BB237_18 Depth=2
	v_lshl_add_u64 v[60:61], v[68:69], 1, s[12:13]
	global_load_dwordx4 v[60:63], v[60:61], off
.LBB237_42:                             ;   in Loop: Header=BB237_18 Depth=2
	s_andn2_saveexec_b64 s[30:31], s[30:31]
	s_cbranch_execz .LBB237_15
; %bb.43:                               ;   in Loop: Header=BB237_18 Depth=2
	s_waitcnt vmcnt(0)
	v_add_u32_e32 v60, s41, v67
	v_add_u32_e32 v61, 0x400, v60
	;; [unrolled: 1-line block ×3, first 2 shown]
	ds_read2_b32 v[60:61], v61 offset1:1
	ds_read2_b32 v[62:63], v62 offset1:1
	s_branch .LBB237_15
.LBB237_44:                             ;   in Loop: Header=BB237_13 Depth=1
	v_cvt_i32_f32_e32 v21, v21
	v_cvt_i32_f32_e32 v22, v22
	;; [unrolled: 1-line block ×4, first 2 shown]
	v_cvt_f32_i32_dpp v21, v21 row_shl:1 row_mask:0xf bank_mask:0xf bound_ctrl:1
	v_cvt_f32_i32_dpp v22, v22 row_shl:2 row_mask:0xf bank_mask:0xf bound_ctrl:1
	v_cvt_i32_f32_e32 v18, v18
	v_cvt_f32_i32_dpp v23, v23 row_shl:3 row_mask:0xf bank_mask:0xf bound_ctrl:1
	v_cvt_i32_f32_e32 v19, v19
	v_add_f32_e32 v20, v20, v21
	v_add_f32_e32 v20, v20, v22
	v_cvt_f32_i32_dpp v17, v17 row_shl:1 row_mask:0xf bank_mask:0xf bound_ctrl:1
	v_add_f32_e32 v20, v20, v23
	v_cvt_f32_i32_dpp v18, v18 row_shl:2 row_mask:0xf bank_mask:0xf bound_ctrl:1
	v_cvt_f32_i32_dpp v19, v19 row_shl:3 row_mask:0xf bank_mask:0xf bound_ctrl:1
	v_cvt_i32_f32_e32 v21, v20
	v_add_f32_e32 v16, v16, v17
	v_add_f32_e32 v16, v16, v18
	;; [unrolled: 1-line block ×3, first 2 shown]
	v_cvt_f32_i32_dpp v18, v21 row_shl:4 row_mask:0xf bank_mask:0xf bound_ctrl:1
	v_cvt_i32_f32_e32 v17, v16
	v_cvt_i32_f32_e32 v1, v1
	;; [unrolled: 1-line block ×3, first 2 shown]
	v_add_f32_e32 v18, v20, v18
	v_cvt_f32_i32_dpp v17, v17 row_shl:4 row_mask:0xf bank_mask:0xf bound_ctrl:1
	v_cvt_i32_f32_e32 v19, v18
	v_cvt_i32_f32_e32 v2, v2
	;; [unrolled: 1-line block ×3, first 2 shown]
	v_add_f32_e32 v16, v16, v17
	v_cvt_f32_i32_dpp v19, v19 row_shl:8 row_mask:0xf bank_mask:0xf bound_ctrl:1
	v_cvt_i32_f32_e32 v17, v16
	v_cvt_i32_f32_e32 v15, v15
	v_cvt_f32_i32_dpp v1, v1 row_shl:1 row_mask:0xf bank_mask:0xf bound_ctrl:1
	v_add_f32_e32 v18, v18, v19
	v_cvt_f32_i32_dpp v17, v17 row_shl:8 row_mask:0xf bank_mask:0xf bound_ctrl:1
	v_cvt_i32_f32_e32 v18, v18
	v_cvt_f32_i32_dpp v13, v13 row_shl:1 row_mask:0xf bank_mask:0xf bound_ctrl:1
	v_cvt_i32_f32_e32 v9, v9
	v_add_f32_e32 v16, v16, v17
	v_cvt_f32_i32_dpp v17, v18 row_shr:15 row_mask:0xf bank_mask:0xf bound_ctrl:1
	v_cvt_i32_f32_e32 v16, v16
	v_cvt_f32_i32_dpp v2, v2 row_shl:2 row_mask:0xf bank_mask:0xf bound_ctrl:1
	v_cvt_i32_f32_e32 v3, v3
	v_cvt_f32_i32_dpp v14, v14 row_shl:2 row_mask:0xf bank_mask:0xf bound_ctrl:1
	;; [unrolled: 2-line block ×3, first 2 shown]
	v_cvt_i32_f32_e32 v11, v11
	v_cvt_i32_f32_e32 v18, v17
	v_add_f32_e32 v0, v0, v1
	v_cvt_f32_i32_dpp v16, v16 row_shr:15 row_mask:0xf bank_mask:0xf bound_ctrl:1
	v_add_f32_e32 v12, v12, v13
	v_cvt_f32_i32_dpp v9, v9 row_shl:1 row_mask:0xf bank_mask:0xf bound_ctrl:1
	v_add_f32_e32 v0, v0, v2
	v_cvt_f32_i32_dpp v1, v3 row_shl:3 row_mask:0xf bank_mask:0xf bound_ctrl:1
	v_cvt_i32_f32_e32 v2, v5
	v_add_f32_e32 v12, v12, v14
	v_cvt_f32_i32_dpp v10, v10 row_shl:2 row_mask:0xf bank_mask:0xf bound_ctrl:1
	v_cvt_i32_f32_e32 v3, v6
	;; [unrolled: 3-line block ×3, first 2 shown]
	v_cvt_f32_i32_dpp v18, v18 row_bcast:15 row_mask:0xf bank_mask:0xf bound_ctrl:1
	v_cvt_i32_f32_e32 v12, v14
	v_cvt_i32_f32_e32 v19, v16
	v_add_f32_e32 v8, v8, v9
	v_add_f32_e32 v0, v0, v1
	v_cvt_f32_i32_dpp v1, v2 row_shl:1 row_mask:0xf bank_mask:0xf bound_ctrl:1
	v_add_f32_e32 v8, v8, v10
	v_cvt_f32_i32_dpp v2, v3 row_shl:2 row_mask:0xf bank_mask:0xf bound_ctrl:1
	;; [unrolled: 2-line block ×4, first 2 shown]
	v_cvt_i32_f32_e32 v10, v9
	v_cvt_f32_i32_dpp v15, v19 row_bcast:15 row_mask:0xf bank_mask:0xf bound_ctrl:1
	v_add_f32_e32 v1, v4, v1
	v_add_f32_e32 v1, v1, v2
	;; [unrolled: 1-line block ×4, first 2 shown]
	v_cvt_f32_i32_dpp v10, v10 row_shl:4 row_mask:0xf bank_mask:0xf bound_ctrl:1
	v_cvt_i32_f32_e32 v5, v0
	v_cvt_i32_f32_e32 v2, v1
	v_add_f32_e32 v12, v16, v15
	v_cvt_i32_f32_e32 v16, v14
	v_add_f32_e32 v9, v9, v10
	v_cvt_f32_i32_dpp v4, v5 row_shl:4 row_mask:0xf bank_mask:0xf bound_ctrl:1
	v_cvt_f32_i32_dpp v2, v2 row_shl:4 row_mask:0xf bank_mask:0xf bound_ctrl:1
	;; [unrolled: 1-line block ×3, first 2 shown]
	v_cvt_i32_f32_e32 v10, v9
	v_add_f32_e32 v0, v0, v4
	v_add_f32_e32 v1, v1, v2
	;; [unrolled: 1-line block ×3, first 2 shown]
	v_cvt_f32_i32_dpp v3, v10 row_shl:8 row_mask:0xf bank_mask:0xf bound_ctrl:1
	v_cvt_i32_f32_e32 v4, v0
	v_cvt_i32_f32_e32 v2, v1
	;; [unrolled: 1-line block ×3, first 2 shown]
	v_add_f32_e32 v3, v9, v3
	v_cvt_f32_i32_dpp v4, v4 row_shl:8 row_mask:0xf bank_mask:0xf bound_ctrl:1
	v_cvt_f32_i32_dpp v2, v2 row_shl:8 row_mask:0xf bank_mask:0xf bound_ctrl:1
	v_cvt_f32_i32_dpp v5, v14 row_shr:15 row_mask:0xf bank_mask:0xf bound_ctrl:1
	v_cvt_i32_f32_e32 v3, v3
	v_add_f32_e32 v0, v0, v4
	v_add_f32_e32 v1, v1, v2
	v_cvt_i32_f32_e32 v6, v5
	v_cvt_f32_i32_dpp v3, v3 row_shr:15 row_mask:0xf bank_mask:0xf bound_ctrl:1
	v_cvt_i32_f32_e32 v0, v0
	v_cvt_i32_f32_e32 v1, v1
	v_cvt_f32_i32_dpp v2, v6 row_bcast:15 row_mask:0xf bank_mask:0xf bound_ctrl:1
	v_cvt_i32_f32_e32 v4, v3
	v_cvt_f32_i32_dpp v0, v0 row_shr:15 row_mask:0xf bank_mask:0xf bound_ctrl:1
	v_cvt_f32_i32_dpp v1, v1 row_shr:15 row_mask:0xf bank_mask:0xf bound_ctrl:1
	v_add_f32_e32 v9, v5, v2
	v_cvt_f32_i32_dpp v4, v4 row_bcast:15 row_mask:0xf bank_mask:0xf bound_ctrl:1
	v_cvt_i32_f32_e32 v2, v0
	v_cvt_i32_f32_e32 v6, v1
	;; [unrolled: 1-line block ×3, first 2 shown]
	v_add_f32_e32 v5, v3, v4
	v_cvt_f32_i32_dpp v2, v2 row_bcast:15 row_mask:0xf bank_mask:0xf bound_ctrl:1
	v_cvt_f32_i32_dpp v3, v6 row_bcast:15 row_mask:0xf bank_mask:0xf bound_ctrl:1
	v_cvt_i32_f32_e32 v15, v12
	v_cvt_i32_f32_e32 v7, v9
	v_add_f32_e32 v2, v0, v2
	v_add_f32_e32 v0, v1, v3
	v_cvt_i32_f32_e32 v4, v5
	v_cvt_i32_f32_e32 v14, v2
	;; [unrolled: 1-line block ×3, first 2 shown]
	v_mov_b32_dpp v11, v18 row_bcast:31 row_mask:0xf bank_mask:0xf bound_ctrl:1
	v_mov_b32_dpp v8, v15 row_bcast:31 row_mask:0xf bank_mask:0xf bound_ctrl:1
	;; [unrolled: 1-line block ×6, first 2 shown]
	s_and_saveexec_b64 s[28:29], s[0:1]
	s_cbranch_execz .LBB237_83
; %bb.45:                               ;   in Loop: Header=BB237_13 Depth=1
	s_andn2_b64 vcc, exec, s[24:25]
	v_mov_b32_e32 v17, 0
	v_mov_b32_e32 v16, 0
	;; [unrolled: 1-line block ×6, first 2 shown]
	s_cbranch_vccnz .LBB237_47
; %bb.46:                               ;   in Loop: Header=BB237_13 Depth=1
	v_mul_hi_u32 v4, v66, v81
	v_mul_lo_u32 v4, v4, s16
	v_sub_u32_e32 v4, v66, v4
	v_subrev_u32_e32 v7, s16, v4
	v_cmp_le_u32_e32 vcc, s16, v4
	v_mov_b32_e32 v17, v69
	v_mov_b32_e32 v15, v69
	v_cndmask_b32_e32 v4, v4, v7, vcc
	v_subrev_u32_e32 v7, s16, v4
	v_cmp_le_u32_e32 vcc, s16, v4
	s_nop 1
	v_cndmask_b32_e32 v68, v4, v7, vcc
	v_mul_hi_u32 v4, v70, v81
	v_mul_lo_u32 v4, v4, s16
	v_sub_u32_e32 v4, v70, v4
	v_subrev_u32_e32 v7, s16, v4
	v_cmp_le_u32_e32 vcc, s16, v4
	v_lshl_add_u64 v[18:19], v[68:69], 1, s[14:15]
	v_add_u32_e32 v16, s38, v68
	v_cndmask_b32_e32 v4, v4, v7, vcc
	v_subrev_u32_e32 v7, s16, v4
	v_cmp_le_u32_e32 vcc, s16, v4
	v_add_u32_e32 v68, s39, v68
	v_lshl_add_u64 v[22:23], v[16:17], 1, s[14:15]
	v_cndmask_b32_e32 v14, v4, v7, vcc
	v_add_u32_e32 v16, s38, v14
	v_lshl_add_u64 v[26:27], v[68:69], 1, s[14:15]
	v_add_u32_e32 v68, s39, v14
	v_lshl_add_u64 v[20:21], v[14:15], 1, s[14:15]
	v_lshl_add_u64 v[24:25], v[16:17], 1, s[14:15]
	;; [unrolled: 1-line block ×3, first 2 shown]
	global_load_ushort v17, v[18:19], off
	global_load_ushort v16, v[20:21], off
	;; [unrolled: 1-line block ×6, first 2 shown]
.LBB237_47:                             ;   in Loop: Header=BB237_13 Depth=1
	v_cmp_ne_u32_e32 vcc, 0, v64
	s_and_saveexec_b64 s[6:7], vcc
	s_cbranch_execnz .LBB237_53
; %bb.48:                               ;   in Loop: Header=BB237_13 Depth=1
	s_or_b64 exec, exec, s[6:7]
	v_cmp_ne_u32_e64 s[4:5], 0, v65
	s_and_saveexec_b64 s[30:31], s[4:5]
	s_cbranch_execnz .LBB237_58
.LBB237_49:                             ;   in Loop: Header=BB237_13 Depth=1
	s_or_b64 exec, exec, s[30:31]
	v_add_u32_e32 v68, s11, v66
	s_and_saveexec_b64 s[30:31], vcc
	s_cbranch_execnz .LBB237_63
.LBB237_50:                             ;   in Loop: Header=BB237_13 Depth=1
	s_or_b64 exec, exec, s[30:31]
	s_and_saveexec_b64 s[30:31], s[4:5]
	s_cbranch_execnz .LBB237_68
.LBB237_51:                             ;   in Loop: Header=BB237_13 Depth=1
	s_or_b64 exec, exec, s[30:31]
	v_add_u32_e32 v68, s11, v68
	s_and_saveexec_b64 s[6:7], vcc
	s_cbranch_execnz .LBB237_73
.LBB237_52:                             ;   in Loop: Header=BB237_13 Depth=1
	s_or_b64 exec, exec, s[6:7]
	s_and_b64 exec, exec, s[4:5]
	s_cbranch_execnz .LBB237_78
	s_branch .LBB237_83
.LBB237_53:                             ;   in Loop: Header=BB237_13 Depth=1
	v_cvt_f32_i32_e32 v11, v11
	v_add_f32_e32 v11, v13, v11
	s_waitcnt vmcnt(5)
	v_lshlrev_b32_e32 v13, 16, v17
	v_add_f32_e32 v13, v11, v13
	v_and_b32_e32 v11, 0x7f800000, v13
	v_cmp_ne_u32_e64 s[4:5], s42, v11
                                        ; implicit-def: $vgpr11
	s_and_saveexec_b64 s[30:31], s[4:5]
	s_xor_b64 s[4:5], exec, s[30:31]
; %bb.54:                               ;   in Loop: Header=BB237_13 Depth=1
	v_bfe_u32 v11, v13, 16, 1
	v_add3_u32 v11, v13, v11, s10
                                        ; implicit-def: $vgpr13
; %bb.55:                               ;   in Loop: Header=BB237_13 Depth=1
	s_andn2_saveexec_b64 s[30:31], s[4:5]
; %bb.56:                               ;   in Loop: Header=BB237_13 Depth=1
	v_or_b32_e32 v11, 0x10000, v13
	v_cmp_eq_u32_sdwa s[4:5], v13, v69 src0_sel:WORD_0 src1_sel:DWORD
	s_nop 1
	v_cndmask_b32_e64 v11, v11, v13, s[4:5]
; %bb.57:                               ;   in Loop: Header=BB237_13 Depth=1
	s_or_b64 exec, exec, s[30:31]
	v_mov_b32_e32 v67, v69
	s_waitcnt lgkmcnt(0)
	v_lshl_add_u64 v[18:19], v[66:67], 1, s[20:21]
	global_store_short_d16_hi v[18:19], v11, off
	s_or_b64 exec, exec, s[6:7]
	v_cmp_ne_u32_e64 s[4:5], 0, v65
	s_and_saveexec_b64 s[30:31], s[4:5]
	s_cbranch_execz .LBB237_49
.LBB237_58:                             ;   in Loop: Header=BB237_13 Depth=1
	v_cvt_f32_i32_e32 v8, v8
	s_waitcnt vmcnt(4)
	v_lshlrev_b32_e32 v11, 16, v16
	v_add_f32_e32 v8, v12, v8
	v_add_f32_e32 v11, v8, v11
	v_and_b32_e32 v8, 0x7f800000, v11
	v_cmp_ne_u32_e64 s[6:7], s42, v8
                                        ; implicit-def: $vgpr8
	s_and_saveexec_b64 s[34:35], s[6:7]
	s_xor_b64 s[6:7], exec, s[34:35]
; %bb.59:                               ;   in Loop: Header=BB237_13 Depth=1
	v_bfe_u32 v8, v11, 16, 1
	v_add3_u32 v8, v11, v8, s10
                                        ; implicit-def: $vgpr11
; %bb.60:                               ;   in Loop: Header=BB237_13 Depth=1
	s_andn2_saveexec_b64 s[34:35], s[6:7]
; %bb.61:                               ;   in Loop: Header=BB237_13 Depth=1
	v_or_b32_e32 v8, 0x10000, v11
	v_cmp_eq_u32_sdwa s[6:7], v11, v69 src0_sel:WORD_0 src1_sel:DWORD
	s_nop 1
	v_cndmask_b32_e64 v8, v8, v11, s[6:7]
; %bb.62:                               ;   in Loop: Header=BB237_13 Depth=1
	s_or_b64 exec, exec, s[34:35]
	v_mov_b32_e32 v71, v69
	s_waitcnt lgkmcnt(0)
	v_lshl_add_u64 v[12:13], v[70:71], 1, s[20:21]
	global_store_short_d16_hi v[12:13], v8, off
	s_or_b64 exec, exec, s[30:31]
	v_add_u32_e32 v68, s11, v66
	s_and_saveexec_b64 s[30:31], vcc
	s_cbranch_execz .LBB237_50
.LBB237_63:                             ;   in Loop: Header=BB237_13 Depth=1
	v_cvt_f32_i32_e32 v8, v10
	v_add_f32_e32 v8, v9, v8
	s_waitcnt vmcnt(3)
	v_lshlrev_b32_e32 v9, 16, v15
	v_add_f32_e32 v9, v8, v9
	v_and_b32_e32 v8, 0x7f800000, v9
	v_cmp_ne_u32_e64 s[6:7], s42, v8
                                        ; implicit-def: $vgpr8
	s_and_saveexec_b64 s[34:35], s[6:7]
	s_xor_b64 s[6:7], exec, s[34:35]
; %bb.64:                               ;   in Loop: Header=BB237_13 Depth=1
	v_bfe_u32 v8, v9, 16, 1
	v_add3_u32 v8, v9, v8, s10
                                        ; implicit-def: $vgpr9
; %bb.65:                               ;   in Loop: Header=BB237_13 Depth=1
	s_andn2_saveexec_b64 s[34:35], s[6:7]
; %bb.66:                               ;   in Loop: Header=BB237_13 Depth=1
	v_or_b32_e32 v8, 0x10000, v9
	v_cmp_eq_u32_sdwa s[6:7], v9, v69 src0_sel:WORD_0 src1_sel:DWORD
	s_nop 1
	v_cndmask_b32_e64 v8, v8, v9, s[6:7]
; %bb.67:                               ;   in Loop: Header=BB237_13 Depth=1
	s_or_b64 exec, exec, s[34:35]
	s_waitcnt lgkmcnt(0)
	v_lshl_add_u64 v[10:11], v[68:69], 1, s[20:21]
	global_store_short_d16_hi v[10:11], v8, off
	s_or_b64 exec, exec, s[30:31]
	s_and_saveexec_b64 s[30:31], s[4:5]
	s_cbranch_execz .LBB237_51
.LBB237_68:                             ;   in Loop: Header=BB237_13 Depth=1
	v_cvt_f32_i32_e32 v6, v6
	v_add_f32_e32 v5, v5, v6
	s_waitcnt vmcnt(2)
	v_lshlrev_b32_e32 v6, 16, v14
	v_add_f32_e32 v6, v5, v6
	v_and_b32_e32 v5, 0x7f800000, v6
	v_cmp_ne_u32_e64 s[6:7], s42, v5
                                        ; implicit-def: $vgpr5
	s_and_saveexec_b64 s[34:35], s[6:7]
	s_xor_b64 s[6:7], exec, s[34:35]
; %bb.69:                               ;   in Loop: Header=BB237_13 Depth=1
	v_bfe_u32 v5, v6, 16, 1
	v_add3_u32 v5, v6, v5, s10
                                        ; implicit-def: $vgpr6
; %bb.70:                               ;   in Loop: Header=BB237_13 Depth=1
	s_andn2_saveexec_b64 s[34:35], s[6:7]
; %bb.71:                               ;   in Loop: Header=BB237_13 Depth=1
	v_or_b32_e32 v5, 0x10000, v6
	v_cmp_eq_u32_sdwa s[6:7], v6, v69 src0_sel:WORD_0 src1_sel:DWORD
	s_nop 1
	v_cndmask_b32_e64 v5, v5, v6, s[6:7]
; %bb.72:                               ;   in Loop: Header=BB237_13 Depth=1
	s_or_b64 exec, exec, s[34:35]
	v_add_u32_e32 v8, 1, v68
	v_mov_b32_e32 v9, v69
	s_waitcnt lgkmcnt(0)
	v_lshl_add_u64 v[8:9], v[8:9], 1, s[20:21]
	global_store_short_d16_hi v[8:9], v5, off
	s_or_b64 exec, exec, s[30:31]
	v_add_u32_e32 v68, s11, v68
	s_and_saveexec_b64 s[6:7], vcc
	s_cbranch_execz .LBB237_52
.LBB237_73:                             ;   in Loop: Header=BB237_13 Depth=1
	v_cvt_f32_i32_e32 v3, v3
	v_add_f32_e32 v2, v2, v3
	s_waitcnt vmcnt(1)
	v_lshlrev_b32_e32 v3, 16, v7
	v_add_f32_e32 v3, v2, v3
	v_and_b32_e32 v2, 0x7f800000, v3
	v_cmp_ne_u32_e32 vcc, s42, v2
                                        ; implicit-def: $vgpr2
	s_and_saveexec_b64 s[30:31], vcc
	s_xor_b64 s[30:31], exec, s[30:31]
; %bb.74:                               ;   in Loop: Header=BB237_13 Depth=1
	v_bfe_u32 v2, v3, 16, 1
	v_add3_u32 v2, v3, v2, s10
                                        ; implicit-def: $vgpr3
; %bb.75:                               ;   in Loop: Header=BB237_13 Depth=1
	s_andn2_saveexec_b64 s[30:31], s[30:31]
; %bb.76:                               ;   in Loop: Header=BB237_13 Depth=1
	v_or_b32_e32 v2, 0x10000, v3
	v_cmp_eq_u32_sdwa vcc, v3, v69 src0_sel:WORD_0 src1_sel:DWORD
	s_nop 1
	v_cndmask_b32_e32 v2, v2, v3, vcc
; %bb.77:                               ;   in Loop: Header=BB237_13 Depth=1
	s_or_b64 exec, exec, s[30:31]
	s_waitcnt lgkmcnt(0)
	v_lshl_add_u64 v[6:7], v[68:69], 1, s[20:21]
	global_store_short_d16_hi v[6:7], v2, off
	s_or_b64 exec, exec, s[6:7]
	s_and_b64 exec, exec, s[4:5]
	s_cbranch_execz .LBB237_83
.LBB237_78:                             ;   in Loop: Header=BB237_13 Depth=1
	v_cvt_f32_i32_e32 v1, v1
	v_add_f32_e32 v0, v0, v1
	s_waitcnt vmcnt(0)
	v_lshlrev_b32_e32 v1, 16, v4
	v_add_f32_e32 v1, v0, v1
	v_and_b32_e32 v0, 0x7f800000, v1
	v_cmp_ne_u32_e32 vcc, s42, v0
                                        ; implicit-def: $vgpr0
	s_and_saveexec_b64 s[4:5], vcc
	s_xor_b64 s[4:5], exec, s[4:5]
; %bb.79:                               ;   in Loop: Header=BB237_13 Depth=1
	v_bfe_u32 v0, v1, 16, 1
	v_add3_u32 v0, v1, v0, s10
                                        ; implicit-def: $vgpr1
; %bb.80:                               ;   in Loop: Header=BB237_13 Depth=1
	s_andn2_saveexec_b64 s[4:5], s[4:5]
; %bb.81:                               ;   in Loop: Header=BB237_13 Depth=1
	v_or_b32_e32 v0, 0x10000, v1
	v_cmp_eq_u32_sdwa vcc, v1, v69 src0_sel:WORD_0 src1_sel:DWORD
	s_nop 1
	v_cndmask_b32_e32 v0, v0, v1, vcc
; %bb.82:                               ;   in Loop: Header=BB237_13 Depth=1
	s_or_b64 exec, exec, s[4:5]
	v_add_u32_e32 v68, 1, v68
	s_waitcnt lgkmcnt(0)
	v_lshl_add_u64 v[2:3], v[68:69], 1, s[20:21]
	global_store_short_d16_hi v[2:3], v0, off
.LBB237_83:                             ;   in Loop: Header=BB237_13 Depth=1
	s_or_b64 exec, exec, s[28:29]
	v_add_u32_e32 v66, s37, v66
	v_add_u32_e32 v0, 2, v66
	v_cmp_gt_u32_e32 vcc, s11, v66
	v_cmp_le_u32_e64 s[4:5], s11, v0
	s_and_b64 s[4:5], vcc, s[4:5]
	s_and_saveexec_b64 s[6:7], s[4:5]
	s_cbranch_execz .LBB237_12
; %bb.84:                               ;   in Loop: Header=BB237_13 Depth=1
	v_cmp_ne_u32_e32 vcc, s17, v66
	s_and_saveexec_b64 s[28:29], vcc
	s_cbranch_execz .LBB237_11
; %bb.85:                               ;   in Loop: Header=BB237_13 Depth=1
	v_subrev_u32_e32 v0, s17, v66
	v_cmp_lt_u32_e32 vcc, 1, v0
	s_mov_b64 s[30:31], 0
	s_mov_b64 s[34:35], 0
	v_cndmask_b32_e32 v0, 1, v0, vcc
.LBB237_86:                             ;   Parent Loop BB237_13 Depth=1
                                        ; =>  This Inner Loop Header: Depth=2
	s_cmp_lg_u32 s34, 1
	s_cselect_b64 vcc, -1, 0
	s_cmp_lg_u32 s34, 0
	v_cndmask_b32_e32 v65, 0, v65, vcc
	s_cselect_b64 vcc, -1, 0
	s_add_u32 s34, s34, 1
	s_addc_u32 s35, s35, 0
	v_cmp_eq_u32_e64 s[4:5], s34, v0
	s_or_b64 s[30:31], s[4:5], s[30:31]
	v_cndmask_b32_e32 v64, 0, v64, vcc
	s_andn2_b64 exec, exec, s[30:31]
	s_cbranch_execnz .LBB237_86
; %bb.87:                               ;   in Loop: Header=BB237_13 Depth=1
	s_or_b64 exec, exec, s[30:31]
	s_branch .LBB237_11
.LBB237_88:
	s_endpgm
	.section	.rodata,"a",@progbits
	.p2align	6, 0x0
	.amdhsa_kernel _Z12wvSplitK_hf_I14__hip_bfloat16Li64ELi2ELi16ELi8ELi2ELi3EEviiiiiiPKT_S3_S3_PS1_ii
		.amdhsa_group_segment_fixed_size 65536
		.amdhsa_private_segment_fixed_size 0
		.amdhsa_kernarg_size 64
		.amdhsa_user_sgpr_count 2
		.amdhsa_user_sgpr_dispatch_ptr 0
		.amdhsa_user_sgpr_queue_ptr 0
		.amdhsa_user_sgpr_kernarg_segment_ptr 1
		.amdhsa_user_sgpr_dispatch_id 0
		.amdhsa_user_sgpr_kernarg_preload_length 0
		.amdhsa_user_sgpr_kernarg_preload_offset 0
		.amdhsa_user_sgpr_private_segment_size 0
		.amdhsa_uses_dynamic_stack 0
		.amdhsa_enable_private_segment 0
		.amdhsa_system_sgpr_workgroup_id_x 1
		.amdhsa_system_sgpr_workgroup_id_y 0
		.amdhsa_system_sgpr_workgroup_id_z 0
		.amdhsa_system_sgpr_workgroup_info 0
		.amdhsa_system_vgpr_workitem_id 1
		.amdhsa_next_free_vgpr 85
		.amdhsa_next_free_sgpr 43
		.amdhsa_accum_offset 88
		.amdhsa_reserve_vcc 1
		.amdhsa_float_round_mode_32 0
		.amdhsa_float_round_mode_16_64 0
		.amdhsa_float_denorm_mode_32 3
		.amdhsa_float_denorm_mode_16_64 3
		.amdhsa_dx10_clamp 1
		.amdhsa_ieee_mode 1
		.amdhsa_fp16_overflow 0
		.amdhsa_tg_split 0
		.amdhsa_exception_fp_ieee_invalid_op 0
		.amdhsa_exception_fp_denorm_src 0
		.amdhsa_exception_fp_ieee_div_zero 0
		.amdhsa_exception_fp_ieee_overflow 0
		.amdhsa_exception_fp_ieee_underflow 0
		.amdhsa_exception_fp_ieee_inexact 0
		.amdhsa_exception_int_div_zero 0
	.end_amdhsa_kernel
	.section	.text._Z12wvSplitK_hf_I14__hip_bfloat16Li64ELi2ELi16ELi8ELi2ELi3EEviiiiiiPKT_S3_S3_PS1_ii,"axG",@progbits,_Z12wvSplitK_hf_I14__hip_bfloat16Li64ELi2ELi16ELi8ELi2ELi3EEviiiiiiPKT_S3_S3_PS1_ii,comdat
.Lfunc_end237:
	.size	_Z12wvSplitK_hf_I14__hip_bfloat16Li64ELi2ELi16ELi8ELi2ELi3EEviiiiiiPKT_S3_S3_PS1_ii, .Lfunc_end237-_Z12wvSplitK_hf_I14__hip_bfloat16Li64ELi2ELi16ELi8ELi2ELi3EEviiiiiiPKT_S3_S3_PS1_ii
                                        ; -- End function
	.section	.AMDGPU.csdata,"",@progbits
; Kernel info:
; codeLenInByte = 3820
; NumSgprs: 49
; NumVgprs: 85
; NumAgprs: 0
; TotalNumVgprs: 85
; ScratchSize: 0
; MemoryBound: 1
; FloatMode: 240
; IeeeMode: 1
; LDSByteSize: 65536 bytes/workgroup (compile time only)
; SGPRBlocks: 6
; VGPRBlocks: 10
; NumSGPRsForWavesPerEU: 49
; NumVGPRsForWavesPerEU: 85
; AccumOffset: 88
; Occupancy: 4
; WaveLimiterHint : 0
; COMPUTE_PGM_RSRC2:SCRATCH_EN: 0
; COMPUTE_PGM_RSRC2:USER_SGPR: 2
; COMPUTE_PGM_RSRC2:TRAP_HANDLER: 0
; COMPUTE_PGM_RSRC2:TGID_X_EN: 1
; COMPUTE_PGM_RSRC2:TGID_Y_EN: 0
; COMPUTE_PGM_RSRC2:TGID_Z_EN: 0
; COMPUTE_PGM_RSRC2:TIDIG_COMP_CNT: 1
; COMPUTE_PGM_RSRC3_GFX90A:ACCUM_OFFSET: 21
; COMPUTE_PGM_RSRC3_GFX90A:TG_SPLIT: 0
	.section	.text._Z16wvSplitK_hf_big_I14__hip_bfloat16Li64ELi2ELi16ELi8ELi2ELi3EEviiiiiiPKT_S3_S3_PS1_ii,"axG",@progbits,_Z16wvSplitK_hf_big_I14__hip_bfloat16Li64ELi2ELi16ELi8ELi2ELi3EEviiiiiiPKT_S3_S3_PS1_ii,comdat
	.protected	_Z16wvSplitK_hf_big_I14__hip_bfloat16Li64ELi2ELi16ELi8ELi2ELi3EEviiiiiiPKT_S3_S3_PS1_ii ; -- Begin function _Z16wvSplitK_hf_big_I14__hip_bfloat16Li64ELi2ELi16ELi8ELi2ELi3EEviiiiiiPKT_S3_S3_PS1_ii
	.globl	_Z16wvSplitK_hf_big_I14__hip_bfloat16Li64ELi2ELi16ELi8ELi2ELi3EEviiiiiiPKT_S3_S3_PS1_ii
	.p2align	8
	.type	_Z16wvSplitK_hf_big_I14__hip_bfloat16Li64ELi2ELi16ELi8ELi2ELi3EEviiiiiiPKT_S3_S3_PS1_ii,@function
_Z16wvSplitK_hf_big_I14__hip_bfloat16Li64ELi2ELi16ELi8ELi2ELi3EEviiiiiiPKT_S3_S3_PS1_ii: ; @_Z16wvSplitK_hf_big_I14__hip_bfloat16Li64ELi2ELi16ELi8ELi2ELi3EEviiiiiiPKT_S3_S3_PS1_ii
; %bb.0:
	s_load_dwordx2 s[4:5], s[0:1], 0x38
	v_bfe_u32 v1, v0, 10, 10
	s_waitcnt lgkmcnt(0)
	v_cmp_gt_u32_e32 vcc, s4, v1
	s_and_saveexec_b64 s[6:7], vcc
	s_cbranch_execz .LBB238_76
; %bb.1:
	s_load_dwordx4 s[20:23], s[0:1], 0x0
	s_mul_i32 s2, s2, s4
	v_add_lshl_u32 v66, s2, v1, 1
	s_mov_b32 s6, 1
	v_add_u32_e32 v2, 2, v66
	s_waitcnt lgkmcnt(0)
	v_cmp_gt_u32_e32 vcc, s23, v66
	v_cmp_le_u32_e64 s[2:3], s23, v2
	s_mov_b32 s7, s6
	s_and_b64 s[8:9], vcc, s[2:3]
	v_mov_b64_e32 v[64:65], s[6:7]
	s_and_saveexec_b64 s[2:3], s[8:9]
	s_cbranch_execz .LBB238_7
; %bb.2:
	s_add_i32 s14, s23, -2
	v_cmp_ne_u32_e32 vcc, s14, v66
	v_mov_b64_e32 v[64:65], s[6:7]
	s_and_saveexec_b64 s[6:7], vcc
	s_cbranch_execz .LBB238_6
; %bb.3:
	v_subrev_u32_e32 v2, s14, v66
	s_mov_b32 s8, 1
	v_cmp_lt_u32_e32 vcc, 1, v2
	s_mov_b64 s[10:11], 0
	s_mov_b64 s[12:13], 0
	v_cndmask_b32_e32 v2, 1, v2, vcc
	s_mov_b32 s9, s8
.LBB238_4:                              ; =>This Inner Loop Header: Depth=1
	s_cmp_lg_u32 s12, 1
	s_cselect_b32 s9, s9, 0
	s_cmp_lg_u32 s12, 0
	s_cselect_b32 s8, s8, 0
	s_add_u32 s12, s12, 1
	s_addc_u32 s13, s13, 0
	v_cmp_eq_u32_e32 vcc, s12, v2
	s_or_b64 s[10:11], vcc, s[10:11]
	v_mov_b64_e32 v[64:65], s[8:9]
	s_andn2_b64 exec, exec, s[10:11]
	s_cbranch_execnz .LBB238_4
; %bb.5:
	s_or_b64 exec, exec, s[10:11]
	v_mov_b32_e32 v66, s14
.LBB238_6:
	s_or_b64 exec, exec, s[6:7]
.LBB238_7:
	s_or_b64 exec, exec, s[2:3]
	s_lshl_b32 s2, s4, 1
	s_abs_i32 s3, s2
	v_cvt_f32_u32_e32 v2, s3
	s_sub_i32 s8, 0, s3
	s_abs_i32 s7, s23
	s_ashr_i32 s6, s23, 31
	v_rcp_iflag_f32_e32 v2, v2
	s_nop 0
	v_mul_f32_e32 v2, 0x4f7ffffe, v2
	v_cvt_u32_f32_e32 v2, v2
	s_nop 0
	v_readfirstlane_b32 s9, v2
	s_mul_i32 s8, s8, s9
	s_mul_hi_u32 s8, s9, s8
	s_add_i32 s9, s9, s8
	s_mul_hi_u32 s8, s7, s9
	s_mul_i32 s8, s8, s3
	s_sub_i32 s7, s7, s8
	s_sub_i32 s8, s7, s3
	s_cmp_ge_u32 s7, s3
	s_cselect_b32 s7, s8, s7
	s_sub_i32 s8, s7, s3
	s_cmp_ge_u32 s7, s3
	s_cselect_b32 s3, s8, s7
	s_xor_b32 s3, s3, s6
	s_sub_i32 s3, s3, s6
	s_add_i32 s2, s2, s23
	s_sub_i32 s2, s2, s3
	s_cmp_eq_u32 s3, 0
	s_cselect_b32 s33, s23, s2
	v_cmp_gt_u32_e32 vcc, s33, v66
	s_and_b64 exec, exec, vcc
	s_cbranch_execz .LBB238_76
; %bb.8:
	s_load_dwordx8 s[12:19], s[0:1], 0x10
	s_min_u32 s40, s22, 0x2800
	s_cmp_lg_u32 s20, 0
	s_load_dwordx2 s[10:11], s[0:1], 0x30
	s_cselect_b64 s[2:3], -1, 0
	s_cmp_lg_u32 s22, 0
	s_mul_i32 s0, s5, s4
	s_cselect_b64 s[6:7], -1, 0
	s_lshl_b32 s41, s4, 9
	s_add_i32 s42, s20, -8
	s_add_i32 s43, s23, -1
	s_lshl_b32 s44, s0, 1
	s_waitcnt lgkmcnt(0)
	s_cmp_lg_u64 s[18:19], 0
	s_cselect_b64 s[26:27], -1, 0
	s_abs_i32 s5, s13
	v_cvt_f32_u32_e32 v2, s12
	v_cvt_f32_u32_e32 v3, s5
	s_sub_i32 s8, 0, s12
	s_add_i32 s13, s23, -2
	v_rcp_iflag_f32_e32 v2, v2
	v_rcp_iflag_f32_e32 v3, v3
	v_and_b32_e32 v0, 0x3ff, v0
	v_lshlrev_b32_e32 v74, 3, v0
	v_mul_f32_e32 v2, 0x4f7ffffe, v2
	v_mul_f32_e32 v3, 0x4f7ffffe, v3
	v_cvt_u32_f32_e32 v2, v2
	v_cvt_u32_f32_e32 v3, v3
	v_cmp_eq_u32_e64 s[0:1], 63, v0
	v_lshlrev_b32_e32 v0, 4, v0
	v_mul_lo_u32 v4, s8, v2
	s_sub_i32 s8, 0, s5
	v_readfirstlane_b32 s9, v3
	s_mul_i32 s8, s8, s9
	s_mul_hi_u32 s8, s9, s8
	s_add_i32 s9, s9, s8
	s_sub_i32 s8, 1, s5
	s_cmp_lt_u32 s5, 2
	s_cselect_b32 s8, s8, 1
	s_sub_i32 s28, s8, s5
	s_cmp_ge_u32 s8, s5
	s_cselect_b32 s45, s28, s8
	s_lshr_b32 s8, s9, 31
	s_mul_i32 s8, s8, s5
	s_sub_i32 s8, 2, s8
	s_sub_i32 s9, s8, s5
	s_cmp_ge_u32 s8, s5
	s_cselect_b32 s8, s9, s8
	s_sub_i32 s9, s8, s5
	s_cmp_ge_u32 s8, s5
	v_lshl_add_u32 v76, v1, 10, v0
	v_cndmask_b32_e64 v0, 0, 1, s[2:3]
	v_mul_hi_u32 v4, v2, v4
	s_cselect_b32 s46, s9, s8
	s_add_u32 s28, s10, 2
	v_lshl_add_u32 v77, v1, 9, v74
	v_cmp_ne_u32_e64 s[2:3], 1, v0
	v_cndmask_b32_e64 v0, 0, 1, s[6:7]
	s_mov_b64 s[24:25], 0
	v_add_u32_e32 v75, v2, v4
	v_mov_b32_e32 v69, 0
	s_mul_i32 s45, s45, s12
	s_mul_i32 s46, s46, s12
	s_addc_u32 s29, s11, 0
	s_lshl_b32 s47, s40, 2
	s_lshl_b32 s48, s4, 10
	;; [unrolled: 1-line block ×3, first 2 shown]
	v_lshl_add_u32 v78, s22, 1, v77
	v_add_u32_e32 v79, s22, v77
	v_cmp_ne_u32_e64 s[4:5], 1, v0
	s_mov_b32 s50, 0x7f800000
	s_movk_i32 s51, 0x7fff
	s_branch .LBB238_12
.LBB238_9:                              ;   in Loop: Header=BB238_12 Depth=1
	s_or_b64 exec, exec, s[34:35]
	v_mov_b32_e32 v66, s13
.LBB238_10:                             ;   in Loop: Header=BB238_12 Depth=1
	s_or_b64 exec, exec, s[8:9]
.LBB238_11:                             ;   in Loop: Header=BB238_12 Depth=1
	s_or_b64 exec, exec, s[30:31]
	v_cmp_le_u32_e32 vcc, s33, v66
	s_or_b64 s[24:25], vcc, s[24:25]
	s_andn2_b64 exec, exec, s[24:25]
	s_cbranch_execz .LBB238_76
.LBB238_12:                             ; =>This Loop Header: Depth=1
                                        ;     Child Loop BB238_17 Depth 2
                                        ;       Child Loop BB238_22 Depth 3
                                        ;     Child Loop BB238_74 Depth 2
	s_and_b64 vcc, exec, s[2:3]
	v_mov_b32_e32 v3, v69
	v_mov_b32_e32 v2, v69
	;; [unrolled: 1-line block ×4, first 2 shown]
	s_waitcnt vmcnt(1)
	v_mov_b32_e32 v7, v69
	v_mov_b32_e32 v6, v69
	;; [unrolled: 1-line block ×3, first 2 shown]
	s_waitcnt vmcnt(0)
	v_mov_b32_e32 v4, v69
	v_mov_b32_e32 v11, v69
	;; [unrolled: 1-line block ×17, first 2 shown]
	s_cbranch_vccnz .LBB238_29
; %bb.13:                               ;   in Loop: Header=BB238_12 Depth=1
	v_min_u32_e32 v0, s43, v66
	v_mul_lo_u32 v68, v0, s21
	v_add_u32_e32 v0, 1, v66
	v_min_u32_e32 v0, s43, v0
	v_mul_lo_u32 v0, v0, s21
	v_mov_b32_e32 v1, v69
	v_mov_b32_e32 v16, 0
	v_cmp_gt_u32_e64 s[6:7], s23, v66
	s_mov_b32 s36, 0
	v_lshlrev_b64 v[70:71], 1, v[68:69]
	v_lshlrev_b64 v[72:73], 1, v[0:1]
	s_mov_b32 s37, 0
	v_mov_b32_e32 v17, v16
	v_mov_b32_e32 v18, v16
	v_mov_b32_e32 v19, v16
	v_mov_b32_e32 v20, v16
	v_mov_b32_e32 v21, v16
	v_mov_b32_e32 v22, v16
	v_mov_b32_e32 v23, v16
	v_mov_b32_e32 v12, v16
	v_mov_b32_e32 v13, v16
	v_mov_b32_e32 v14, v16
	v_mov_b32_e32 v15, v16
	v_mov_b32_e32 v8, v16
	v_mov_b32_e32 v9, v16
	v_mov_b32_e32 v10, v16
	v_mov_b32_e32 v11, v16
	v_mov_b32_e32 v4, v16
	v_mov_b32_e32 v5, v16
	v_mov_b32_e32 v6, v16
	v_mov_b32_e32 v7, v16
	v_mov_b32_e32 v0, v16
	v_mov_b32_e32 v1, v16
	v_mov_b32_e32 v2, v16
	v_mov_b32_e32 v3, v16
	s_branch .LBB238_17
.LBB238_14:                             ;   in Loop: Header=BB238_17 Depth=2
	s_or_b64 exec, exec, s[34:35]
.LBB238_15:                             ;   in Loop: Header=BB238_17 Depth=2
	s_or_b64 exec, exec, s[30:31]
	s_waitcnt vmcnt(3) lgkmcnt(2)
	v_mfma_f32_4x4x4_16b_bf16 v[20:23], v[60:61], v[36:37], v[20:23]
	s_waitcnt vmcnt(2)
	v_mfma_f32_4x4x4_16b_bf16 v[16:19], v[60:61], v[32:33], v[16:19]
	s_waitcnt lgkmcnt(1)
	v_mfma_f32_4x4x4_16b_bf16 v[12:15], v[56:57], v[36:37], v[12:15]
	v_mfma_f32_4x4x4_16b_bf16 v[8:11], v[56:57], v[32:33], v[8:11]
	s_waitcnt lgkmcnt(0)
	v_mfma_f32_4x4x4_16b_bf16 v[4:7], v[52:53], v[36:37], v[4:7]
	v_mfma_f32_4x4x4_16b_bf16 v[0:3], v[52:53], v[32:33], v[0:3]
	;; [unrolled: 1-line block ×8, first 2 shown]
	s_waitcnt vmcnt(1)
	v_mfma_f32_4x4x4_16b_bf16 v[20:23], v[48:49], v[28:29], v[20:23]
	s_waitcnt vmcnt(0)
	v_mfma_f32_4x4x4_16b_bf16 v[16:19], v[48:49], v[24:25], v[16:19]
	v_mfma_f32_4x4x4_16b_bf16 v[12:15], v[44:45], v[28:29], v[12:15]
	;; [unrolled: 1-line block ×11, first 2 shown]
.LBB238_16:                             ;   in Loop: Header=BB238_17 Depth=2
	s_or_b64 exec, exec, s[8:9]
	s_addk_i32 s37, 0x400
	s_cmp_ge_u32 s37, s20
	s_cbranch_scc1 .LBB238_29
.LBB238_17:                             ;   Parent Loop BB238_12 Depth=1
                                        ; =>  This Loop Header: Depth=2
                                        ;       Child Loop BB238_22 Depth 3
	s_cmp_eq_u32 s37, 0
	s_cselect_b64 s[8:9], -1, 0
	s_add_i32 s30, s36, s40
	s_cmp_eq_u32 s37, s30
	s_cselect_b64 s[34:35], -1, 0
	s_or_b64 s[34:35], s[8:9], s[34:35]
	s_andn2_b64 vcc, exec, s[34:35]
	s_cbranch_vccz .LBB238_19
; %bb.18:                               ;   in Loop: Header=BB238_17 Depth=2
	s_and_saveexec_b64 s[8:9], s[6:7]
	s_cbranch_execz .LBB238_16
	s_branch .LBB238_26
.LBB238_19:                             ;   in Loop: Header=BB238_17 Depth=2
	s_and_b64 s[8:9], s[8:9], exec
	s_cselect_b32 s36, s36, s30
	s_and_b64 vcc, exec, s[4:5]
	s_barrier
	s_cbranch_vccnz .LBB238_25
; %bb.20:                               ;   in Loop: Header=BB238_17 Depth=2
	v_add_u32_e32 v24, s36, v78
	v_add_u32_e32 v25, s36, v79
	;; [unrolled: 1-line block ×3, first 2 shown]
	s_mov_b32 s38, 0
	s_mov_b64 s[30:31], 0
	v_mov_b32_e32 v27, v76
                                        ; implicit-def: $sgpr34_sgpr35
	s_branch .LBB238_22
.LBB238_21:                             ;   in Loop: Header=BB238_22 Depth=3
	s_or_b64 exec, exec, s[8:9]
	s_and_b64 s[8:9], exec, s[34:35]
	s_or_b64 s[30:31], s[8:9], s[30:31]
	s_andn2_b64 exec, exec, s[30:31]
	s_cbranch_execz .LBB238_24
.LBB238_22:                             ;   Parent Loop BB238_12 Depth=1
                                        ;     Parent Loop BB238_17 Depth=2
                                        ; =>    This Inner Loop Header: Depth=3
	v_add_u32_e32 v28, s38, v77
	v_add_u32_e32 v68, s38, v26
	v_cmp_gt_u32_e32 vcc, s22, v68
	v_cmp_gt_u32_e64 s[8:9], s40, v28
	s_and_b64 s[52:53], s[8:9], vcc
	s_or_b64 s[34:35], s[34:35], exec
	s_and_saveexec_b64 s[8:9], s[52:53]
	s_cbranch_execz .LBB238_21
; %bb.23:                               ;   in Loop: Header=BB238_22 Depth=3
	v_lshl_add_u64 v[28:29], v[68:69], 1, s[16:17]
	v_add_u32_e32 v68, s38, v25
	v_lshl_add_u64 v[32:33], v[68:69], 1, s[16:17]
	v_add_u32_e32 v68, s38, v24
	global_load_dwordx4 v[28:31], v[28:29], off
	s_nop 0
	global_load_dwordx4 v[32:35], v[32:33], off
	v_lshl_add_u64 v[36:37], v[68:69], 1, s[16:17]
	global_load_dwordx4 v[36:39], v[36:37], off
	s_add_i32 s38, s38, s41
	s_cmp_ge_u32 s38, s40
	s_cselect_b64 s[52:53], -1, 0
	s_andn2_b64 s[34:35], s[34:35], exec
	s_and_b64 s[52:53], s[52:53], exec
	v_add_u32_e32 v40, s49, v27
	v_add_u32_e32 v41, s47, v27
	s_or_b64 s[34:35], s[34:35], s[52:53]
	s_waitcnt vmcnt(2)
	ds_write_b128 v27, v[28:31]
	v_add_u32_e32 v27, s48, v27
	s_waitcnt vmcnt(1)
	ds_write2_b64 v40, v[32:33], v[34:35] offset1:1
	s_waitcnt vmcnt(0)
	ds_write2_b32 v41, v36, v37 offset1:1
	ds_write2_b32 v41, v38, v39 offset0:2 offset1:3
	s_branch .LBB238_21
.LBB238_24:                             ;   in Loop: Header=BB238_17 Depth=2
	s_or_b64 exec, exec, s[30:31]
.LBB238_25:                             ;   in Loop: Header=BB238_17 Depth=2
	s_waitcnt lgkmcnt(0)
	s_barrier
	s_and_saveexec_b64 s[8:9], s[6:7]
	s_cbranch_execz .LBB238_16
.LBB238_26:                             ;   in Loop: Header=BB238_17 Depth=2
	v_add_u32_e32 v67, s37, v74
	v_min_u32_e32 v68, s42, v67
	v_lshl_add_u64 v[24:25], v[68:69], 1, s[14:15]
	v_add_u32_e32 v80, 0x200, v67
	v_lshl_add_u64 v[26:27], v[24:25], 0, v[70:71]
	v_lshl_add_u64 v[24:25], v[24:25], 0, v[72:73]
	v_min_u32_e32 v68, s42, v80
	global_load_dwordx4 v[36:39], v[26:27], off nt
	global_load_dwordx4 v[32:35], v[24:25], off nt
	v_lshl_add_u64 v[24:25], v[68:69], 1, s[14:15]
	v_lshl_add_u64 v[40:41], v[24:25], 0, v[70:71]
	;; [unrolled: 1-line block ×3, first 2 shown]
	global_load_dwordx4 v[28:31], v[40:41], off nt
	global_load_dwordx4 v[24:27], v[42:43], off nt
	v_cmp_gt_u32_e32 vcc, s20, v67
	v_mov_b32_e32 v42, 0
	v_mov_b32_e32 v43, 0
	;; [unrolled: 1-line block ×24, first 2 shown]
	s_and_saveexec_b64 s[30:31], vcc
	s_cbranch_execz .LBB238_15
; %bb.27:                               ;   in Loop: Header=BB238_17 Depth=2
	v_subrev_u32_e32 v40, s36, v67
	v_lshlrev_b32_e32 v81, 1, v40
	v_add_u32_e32 v68, s49, v81
	v_add_u32_e32 v67, s49, v68
	ds_read_b128 v[60:63], v81
	ds_read_b128 v[56:59], v68
	;; [unrolled: 1-line block ×3, first 2 shown]
	v_cmp_gt_u32_e32 vcc, s20, v80
	v_mov_b32_e32 v49, 0
	v_mov_b32_e32 v48, 0
	;; [unrolled: 1-line block ×12, first 2 shown]
	s_and_saveexec_b64 s[34:35], vcc
	s_cbranch_execz .LBB238_14
; %bb.28:                               ;   in Loop: Header=BB238_17 Depth=2
	ds_read_b128 v[48:51], v81 offset:1024
	ds_read_b128 v[44:47], v68 offset:1024
	;; [unrolled: 1-line block ×3, first 2 shown]
	s_branch .LBB238_14
.LBB238_29:                             ;   in Loop: Header=BB238_12 Depth=1
	v_cmp_le_u32_e32 vcc, s23, v66
	s_and_saveexec_b64 s[6:7], vcc
	s_xor_b64 s[6:7], exec, s[6:7]
; %bb.30:                               ;   in Loop: Header=BB238_12 Depth=1
	v_add_u32_e32 v66, s44, v66
                                        ; implicit-def: $vgpr3
                                        ; implicit-def: $vgpr7
                                        ; implicit-def: $vgpr11
                                        ; implicit-def: $vgpr15
                                        ; implicit-def: $vgpr23
                                        ; implicit-def: $vgpr19
; %bb.31:                               ;   in Loop: Header=BB238_12 Depth=1
	s_andn2_saveexec_b64 s[30:31], s[6:7]
	s_cbranch_execz .LBB238_11
; %bb.32:                               ;   in Loop: Header=BB238_12 Depth=1
	v_cvt_i32_f32_e32 v21, v21
	v_cvt_i32_f32_e32 v22, v22
	;; [unrolled: 1-line block ×4, first 2 shown]
	v_cvt_f32_i32_dpp v21, v21 row_shl:1 row_mask:0xf bank_mask:0xf bound_ctrl:1
	v_cvt_f32_i32_dpp v22, v22 row_shl:2 row_mask:0xf bank_mask:0xf bound_ctrl:1
	v_cvt_i32_f32_e32 v18, v18
	v_cvt_f32_i32_dpp v23, v23 row_shl:3 row_mask:0xf bank_mask:0xf bound_ctrl:1
	v_cvt_i32_f32_e32 v19, v19
	v_add_f32_e32 v20, v20, v21
	v_add_f32_e32 v20, v20, v22
	v_cvt_f32_i32_dpp v17, v17 row_shl:1 row_mask:0xf bank_mask:0xf bound_ctrl:1
	v_add_f32_e32 v20, v20, v23
	v_cvt_f32_i32_dpp v18, v18 row_shl:2 row_mask:0xf bank_mask:0xf bound_ctrl:1
	v_cvt_f32_i32_dpp v19, v19 row_shl:3 row_mask:0xf bank_mask:0xf bound_ctrl:1
	v_cvt_i32_f32_e32 v21, v20
	v_add_f32_e32 v16, v16, v17
	v_add_f32_e32 v16, v16, v18
	;; [unrolled: 1-line block ×3, first 2 shown]
	v_cvt_f32_i32_dpp v18, v21 row_shl:4 row_mask:0xf bank_mask:0xf bound_ctrl:1
	v_cvt_i32_f32_e32 v17, v16
	v_cvt_i32_f32_e32 v13, v13
	v_cvt_i32_f32_e32 v14, v14
	v_add_f32_e32 v18, v20, v18
	v_cvt_f32_i32_dpp v17, v17 row_shl:4 row_mask:0xf bank_mask:0xf bound_ctrl:1
	v_cvt_i32_f32_e32 v19, v18
	v_cvt_i32_f32_e32 v15, v15
	v_cvt_f32_i32_dpp v13, v13 row_shl:1 row_mask:0xf bank_mask:0xf bound_ctrl:1
	v_add_f32_e32 v16, v16, v17
	v_cvt_f32_i32_dpp v19, v19 row_shl:8 row_mask:0xf bank_mask:0xf bound_ctrl:1
	v_cvt_i32_f32_e32 v17, v16
	v_cvt_i32_f32_e32 v9, v9
	v_cvt_f32_i32_dpp v14, v14 row_shl:2 row_mask:0xf bank_mask:0xf bound_ctrl:1
	;; [unrolled: 5-line block ×3, first 2 shown]
	v_add_f32_e32 v16, v16, v17
	v_cvt_f32_i32_dpp v17, v18 row_shr:15 row_mask:0xf bank_mask:0xf bound_ctrl:1
	v_cvt_i32_f32_e32 v16, v16
	v_cvt_i32_f32_e32 v11, v11
	;; [unrolled: 1-line block ×4, first 2 shown]
	v_cvt_f32_i32_dpp v16, v16 row_shr:15 row_mask:0xf bank_mask:0xf bound_ctrl:1
	v_add_f32_e32 v12, v12, v13
	v_cvt_f32_i32_dpp v9, v9 row_shl:1 row_mask:0xf bank_mask:0xf bound_ctrl:1
	v_cvt_i32_f32_e32 v1, v1
	v_add_f32_e32 v12, v12, v14
	v_cvt_f32_i32_dpp v10, v10 row_shl:2 row_mask:0xf bank_mask:0xf bound_ctrl:1
	v_cvt_i32_f32_e32 v6, v6
	v_cvt_i32_f32_e32 v2, v2
	v_add_f32_e32 v14, v12, v15
	v_cvt_f32_i32_dpp v11, v11 row_shl:3 row_mask:0xf bank_mask:0xf bound_ctrl:1
	v_cvt_f32_i32_dpp v5, v5 row_shl:1 row_mask:0xf bank_mask:0xf bound_ctrl:1
	v_cvt_i32_f32_e32 v7, v7
	v_cvt_i32_f32_e32 v3, v3
	v_cvt_f32_i32_dpp v18, v18 row_bcast:15 row_mask:0xf bank_mask:0xf bound_ctrl:1
	v_cvt_i32_f32_e32 v12, v14
	v_cvt_i32_f32_e32 v19, v16
	v_add_f32_e32 v8, v8, v9
	v_cvt_f32_i32_dpp v1, v1 row_shl:1 row_mask:0xf bank_mask:0xf bound_ctrl:1
	v_add_f32_e32 v8, v8, v10
	v_cvt_f32_i32_dpp v6, v6 row_shl:2 row_mask:0xf bank_mask:0xf bound_ctrl:1
	v_cvt_f32_i32_dpp v2, v2 row_shl:2 row_mask:0xf bank_mask:0xf bound_ctrl:1
	v_add_f32_e32 v9, v8, v11
	v_add_f32_e32 v4, v4, v5
	v_cvt_f32_i32_dpp v5, v7 row_shl:3 row_mask:0xf bank_mask:0xf bound_ctrl:1
	v_cvt_f32_i32_dpp v3, v3 row_shl:3 row_mask:0xf bank_mask:0xf bound_ctrl:1
	v_add_f32_e32 v13, v17, v18
	v_cvt_f32_i32_dpp v17, v12 row_shl:4 row_mask:0xf bank_mask:0xf bound_ctrl:1
	v_cvt_i32_f32_e32 v10, v9
	v_cvt_f32_i32_dpp v15, v19 row_bcast:15 row_mask:0xf bank_mask:0xf bound_ctrl:1
	v_add_f32_e32 v0, v0, v1
	v_add_f32_e32 v4, v4, v6
	;; [unrolled: 1-line block ×6, first 2 shown]
	v_cvt_f32_i32_dpp v10, v10 row_shl:4 row_mask:0xf bank_mask:0xf bound_ctrl:1
	v_cvt_i32_f32_e32 v5, v4
	v_cvt_i32_f32_e32 v1, v0
	v_add_f32_e32 v12, v16, v15
	v_cvt_i32_f32_e32 v16, v14
	v_add_f32_e32 v9, v9, v10
	v_cvt_f32_i32_dpp v3, v5 row_shl:4 row_mask:0xf bank_mask:0xf bound_ctrl:1
	v_cvt_f32_i32_dpp v1, v1 row_shl:4 row_mask:0xf bank_mask:0xf bound_ctrl:1
	;; [unrolled: 1-line block ×3, first 2 shown]
	v_cvt_i32_f32_e32 v10, v9
	v_add_f32_e32 v3, v4, v3
	v_add_f32_e32 v0, v0, v1
	v_add_f32_e32 v14, v14, v16
	v_cvt_f32_i32_dpp v2, v10 row_shl:8 row_mask:0xf bank_mask:0xf bound_ctrl:1
	v_cvt_i32_f32_e32 v4, v3
	v_cvt_i32_f32_e32 v1, v0
	;; [unrolled: 1-line block ×3, first 2 shown]
	v_add_f32_e32 v2, v9, v2
	v_cvt_f32_i32_dpp v4, v4 row_shl:8 row_mask:0xf bank_mask:0xf bound_ctrl:1
	v_cvt_f32_i32_dpp v1, v1 row_shl:8 row_mask:0xf bank_mask:0xf bound_ctrl:1
	v_cvt_f32_i32_dpp v5, v14 row_shr:15 row_mask:0xf bank_mask:0xf bound_ctrl:1
	v_cvt_i32_f32_e32 v2, v2
	v_add_f32_e32 v3, v3, v4
	v_add_f32_e32 v0, v0, v1
	v_cvt_i32_f32_e32 v6, v5
	v_cvt_f32_i32_dpp v2, v2 row_shr:15 row_mask:0xf bank_mask:0xf bound_ctrl:1
	v_cvt_i32_f32_e32 v3, v3
	v_cvt_i32_f32_e32 v0, v0
	v_cvt_f32_i32_dpp v1, v6 row_bcast:15 row_mask:0xf bank_mask:0xf bound_ctrl:1
	v_cvt_i32_f32_e32 v4, v2
	v_cvt_f32_i32_dpp v3, v3 row_shr:15 row_mask:0xf bank_mask:0xf bound_ctrl:1
	v_cvt_f32_i32_dpp v0, v0 row_shr:15 row_mask:0xf bank_mask:0xf bound_ctrl:1
	v_add_f32_e32 v9, v5, v1
	v_cvt_f32_i32_dpp v4, v4 row_bcast:15 row_mask:0xf bank_mask:0xf bound_ctrl:1
	v_cvt_i32_f32_e32 v1, v3
	v_cvt_i32_f32_e32 v6, v0
	v_cvt_i32_f32_e32 v18, v13
	v_add_f32_e32 v5, v2, v4
	v_cvt_f32_i32_dpp v1, v1 row_bcast:15 row_mask:0xf bank_mask:0xf bound_ctrl:1
	v_cvt_f32_i32_dpp v4, v6 row_bcast:15 row_mask:0xf bank_mask:0xf bound_ctrl:1
	v_cvt_i32_f32_e32 v15, v12
	v_cvt_i32_f32_e32 v7, v9
	v_add_f32_e32 v2, v3, v1
	v_add_f32_e32 v0, v0, v4
	v_cvt_i32_f32_e32 v6, v5
	v_cvt_i32_f32_e32 v1, v2
	;; [unrolled: 1-line block ×3, first 2 shown]
	v_mov_b32_dpp v11, v18 row_bcast:31 row_mask:0xf bank_mask:0xf bound_ctrl:1
	v_mov_b32_dpp v8, v15 row_bcast:31 row_mask:0xf bank_mask:0xf bound_ctrl:1
	;; [unrolled: 1-line block ×6, first 2 shown]
	s_and_saveexec_b64 s[34:35], s[0:1]
	s_cbranch_execz .LBB238_71
; %bb.33:                               ;   in Loop: Header=BB238_12 Depth=1
	s_andn2_b64 vcc, exec, s[26:27]
	v_mov_b32_e32 v17, 0
	v_mov_b32_e32 v16, 0
	v_mov_b32_e32 v15, 0
	v_mov_b32_e32 v14, 0
	v_mov_b32_e32 v7, 0
	v_mov_b32_e32 v4, 0
	s_cbranch_vccnz .LBB238_35
; %bb.34:                               ;   in Loop: Header=BB238_12 Depth=1
	v_mul_hi_u32 v4, v66, v75
	v_mul_lo_u32 v4, v4, s12
	v_sub_u32_e32 v4, v66, v4
	v_subrev_u32_e32 v7, s12, v4
	v_cmp_le_u32_e32 vcc, s12, v4
	v_mov_b32_e32 v17, v69
	v_mov_b32_e32 v15, v69
	v_cndmask_b32_e32 v4, v4, v7, vcc
	v_subrev_u32_e32 v7, s12, v4
	v_cmp_le_u32_e32 vcc, s12, v4
	s_nop 1
	v_cndmask_b32_e32 v68, v4, v7, vcc
	v_add_u32_e32 v4, 1, v66
	v_mul_hi_u32 v7, v4, v75
	v_mul_lo_u32 v7, v7, s12
	v_sub_u32_e32 v4, v4, v7
	v_subrev_u32_e32 v7, s12, v4
	v_cmp_le_u32_e32 vcc, s12, v4
	v_lshl_add_u64 v[18:19], v[68:69], 1, s[18:19]
	v_add_u32_e32 v16, s45, v68
	v_cndmask_b32_e32 v4, v4, v7, vcc
	v_subrev_u32_e32 v7, s12, v4
	v_cmp_le_u32_e32 vcc, s12, v4
	v_add_u32_e32 v68, s46, v68
	v_lshl_add_u64 v[22:23], v[16:17], 1, s[18:19]
	v_cndmask_b32_e32 v14, v4, v7, vcc
	v_add_u32_e32 v16, s45, v14
	v_lshl_add_u64 v[26:27], v[68:69], 1, s[18:19]
	v_add_u32_e32 v68, s46, v14
	v_lshl_add_u64 v[20:21], v[14:15], 1, s[18:19]
	v_lshl_add_u64 v[24:25], v[16:17], 1, s[18:19]
	;; [unrolled: 1-line block ×3, first 2 shown]
	global_load_ushort v17, v[18:19], off
	global_load_ushort v16, v[20:21], off
	global_load_ushort v15, v[22:23], off
	global_load_ushort v14, v[24:25], off
	global_load_ushort v7, v[26:27], off
	global_load_ushort v4, v[28:29], off
.LBB238_35:                             ;   in Loop: Header=BB238_12 Depth=1
	v_cmp_ne_u32_e32 vcc, 0, v64
	s_and_saveexec_b64 s[8:9], vcc
	s_cbranch_execnz .LBB238_41
; %bb.36:                               ;   in Loop: Header=BB238_12 Depth=1
	s_or_b64 exec, exec, s[8:9]
	v_cmp_ne_u32_e64 s[6:7], 0, v65
	s_and_saveexec_b64 s[36:37], s[6:7]
	s_cbranch_execnz .LBB238_46
.LBB238_37:                             ;   in Loop: Header=BB238_12 Depth=1
	s_or_b64 exec, exec, s[36:37]
	v_add_u32_e32 v68, s23, v66
	s_and_saveexec_b64 s[36:37], vcc
	s_cbranch_execnz .LBB238_51
.LBB238_38:                             ;   in Loop: Header=BB238_12 Depth=1
	s_or_b64 exec, exec, s[36:37]
	s_and_saveexec_b64 s[36:37], s[6:7]
	s_cbranch_execnz .LBB238_56
.LBB238_39:                             ;   in Loop: Header=BB238_12 Depth=1
	s_or_b64 exec, exec, s[36:37]
	v_add_u32_e32 v68, s23, v68
	s_and_saveexec_b64 s[8:9], vcc
	s_cbranch_execnz .LBB238_61
.LBB238_40:                             ;   in Loop: Header=BB238_12 Depth=1
	s_or_b64 exec, exec, s[8:9]
	s_and_b64 exec, exec, s[6:7]
	s_cbranch_execnz .LBB238_66
	s_branch .LBB238_71
.LBB238_41:                             ;   in Loop: Header=BB238_12 Depth=1
	v_cvt_f32_i32_e32 v11, v11
	v_add_f32_e32 v11, v13, v11
	s_waitcnt vmcnt(5)
	v_lshlrev_b32_e32 v13, 16, v17
	v_add_f32_e32 v13, v11, v13
	v_and_b32_e32 v11, 0x7f800000, v13
	v_cmp_ne_u32_e64 s[6:7], s50, v11
                                        ; implicit-def: $vgpr11
	s_and_saveexec_b64 s[36:37], s[6:7]
	s_xor_b64 s[6:7], exec, s[36:37]
; %bb.42:                               ;   in Loop: Header=BB238_12 Depth=1
	v_bfe_u32 v11, v13, 16, 1
	v_add3_u32 v11, v13, v11, s51
                                        ; implicit-def: $vgpr13
; %bb.43:                               ;   in Loop: Header=BB238_12 Depth=1
	s_andn2_saveexec_b64 s[36:37], s[6:7]
; %bb.44:                               ;   in Loop: Header=BB238_12 Depth=1
	v_or_b32_e32 v11, 0x10000, v13
	v_cmp_eq_u32_sdwa s[6:7], v13, v69 src0_sel:WORD_0 src1_sel:DWORD
	s_nop 1
	v_cndmask_b32_e64 v11, v11, v13, s[6:7]
; %bb.45:                               ;   in Loop: Header=BB238_12 Depth=1
	s_or_b64 exec, exec, s[36:37]
	v_mov_b32_e32 v67, v69
	v_lshl_add_u64 v[18:19], v[66:67], 1, s[10:11]
	global_store_short_d16_hi v[18:19], v11, off
	s_or_b64 exec, exec, s[8:9]
	v_cmp_ne_u32_e64 s[6:7], 0, v65
	s_and_saveexec_b64 s[36:37], s[6:7]
	s_cbranch_execz .LBB238_37
.LBB238_46:                             ;   in Loop: Header=BB238_12 Depth=1
	v_cvt_f32_i32_e32 v8, v8
	s_waitcnt vmcnt(4)
	v_lshlrev_b32_e32 v11, 16, v16
	v_add_f32_e32 v8, v12, v8
	v_add_f32_e32 v11, v8, v11
	v_and_b32_e32 v8, 0x7f800000, v11
	v_cmp_ne_u32_e64 s[8:9], s50, v8
                                        ; implicit-def: $vgpr8
	s_and_saveexec_b64 s[38:39], s[8:9]
	s_xor_b64 s[8:9], exec, s[38:39]
; %bb.47:                               ;   in Loop: Header=BB238_12 Depth=1
	v_bfe_u32 v8, v11, 16, 1
	v_add3_u32 v8, v11, v8, s51
                                        ; implicit-def: $vgpr11
; %bb.48:                               ;   in Loop: Header=BB238_12 Depth=1
	s_andn2_saveexec_b64 s[38:39], s[8:9]
; %bb.49:                               ;   in Loop: Header=BB238_12 Depth=1
	v_or_b32_e32 v8, 0x10000, v11
	v_cmp_eq_u32_sdwa s[8:9], v11, v69 src0_sel:WORD_0 src1_sel:DWORD
	s_nop 1
	v_cndmask_b32_e64 v8, v8, v11, s[8:9]
; %bb.50:                               ;   in Loop: Header=BB238_12 Depth=1
	s_or_b64 exec, exec, s[38:39]
	v_mov_b32_e32 v67, v69
	v_lshl_add_u64 v[12:13], v[66:67], 1, s[28:29]
	global_store_short_d16_hi v[12:13], v8, off
	s_or_b64 exec, exec, s[36:37]
	v_add_u32_e32 v68, s23, v66
	s_and_saveexec_b64 s[36:37], vcc
	s_cbranch_execz .LBB238_38
.LBB238_51:                             ;   in Loop: Header=BB238_12 Depth=1
	v_cvt_f32_i32_e32 v8, v10
	v_add_f32_e32 v8, v9, v8
	s_waitcnt vmcnt(3)
	v_lshlrev_b32_e32 v9, 16, v15
	v_add_f32_e32 v9, v8, v9
	v_and_b32_e32 v8, 0x7f800000, v9
	v_cmp_ne_u32_e64 s[8:9], s50, v8
                                        ; implicit-def: $vgpr8
	s_and_saveexec_b64 s[38:39], s[8:9]
	s_xor_b64 s[8:9], exec, s[38:39]
; %bb.52:                               ;   in Loop: Header=BB238_12 Depth=1
	v_bfe_u32 v8, v9, 16, 1
	v_add3_u32 v8, v9, v8, s51
                                        ; implicit-def: $vgpr9
; %bb.53:                               ;   in Loop: Header=BB238_12 Depth=1
	s_andn2_saveexec_b64 s[38:39], s[8:9]
; %bb.54:                               ;   in Loop: Header=BB238_12 Depth=1
	v_or_b32_e32 v8, 0x10000, v9
	v_cmp_eq_u32_sdwa s[8:9], v9, v69 src0_sel:WORD_0 src1_sel:DWORD
	s_nop 1
	v_cndmask_b32_e64 v8, v8, v9, s[8:9]
; %bb.55:                               ;   in Loop: Header=BB238_12 Depth=1
	s_or_b64 exec, exec, s[38:39]
	v_lshl_add_u64 v[10:11], v[68:69], 1, s[10:11]
	global_store_short_d16_hi v[10:11], v8, off
	s_or_b64 exec, exec, s[36:37]
	s_and_saveexec_b64 s[36:37], s[6:7]
	s_cbranch_execz .LBB238_39
.LBB238_56:                             ;   in Loop: Header=BB238_12 Depth=1
	v_cvt_f32_i32_e32 v6, v6
	v_add_f32_e32 v5, v5, v6
	s_waitcnt vmcnt(2)
	v_lshlrev_b32_e32 v6, 16, v14
	v_add_f32_e32 v6, v5, v6
	v_and_b32_e32 v5, 0x7f800000, v6
	v_cmp_ne_u32_e64 s[8:9], s50, v5
                                        ; implicit-def: $vgpr5
	s_and_saveexec_b64 s[38:39], s[8:9]
	s_xor_b64 s[8:9], exec, s[38:39]
; %bb.57:                               ;   in Loop: Header=BB238_12 Depth=1
	v_bfe_u32 v5, v6, 16, 1
	v_add3_u32 v5, v6, v5, s51
                                        ; implicit-def: $vgpr6
; %bb.58:                               ;   in Loop: Header=BB238_12 Depth=1
	s_andn2_saveexec_b64 s[38:39], s[8:9]
; %bb.59:                               ;   in Loop: Header=BB238_12 Depth=1
	v_or_b32_e32 v5, 0x10000, v6
	v_cmp_eq_u32_sdwa s[8:9], v6, v69 src0_sel:WORD_0 src1_sel:DWORD
	s_nop 1
	v_cndmask_b32_e64 v5, v5, v6, s[8:9]
; %bb.60:                               ;   in Loop: Header=BB238_12 Depth=1
	s_or_b64 exec, exec, s[38:39]
	v_add_u32_e32 v8, 1, v68
	v_mov_b32_e32 v9, v69
	v_lshl_add_u64 v[8:9], v[8:9], 1, s[10:11]
	global_store_short_d16_hi v[8:9], v5, off
	s_or_b64 exec, exec, s[36:37]
	v_add_u32_e32 v68, s23, v68
	s_and_saveexec_b64 s[8:9], vcc
	s_cbranch_execz .LBB238_40
.LBB238_61:                             ;   in Loop: Header=BB238_12 Depth=1
	v_cvt_f32_i32_e32 v3, v3
	v_add_f32_e32 v2, v2, v3
	s_waitcnt vmcnt(1)
	v_lshlrev_b32_e32 v3, 16, v7
	v_add_f32_e32 v3, v2, v3
	v_and_b32_e32 v2, 0x7f800000, v3
	v_cmp_ne_u32_e32 vcc, s50, v2
                                        ; implicit-def: $vgpr2
	s_and_saveexec_b64 s[36:37], vcc
	s_xor_b64 s[36:37], exec, s[36:37]
; %bb.62:                               ;   in Loop: Header=BB238_12 Depth=1
	v_bfe_u32 v2, v3, 16, 1
	v_add3_u32 v2, v3, v2, s51
                                        ; implicit-def: $vgpr3
; %bb.63:                               ;   in Loop: Header=BB238_12 Depth=1
	s_andn2_saveexec_b64 s[36:37], s[36:37]
; %bb.64:                               ;   in Loop: Header=BB238_12 Depth=1
	v_or_b32_e32 v2, 0x10000, v3
	v_cmp_eq_u32_sdwa vcc, v3, v69 src0_sel:WORD_0 src1_sel:DWORD
	s_nop 1
	v_cndmask_b32_e32 v2, v2, v3, vcc
; %bb.65:                               ;   in Loop: Header=BB238_12 Depth=1
	s_or_b64 exec, exec, s[36:37]
	v_lshl_add_u64 v[6:7], v[68:69], 1, s[10:11]
	global_store_short_d16_hi v[6:7], v2, off
	s_or_b64 exec, exec, s[8:9]
	s_and_b64 exec, exec, s[6:7]
	s_cbranch_execz .LBB238_71
.LBB238_66:                             ;   in Loop: Header=BB238_12 Depth=1
	v_cvt_f32_i32_e32 v1, v1
	v_add_f32_e32 v0, v0, v1
	s_waitcnt vmcnt(0)
	v_lshlrev_b32_e32 v1, 16, v4
	v_add_f32_e32 v1, v0, v1
	v_and_b32_e32 v0, 0x7f800000, v1
	v_cmp_ne_u32_e32 vcc, s50, v0
                                        ; implicit-def: $vgpr0
	s_and_saveexec_b64 s[6:7], vcc
	s_xor_b64 s[6:7], exec, s[6:7]
; %bb.67:                               ;   in Loop: Header=BB238_12 Depth=1
	v_bfe_u32 v0, v1, 16, 1
	v_add3_u32 v0, v1, v0, s51
                                        ; implicit-def: $vgpr1
; %bb.68:                               ;   in Loop: Header=BB238_12 Depth=1
	s_andn2_saveexec_b64 s[6:7], s[6:7]
; %bb.69:                               ;   in Loop: Header=BB238_12 Depth=1
	v_or_b32_e32 v0, 0x10000, v1
	v_cmp_eq_u32_sdwa vcc, v1, v69 src0_sel:WORD_0 src1_sel:DWORD
	s_nop 1
	v_cndmask_b32_e32 v0, v0, v1, vcc
; %bb.70:                               ;   in Loop: Header=BB238_12 Depth=1
	s_or_b64 exec, exec, s[6:7]
	v_add_u32_e32 v68, 1, v68
	v_lshl_add_u64 v[2:3], v[68:69], 1, s[10:11]
	global_store_short_d16_hi v[2:3], v0, off
.LBB238_71:                             ;   in Loop: Header=BB238_12 Depth=1
	s_or_b64 exec, exec, s[34:35]
	v_add_u32_e32 v66, s44, v66
	v_add_u32_e32 v0, 2, v66
	v_cmp_gt_u32_e32 vcc, s23, v66
	v_cmp_le_u32_e64 s[6:7], s23, v0
	s_and_b64 s[6:7], vcc, s[6:7]
	s_and_saveexec_b64 s[8:9], s[6:7]
	s_cbranch_execz .LBB238_10
; %bb.72:                               ;   in Loop: Header=BB238_12 Depth=1
	v_cmp_ne_u32_e32 vcc, s13, v66
	s_and_saveexec_b64 s[34:35], vcc
	s_cbranch_execz .LBB238_9
; %bb.73:                               ;   in Loop: Header=BB238_12 Depth=1
	v_subrev_u32_e32 v0, s13, v66
	v_cmp_lt_u32_e32 vcc, 1, v0
	s_mov_b64 s[36:37], 0
	s_mov_b64 s[38:39], 0
	v_cndmask_b32_e32 v0, 1, v0, vcc
.LBB238_74:                             ;   Parent Loop BB238_12 Depth=1
                                        ; =>  This Inner Loop Header: Depth=2
	s_cmp_lg_u32 s38, 1
	s_cselect_b64 vcc, -1, 0
	s_cmp_lg_u32 s38, 0
	v_cndmask_b32_e32 v65, 0, v65, vcc
	s_cselect_b64 vcc, -1, 0
	s_add_u32 s38, s38, 1
	s_addc_u32 s39, s39, 0
	v_cmp_eq_u32_e64 s[6:7], s38, v0
	s_or_b64 s[36:37], s[6:7], s[36:37]
	v_cndmask_b32_e32 v64, 0, v64, vcc
	s_andn2_b64 exec, exec, s[36:37]
	s_cbranch_execnz .LBB238_74
; %bb.75:                               ;   in Loop: Header=BB238_12 Depth=1
	s_or_b64 exec, exec, s[36:37]
	s_branch .LBB238_9
.LBB238_76:
	s_endpgm
	.section	.rodata,"a",@progbits
	.p2align	6, 0x0
	.amdhsa_kernel _Z16wvSplitK_hf_big_I14__hip_bfloat16Li64ELi2ELi16ELi8ELi2ELi3EEviiiiiiPKT_S3_S3_PS1_ii
		.amdhsa_group_segment_fixed_size 65536
		.amdhsa_private_segment_fixed_size 0
		.amdhsa_kernarg_size 64
		.amdhsa_user_sgpr_count 2
		.amdhsa_user_sgpr_dispatch_ptr 0
		.amdhsa_user_sgpr_queue_ptr 0
		.amdhsa_user_sgpr_kernarg_segment_ptr 1
		.amdhsa_user_sgpr_dispatch_id 0
		.amdhsa_user_sgpr_kernarg_preload_length 0
		.amdhsa_user_sgpr_kernarg_preload_offset 0
		.amdhsa_user_sgpr_private_segment_size 0
		.amdhsa_uses_dynamic_stack 0
		.amdhsa_enable_private_segment 0
		.amdhsa_system_sgpr_workgroup_id_x 1
		.amdhsa_system_sgpr_workgroup_id_y 0
		.amdhsa_system_sgpr_workgroup_id_z 0
		.amdhsa_system_sgpr_workgroup_info 0
		.amdhsa_system_vgpr_workitem_id 1
		.amdhsa_next_free_vgpr 82
		.amdhsa_next_free_sgpr 54
		.amdhsa_accum_offset 84
		.amdhsa_reserve_vcc 1
		.amdhsa_float_round_mode_32 0
		.amdhsa_float_round_mode_16_64 0
		.amdhsa_float_denorm_mode_32 3
		.amdhsa_float_denorm_mode_16_64 3
		.amdhsa_dx10_clamp 1
		.amdhsa_ieee_mode 1
		.amdhsa_fp16_overflow 0
		.amdhsa_tg_split 0
		.amdhsa_exception_fp_ieee_invalid_op 0
		.amdhsa_exception_fp_denorm_src 0
		.amdhsa_exception_fp_ieee_div_zero 0
		.amdhsa_exception_fp_ieee_overflow 0
		.amdhsa_exception_fp_ieee_underflow 0
		.amdhsa_exception_fp_ieee_inexact 0
		.amdhsa_exception_int_div_zero 0
	.end_amdhsa_kernel
	.section	.text._Z16wvSplitK_hf_big_I14__hip_bfloat16Li64ELi2ELi16ELi8ELi2ELi3EEviiiiiiPKT_S3_S3_PS1_ii,"axG",@progbits,_Z16wvSplitK_hf_big_I14__hip_bfloat16Li64ELi2ELi16ELi8ELi2ELi3EEviiiiiiPKT_S3_S3_PS1_ii,comdat
.Lfunc_end238:
	.size	_Z16wvSplitK_hf_big_I14__hip_bfloat16Li64ELi2ELi16ELi8ELi2ELi3EEviiiiiiPKT_S3_S3_PS1_ii, .Lfunc_end238-_Z16wvSplitK_hf_big_I14__hip_bfloat16Li64ELi2ELi16ELi8ELi2ELi3EEviiiiiiPKT_S3_S3_PS1_ii
                                        ; -- End function
	.section	.AMDGPU.csdata,"",@progbits
; Kernel info:
; codeLenInByte = 3872
; NumSgprs: 60
; NumVgprs: 82
; NumAgprs: 0
; TotalNumVgprs: 82
; ScratchSize: 0
; MemoryBound: 0
; FloatMode: 240
; IeeeMode: 1
; LDSByteSize: 65536 bytes/workgroup (compile time only)
; SGPRBlocks: 7
; VGPRBlocks: 10
; NumSGPRsForWavesPerEU: 60
; NumVGPRsForWavesPerEU: 82
; AccumOffset: 84
; Occupancy: 4
; WaveLimiterHint : 0
; COMPUTE_PGM_RSRC2:SCRATCH_EN: 0
; COMPUTE_PGM_RSRC2:USER_SGPR: 2
; COMPUTE_PGM_RSRC2:TRAP_HANDLER: 0
; COMPUTE_PGM_RSRC2:TGID_X_EN: 1
; COMPUTE_PGM_RSRC2:TGID_Y_EN: 0
; COMPUTE_PGM_RSRC2:TGID_Z_EN: 0
; COMPUTE_PGM_RSRC2:TIDIG_COMP_CNT: 1
; COMPUTE_PGM_RSRC3_GFX90A:ACCUM_OFFSET: 20
; COMPUTE_PGM_RSRC3_GFX90A:TG_SPLIT: 0
	.section	.text._Z16wvSplitK_hf_sml_I14__hip_bfloat16Li64ELi3ELi16ELi8ELi2ELi3EEviiiiiiPKT_S3_S3_PS1_ii,"axG",@progbits,_Z16wvSplitK_hf_sml_I14__hip_bfloat16Li64ELi3ELi16ELi8ELi2ELi3EEviiiiiiPKT_S3_S3_PS1_ii,comdat
	.protected	_Z16wvSplitK_hf_sml_I14__hip_bfloat16Li64ELi3ELi16ELi8ELi2ELi3EEviiiiiiPKT_S3_S3_PS1_ii ; -- Begin function _Z16wvSplitK_hf_sml_I14__hip_bfloat16Li64ELi3ELi16ELi8ELi2ELi3EEviiiiiiPKT_S3_S3_PS1_ii
	.globl	_Z16wvSplitK_hf_sml_I14__hip_bfloat16Li64ELi3ELi16ELi8ELi2ELi3EEviiiiiiPKT_S3_S3_PS1_ii
	.p2align	8
	.type	_Z16wvSplitK_hf_sml_I14__hip_bfloat16Li64ELi3ELi16ELi8ELi2ELi3EEviiiiiiPKT_S3_S3_PS1_ii,@function
_Z16wvSplitK_hf_sml_I14__hip_bfloat16Li64ELi3ELi16ELi8ELi2ELi3EEviiiiiiPKT_S3_S3_PS1_ii: ; @_Z16wvSplitK_hf_sml_I14__hip_bfloat16Li64ELi3ELi16ELi8ELi2ELi3EEviiiiiiPKT_S3_S3_PS1_ii
; %bb.0:
	s_load_dwordx4 s[4:7], s[0:1], 0x0
	s_load_dwordx2 s[8:9], s[0:1], 0x10
	s_load_dwordx2 s[10:11], s[0:1], 0x28
	v_and_b32_e32 v2, 0x3ff, v0
	v_bfe_u32 v3, v0, 10, 10
	v_lshlrev_b32_e32 v96, 3, v2
	s_waitcnt lgkmcnt(0)
	s_mul_i32 s3, s6, 3
	v_lshl_add_u32 v4, v3, 9, v96
	s_min_u32 s3, s3, 0x8000
	v_cmp_gt_u32_e32 vcc, s3, v4
	s_and_saveexec_b64 s[12:13], vcc
	s_cbranch_execz .LBB239_3
; %bb.1:
	s_load_dwordx2 s[14:15], s[0:1], 0x20
	v_mov_b32_e32 v7, 0
	v_lshlrev_b32_e32 v6, 10, v3
	v_lshlrev_b32_e32 v8, 4, v2
	v_mov_b32_e32 v9, v7
	v_lshl_add_u64 v[0:1], v[6:7], 0, v[8:9]
	s_waitcnt lgkmcnt(0)
	v_lshl_add_u64 v[0:1], s[14:15], 0, v[0:1]
	v_add_u32_e32 v5, v6, v8
	s_mov_b64 s[14:15], 0
	s_mov_b64 s[16:17], 0x4000
.LBB239_2:                              ; =>This Inner Loop Header: Depth=1
	global_load_dwordx4 v[6:9], v[0:1], off
	v_add_u32_e32 v4, 0x2000, v4
	v_cmp_le_u32_e32 vcc, s3, v4
	v_lshl_add_u64 v[0:1], v[0:1], 0, s[16:17]
	s_or_b64 s[14:15], vcc, s[14:15]
	s_waitcnt vmcnt(0)
	ds_write_b128 v5, v[6:9]
	v_add_u32_e32 v5, 0x4000, v5
	s_andn2_b64 exec, exec, s[14:15]
	s_cbranch_execnz .LBB239_2
.LBB239_3:
	s_or_b64 exec, exec, s[12:13]
	s_load_dwordx2 s[16:17], s[0:1], 0x38
	s_waitcnt lgkmcnt(0)
	s_barrier
	v_cmp_gt_u32_e32 vcc, s16, v3
	s_and_saveexec_b64 s[12:13], vcc
	s_cbranch_execz .LBB239_54
; %bb.4:
	s_mul_i32 s2, s2, s16
	v_add_u32_e32 v0, s2, v3
	v_lshl_add_u32 v76, v0, 1, v0
	v_cmp_gt_u32_e32 vcc, s7, v76
	s_and_b64 exec, exec, vcc
	s_cbranch_execz .LBB239_54
; %bb.5:
	s_cmp_lg_u32 s4, 0
	s_cselect_b64 s[2:3], -1, 0
	s_add_i32 s24, s4, -8
	s_add_i32 s25, s7, -1
	s_cmp_lg_u64 s[10:11], 0
	s_cselect_b64 s[18:19], -1, 0
	s_abs_i32 s21, s9
	v_cvt_f32_u32_e32 v0, s8
	v_cvt_f32_u32_e32 v1, s21
	s_mul_i32 s20, s16, s17
	s_mul_i32 s9, s20, 3
	v_rcp_iflag_f32_e32 v0, v0
	v_rcp_iflag_f32_e32 v1, v1
	s_sub_i32 s20, 0, s8
	s_load_dwordx2 s[12:13], s[0:1], 0x18
	s_load_dwordx2 s[14:15], s[0:1], 0x30
	v_mul_f32_e32 v0, 0x4f7ffffe, v0
	v_mul_f32_e32 v1, 0x4f7ffffe, v1
	v_cvt_u32_f32_e32 v0, v0
	v_cvt_u32_f32_e32 v1, v1
	v_cmp_eq_u32_e64 s[0:1], 63, v2
	s_mov_b64 s[16:17], 0
	v_mul_lo_u32 v3, s20, v0
	s_sub_i32 s20, 0, s21
	v_readfirstlane_b32 s22, v1
	s_mul_i32 s20, s20, s22
	s_mul_hi_u32 s20, s22, s20
	s_add_i32 s22, s22, s20
	s_sub_i32 s20, 1, s21
	s_cmp_lt_u32 s21, 2
	s_cselect_b32 s20, s20, 1
	s_sub_i32 s23, s20, s21
	s_cmp_ge_u32 s20, s21
	s_cselect_b32 s26, s23, s20
	s_lshr_b32 s20, s22, 31
	s_mul_i32 s20, s20, s21
	s_sub_i32 s20, 2, s20
	s_sub_i32 s22, s20, s21
	s_cmp_ge_u32 s20, s21
	s_cselect_b32 s20, s22, s20
	s_sub_i32 s22, s20, s21
	v_mul_hi_u32 v3, v0, v3
	s_cmp_ge_u32 s20, s21
	v_add_u32_e32 v97, v0, v3
	s_cselect_b32 s27, s22, s20
	v_cndmask_b32_e64 v0, 0, 1, s[2:3]
	v_mov_b32_e32 v79, 0
	s_mul_i32 s26, s26, s8
	s_mul_i32 s27, s27, s8
	s_lshl_b32 s28, s6, 2
	v_lshlrev_b32_e32 v98, 4, v2
	s_lshl_b32 s6, s6, 1
	v_cmp_ne_u32_e64 s[2:3], 1, v0
	s_mov_b32 s29, 0x7f800000
	s_movk_i32 s30, 0x7fff
	s_branch .LBB239_8
.LBB239_6:                              ;   in Loop: Header=BB239_8 Depth=1
	s_or_b64 exec, exec, s[22:23]
	v_add_u32_e32 v78, 2, v78
	v_lshl_add_u64 v[2:3], v[78:79], 1, s[14:15]
	global_store_short_d16_hi v[2:3], v0, off
.LBB239_7:                              ;   in Loop: Header=BB239_8 Depth=1
	s_or_b64 exec, exec, s[20:21]
	v_add_u32_e32 v76, s9, v76
	v_cmp_le_u32_e32 vcc, s7, v76
	s_or_b64 s[16:17], vcc, s[16:17]
	s_andn2_b64 exec, exec, s[16:17]
	s_cbranch_execz .LBB239_54
.LBB239_8:                              ; =>This Loop Header: Depth=1
                                        ;     Child Loop BB239_12 Depth 2
	s_and_b64 vcc, exec, s[2:3]
	v_add_u32_e32 v80, 2, v76
	v_mov_b32_e32 v7, v79
	v_mov_b32_e32 v6, v79
	;; [unrolled: 1-line block ×36, first 2 shown]
	s_cbranch_vccnz .LBB239_15
; %bb.9:                                ;   in Loop: Header=BB239_8 Depth=1
	v_min_u32_e32 v0, s25, v76
	v_mul_lo_u32 v78, v0, s5
	v_add_u32_e32 v0, 1, v76
	v_min_u32_e32 v0, s25, v0
	v_min_u32_e32 v2, s25, v80
	v_mul_lo_u32 v0, v0, s5
	v_mov_b32_e32 v1, v79
	v_mul_lo_u32 v2, v2, s5
	v_mov_b32_e32 v3, v79
	v_mov_b32_e32 v24, 0
	s_mov_b32 s31, 0
	v_lshlrev_b64 v[82:83], 1, v[78:79]
	v_lshlrev_b64 v[84:85], 1, v[0:1]
	;; [unrolled: 1-line block ×3, first 2 shown]
	v_mov_b32_e32 v77, v98
	v_mov_b32_e32 v25, v24
	;; [unrolled: 1-line block ×36, first 2 shown]
	s_branch .LBB239_12
.LBB239_10:                             ;   in Loop: Header=BB239_12 Depth=2
	s_or_b64 exec, exec, s[22:23]
.LBB239_11:                             ;   in Loop: Header=BB239_12 Depth=2
	s_or_b64 exec, exec, s[20:21]
	s_waitcnt vmcnt(5) lgkmcnt(1)
	v_mfma_f32_4x4x4_16b_bf16 v[32:35], v[72:73], v[52:53], v[32:35]
	s_addk_i32 s31, 0x400
	s_waitcnt vmcnt(4)
	v_mfma_f32_4x4x4_16b_bf16 v[28:31], v[72:73], v[48:49], v[28:31]
	v_add_u32_e32 v77, 0x800, v77
	s_waitcnt vmcnt(3)
	v_mfma_f32_4x4x4_16b_bf16 v[24:27], v[72:73], v[56:57], v[24:27]
	s_cmp_ge_u32 s31, s4
	v_mfma_f32_4x4x4_16b_bf16 v[20:23], v[68:69], v[52:53], v[20:23]
	v_mfma_f32_4x4x4_16b_bf16 v[16:19], v[68:69], v[48:49], v[16:19]
	;; [unrolled: 1-line block ×12, first 2 shown]
	s_waitcnt lgkmcnt(0)
	v_mfma_f32_4x4x4_16b_bf16 v[8:11], v[92:93], v[54:55], v[8:11]
	v_mfma_f32_4x4x4_16b_bf16 v[0:3], v[92:93], v[50:51], v[0:3]
	;; [unrolled: 1-line block ×3, first 2 shown]
	s_waitcnt vmcnt(2)
	v_mfma_f32_4x4x4_16b_bf16 v[32:35], v[64:65], v[40:41], v[32:35]
	s_waitcnt vmcnt(1)
	v_mfma_f32_4x4x4_16b_bf16 v[28:31], v[64:65], v[44:45], v[28:31]
	s_waitcnt vmcnt(0)
	v_mfma_f32_4x4x4_16b_bf16 v[24:27], v[64:65], v[36:37], v[24:27]
	v_mfma_f32_4x4x4_16b_bf16 v[20:23], v[60:61], v[40:41], v[20:23]
	v_mfma_f32_4x4x4_16b_bf16 v[16:19], v[60:61], v[44:45], v[16:19]
	;; [unrolled: 1-line block ×15, first 2 shown]
	s_cbranch_scc1 .LBB239_15
.LBB239_12:                             ;   Parent Loop BB239_8 Depth=1
                                        ; =>  This Inner Loop Header: Depth=2
	v_add_u32_e32 v60, s31, v96
	v_min_u32_e32 v78, s24, v60
	s_waitcnt lgkmcnt(0)
	v_lshl_add_u64 v[36:37], v[78:79], 1, s[12:13]
	v_add_u32_e32 v81, 0x200, v60
	v_lshl_add_u64 v[38:39], v[36:37], 0, v[82:83]
	v_min_u32_e32 v78, s24, v81
	v_lshl_add_u64 v[40:41], v[36:37], 0, v[84:85]
	global_load_dwordx4 v[52:55], v[38:39], off nt
	global_load_dwordx4 v[48:51], v[40:41], off nt
	v_lshl_add_u64 v[38:39], v[78:79], 1, s[12:13]
	v_lshl_add_u64 v[36:37], v[36:37], 0, v[86:87]
	;; [unrolled: 1-line block ×3, first 2 shown]
	global_load_dwordx4 v[56:59], v[36:37], off nt
	s_nop 0
	global_load_dwordx4 v[40:43], v[40:41], off nt
	v_lshl_add_u64 v[36:37], v[38:39], 0, v[84:85]
	v_lshl_add_u64 v[38:39], v[38:39], 0, v[86:87]
	global_load_dwordx4 v[44:47], v[36:37], off nt
	s_nop 0
	global_load_dwordx4 v[36:39], v[38:39], off nt
	v_cmp_gt_u32_e32 vcc, s4, v60
	v_mov_b32_e32 v88, 0
	v_mov_b32_e32 v89, 0
	;; [unrolled: 1-line block ×24, first 2 shown]
	s_and_saveexec_b64 s[20:21], vcc
	s_cbranch_execz .LBB239_11
; %bb.13:                               ;   in Loop: Header=BB239_12 Depth=2
	v_add_u32_e32 v78, s6, v77
	v_add_u32_e32 v99, s28, v77
	ds_read_b128 v[68:71], v78
	ds_read2_b32 v[94:95], v99 offset1:1
	ds_read_b128 v[72:75], v77
	ds_read2_b32 v[92:93], v99 offset0:2 offset1:3
	v_cmp_gt_u32_e32 vcc, s4, v81
	v_mov_b32_e32 v65, 0
	v_mov_b32_e32 v64, 0
	;; [unrolled: 1-line block ×12, first 2 shown]
	s_and_saveexec_b64 s[22:23], vcc
	s_cbranch_execz .LBB239_10
; %bb.14:                               ;   in Loop: Header=BB239_12 Depth=2
	v_add_u32_e32 v64, 0x400, v99
	ds_read_b128 v[60:63], v78 offset:1024
	ds_read2_b32 v[90:91], v64 offset1:1
	v_add_u32_e32 v78, 0x408, v99
	ds_read_b128 v[64:67], v77 offset:1024
	ds_read2_b32 v[88:89], v78 offset1:1
	s_branch .LBB239_10
.LBB239_15:                             ;   in Loop: Header=BB239_8 Depth=1
	; sched_barrier mask(0x00000000)
	v_cvt_i32_f32_e32 v33, v33
	v_cvt_i32_f32_e32 v34, v34
	;; [unrolled: 1-line block ×4, first 2 shown]
	v_cvt_f32_i32_dpp v33, v33 row_shl:1 row_mask:0xf bank_mask:0xf bound_ctrl:1
	v_cvt_f32_i32_dpp v34, v34 row_shl:2 row_mask:0xf bank_mask:0xf bound_ctrl:1
	;; [unrolled: 1-line block ×3, first 2 shown]
	v_cvt_i32_f32_e32 v30, v30
	v_add_f32_e32 v32, v32, v33
	v_add_f32_e32 v32, v32, v34
	;; [unrolled: 1-line block ×3, first 2 shown]
	v_cvt_i32_f32_e32 v31, v31
	v_cvt_i32_f32_e32 v33, v32
	v_cvt_f32_i32_dpp v29, v29 row_shl:1 row_mask:0xf bank_mask:0xf bound_ctrl:1
	v_cvt_f32_i32_dpp v30, v30 row_shl:2 row_mask:0xf bank_mask:0xf bound_ctrl:1
	;; [unrolled: 1-line block ×4, first 2 shown]
	v_add_f32_e32 v28, v28, v29
	v_add_f32_e32 v28, v28, v30
	;; [unrolled: 1-line block ×4, first 2 shown]
	v_cvt_i32_f32_e32 v29, v28
	v_cvt_i32_f32_e32 v31, v30
	;; [unrolled: 1-line block ×4, first 2 shown]
	v_cvt_f32_i32_dpp v29, v29 row_shl:4 row_mask:0xf bank_mask:0xf bound_ctrl:1
	v_cvt_f32_i32_dpp v31, v31 row_shl:8 row_mask:0xf bank_mask:0xf bound_ctrl:1
	v_cvt_i32_f32_e32 v27, v27
	v_cvt_f32_i32_dpp v25, v25 row_shl:1 row_mask:0xf bank_mask:0xf bound_ctrl:1
	v_add_f32_e32 v28, v28, v29
	v_add_f32_e32 v30, v30, v31
	v_cvt_i32_f32_e32 v29, v28
	v_cvt_i32_f32_e32 v30, v30
	v_cvt_f32_i32_dpp v26, v26 row_shl:2 row_mask:0xf bank_mask:0xf bound_ctrl:1
	v_cvt_f32_i32_dpp v27, v27 row_shl:3 row_mask:0xf bank_mask:0xf bound_ctrl:1
	;; [unrolled: 1-line block ×3, first 2 shown]
	v_cvt_f32_i32_dpp v30, v30 row_shr:15 row_mask:0xf bank_mask:0xf bound_ctrl:1
	v_add_f32_e32 v24, v24, v25
	v_cvt_i32_f32_e32 v21, v21
	v_add_f32_e32 v24, v24, v26
	v_cvt_i32_f32_e32 v22, v22
	v_add_f32_e32 v28, v28, v29
	v_cvt_i32_f32_e32 v29, v30
	v_add_f32_e32 v25, v24, v27
	v_cvt_i32_f32_e32 v23, v23
	v_cvt_i32_f32_e32 v26, v25
	v_cvt_i32_f32_e32 v28, v28
	v_cvt_f32_i32_dpp v21, v21 row_shl:1 row_mask:0xf bank_mask:0xf bound_ctrl:1
	v_cvt_f32_i32_dpp v22, v22 row_shl:2 row_mask:0xf bank_mask:0xf bound_ctrl:1
	v_cvt_i32_f32_e32 v17, v17
	v_cvt_f32_i32_dpp v29, v29 row_bcast:15 row_mask:0xf bank_mask:0xf bound_ctrl:1
	v_cvt_f32_i32_dpp v23, v23 row_shl:3 row_mask:0xf bank_mask:0xf bound_ctrl:1
	v_cvt_i32_f32_e32 v18, v18
	v_cvt_f32_i32_dpp v26, v26 row_shl:4 row_mask:0xf bank_mask:0xf bound_ctrl:1
	v_cvt_i32_f32_e32 v19, v19
	v_cvt_f32_i32_dpp v28, v28 row_shr:15 row_mask:0xf bank_mask:0xf bound_ctrl:1
	v_add_f32_e32 v20, v20, v21
	v_add_f32_e32 v20, v20, v22
	v_cvt_f32_i32_dpp v17, v17 row_shl:1 row_mask:0xf bank_mask:0xf bound_ctrl:1
	v_add_f32_e32 v24, v30, v29
	v_add_f32_e32 v22, v20, v23
	v_cvt_f32_i32_dpp v18, v18 row_shl:2 row_mask:0xf bank_mask:0xf bound_ctrl:1
	v_cvt_i32_f32_e32 v27, v24
	v_add_f32_e32 v25, v25, v26
	v_cvt_i32_f32_e32 v20, v22
	v_cvt_f32_i32_dpp v19, v19 row_shl:3 row_mask:0xf bank_mask:0xf bound_ctrl:1
	v_cvt_i32_f32_e32 v29, v28
	v_cvt_i32_f32_e32 v26, v25
	v_add_f32_e32 v16, v16, v17
	v_add_f32_e32 v16, v16, v18
	v_mov_b32_dpp v21, v27 row_bcast:31 row_mask:0xf bank_mask:0xf bound_ctrl:1
	v_cvt_f32_i32_dpp v27, v20 row_shl:4 row_mask:0xf bank_mask:0xf bound_ctrl:1
	v_add_f32_e32 v16, v16, v19
	v_cvt_f32_i32_dpp v23, v29 row_bcast:15 row_mask:0xf bank_mask:0xf bound_ctrl:1
	v_cvt_f32_i32_dpp v26, v26 row_shl:8 row_mask:0xf bank_mask:0xf bound_ctrl:1
	v_cvt_i32_f32_e32 v17, v16
	v_add_f32_e32 v22, v22, v27
	v_add_f32_e32 v20, v28, v23
	;; [unrolled: 1-line block ×3, first 2 shown]
	v_cvt_i32_f32_e32 v25, v22
	v_cvt_f32_i32_dpp v17, v17 row_shl:4 row_mask:0xf bank_mask:0xf bound_ctrl:1
	v_cvt_i32_f32_e32 v23, v23
	v_cvt_i32_f32_e32 v1, v1
	v_cvt_f32_i32_dpp v25, v25 row_shl:8 row_mask:0xf bank_mask:0xf bound_ctrl:1
	v_add_f32_e32 v17, v16, v17
	v_cvt_i32_f32_e32 v16, v17
	v_cvt_f32_i32_dpp v19, v23 row_shr:15 row_mask:0xf bank_mask:0xf bound_ctrl:1
	v_add_f32_e32 v18, v22, v25
	v_cvt_i32_f32_e32 v18, v18
	v_cvt_f32_i32_dpp v26, v16 row_shl:8 row_mask:0xf bank_mask:0xf bound_ctrl:1
	v_cvt_i32_f32_e32 v13, v13
	v_cvt_i32_f32_e32 v2, v2
	;; [unrolled: 1-line block ×6, first 2 shown]
	v_cvt_f32_i32_dpp v25, v18 row_shr:15 row_mask:0xf bank_mask:0xf bound_ctrl:1
	v_add_f32_e32 v17, v17, v26
	v_cvt_f32_i32_dpp v1, v1 row_shl:1 row_mask:0xf bank_mask:0xf bound_ctrl:1
	v_cvt_i32_f32_e32 v17, v17
	v_cvt_f32_i32_dpp v13, v13 row_shl:1 row_mask:0xf bank_mask:0xf bound_ctrl:1
	v_cvt_i32_f32_e32 v9, v9
	;; [unrolled: 2-line block ×5, first 2 shown]
	v_cvt_f32_i32_dpp v23, v23 row_bcast:15 row_mask:0xf bank_mask:0xf bound_ctrl:1
	v_mov_b32_dpp v18, v22 row_bcast:31 row_mask:0xf bank_mask:0xf bound_ctrl:1
	v_cvt_i32_f32_e32 v22, v25
	v_add_f32_e32 v0, v0, v1
	v_cvt_f32_i32_dpp v17, v17 row_shr:15 row_mask:0xf bank_mask:0xf bound_ctrl:1
	v_add_f32_e32 v12, v12, v13
	v_cvt_f32_i32_dpp v9, v9 row_shl:1 row_mask:0xf bank_mask:0xf bound_ctrl:1
	v_add_f32_e32 v0, v0, v2
	v_cvt_f32_i32_dpp v1, v3 row_shl:3 row_mask:0xf bank_mask:0xf bound_ctrl:1
	v_cvt_i32_f32_e32 v2, v5
	v_add_f32_e32 v12, v12, v14
	v_cvt_f32_i32_dpp v10, v10 row_shl:2 row_mask:0xf bank_mask:0xf bound_ctrl:1
	v_cvt_i32_f32_e32 v3, v6
	;; [unrolled: 3-line block ×3, first 2 shown]
	v_add_f32_e32 v16, v19, v23
	v_cvt_f32_i32_dpp v22, v22 row_bcast:15 row_mask:0xf bank_mask:0xf bound_ctrl:1
	v_cvt_i32_f32_e32 v12, v15
	v_cvt_i32_f32_e32 v19, v16
	;; [unrolled: 1-line block ×3, first 2 shown]
	v_add_f32_e32 v8, v8, v9
	v_add_f32_e32 v0, v0, v1
	v_cvt_f32_i32_dpp v1, v2 row_shl:1 row_mask:0xf bank_mask:0xf bound_ctrl:1
	v_add_f32_e32 v8, v8, v10
	v_cvt_f32_i32_dpp v2, v3 row_shl:2 row_mask:0xf bank_mask:0xf bound_ctrl:1
	;; [unrolled: 2-line block ×4, first 2 shown]
	v_cvt_i32_f32_e32 v10, v9
	v_mov_b32_dpp v14, v19 row_bcast:31 row_mask:0xf bank_mask:0xf bound_ctrl:1
	v_cvt_f32_i32_dpp v19, v23 row_bcast:15 row_mask:0xf bank_mask:0xf bound_ctrl:1
	v_add_f32_e32 v1, v4, v1
	v_add_f32_e32 v1, v1, v2
	;; [unrolled: 1-line block ×4, first 2 shown]
	v_cvt_f32_i32_dpp v10, v10 row_shl:4 row_mask:0xf bank_mask:0xf bound_ctrl:1
	v_cvt_i32_f32_e32 v5, v0
	v_cvt_i32_f32_e32 v2, v1
	v_add_f32_e32 v12, v17, v19
	v_cvt_i32_f32_e32 v19, v15
	v_add_f32_e32 v9, v9, v10
	v_cvt_f32_i32_dpp v4, v5 row_shl:4 row_mask:0xf bank_mask:0xf bound_ctrl:1
	v_cvt_f32_i32_dpp v2, v2 row_shl:4 row_mask:0xf bank_mask:0xf bound_ctrl:1
	;; [unrolled: 1-line block ×3, first 2 shown]
	v_cvt_i32_f32_e32 v10, v9
	v_add_f32_e32 v0, v0, v4
	v_add_f32_e32 v1, v1, v2
	;; [unrolled: 1-line block ×3, first 2 shown]
	v_cvt_f32_i32_dpp v3, v10 row_shl:8 row_mask:0xf bank_mask:0xf bound_ctrl:1
	v_cvt_i32_f32_e32 v4, v0
	v_cvt_i32_f32_e32 v2, v1
	;; [unrolled: 1-line block ×3, first 2 shown]
	v_add_f32_e32 v3, v9, v3
	v_cvt_f32_i32_dpp v4, v4 row_shl:8 row_mask:0xf bank_mask:0xf bound_ctrl:1
	v_cvt_f32_i32_dpp v2, v2 row_shl:8 row_mask:0xf bank_mask:0xf bound_ctrl:1
	v_cvt_f32_i32_dpp v5, v15 row_shr:15 row_mask:0xf bank_mask:0xf bound_ctrl:1
	v_cvt_i32_f32_e32 v3, v3
	v_add_f32_e32 v0, v0, v4
	v_add_f32_e32 v1, v1, v2
	v_cvt_i32_f32_e32 v6, v5
	v_cvt_f32_i32_dpp v3, v3 row_shr:15 row_mask:0xf bank_mask:0xf bound_ctrl:1
	v_cvt_i32_f32_e32 v0, v0
	v_cvt_i32_f32_e32 v1, v1
	v_cvt_f32_i32_dpp v2, v6 row_bcast:15 row_mask:0xf bank_mask:0xf bound_ctrl:1
	v_cvt_i32_f32_e32 v4, v3
	v_cvt_f32_i32_dpp v0, v0 row_shr:15 row_mask:0xf bank_mask:0xf bound_ctrl:1
	v_cvt_f32_i32_dpp v1, v1 row_shr:15 row_mask:0xf bank_mask:0xf bound_ctrl:1
	v_add_f32_e32 v10, v5, v2
	v_cvt_f32_i32_dpp v4, v4 row_bcast:15 row_mask:0xf bank_mask:0xf bound_ctrl:1
	v_cvt_i32_f32_e32 v2, v0
	v_cvt_i32_f32_e32 v5, v1
	;; [unrolled: 1-line block ×3, first 2 shown]
	v_add_f32_e32 v6, v3, v4
	v_cvt_f32_i32_dpp v2, v2 row_bcast:15 row_mask:0xf bank_mask:0xf bound_ctrl:1
	v_cvt_f32_i32_dpp v3, v5 row_bcast:15 row_mask:0xf bank_mask:0xf bound_ctrl:1
	v_cvt_i32_f32_e32 v17, v12
	v_cvt_i32_f32_e32 v7, v10
	v_add_f32_e32 v4, v0, v2
	v_add_f32_e32 v2, v1, v3
	v_cvt_i32_f32_e32 v5, v6
	v_cvt_i32_f32_e32 v0, v4
	;; [unrolled: 1-line block ×3, first 2 shown]
	v_mov_b32_dpp v11, v23 row_bcast:31 row_mask:0xf bank_mask:0xf bound_ctrl:1
	v_mov_b32_dpp v8, v17 row_bcast:31 row_mask:0xf bank_mask:0xf bound_ctrl:1
	;; [unrolled: 1-line block ×6, first 2 shown]
	s_and_saveexec_b64 s[20:21], s[0:1]
	s_cbranch_execz .LBB239_7
; %bb.16:                               ;   in Loop: Header=BB239_8 Depth=1
	s_andn2_b64 vcc, exec, s[18:19]
	v_mov_b32_e32 v0, 0
	v_mov_b32_e32 v27, 0
	;; [unrolled: 1-line block ×9, first 2 shown]
	s_cbranch_vccnz .LBB239_18
; %bb.17:                               ;   in Loop: Header=BB239_8 Depth=1
	v_mul_hi_u32 v0, v76, v97
	v_mul_lo_u32 v0, v0, s8
	v_sub_u32_e32 v0, v76, v0
	v_subrev_u32_e32 v1, s8, v0
	v_cmp_le_u32_e32 vcc, s8, v0
	v_mov_b32_e32 v23, v79
	v_mov_b32_e32 v33, v79
	v_cndmask_b32_e32 v0, v0, v1, vcc
	v_subrev_u32_e32 v1, s8, v0
	v_cmp_le_u32_e32 vcc, s8, v0
	s_nop 1
	v_cndmask_b32_e32 v78, v0, v1, vcc
	v_add_u32_e32 v0, 1, v76
	v_mul_hi_u32 v1, v0, v97
	v_mul_lo_u32 v1, v1, s8
	v_sub_u32_e32 v0, v0, v1
	v_subrev_u32_e32 v1, s8, v0
	v_cmp_le_u32_e32 vcc, s8, v0
	v_add_u32_e32 v22, s26, v78
	v_lshl_add_u64 v[28:29], v[78:79], 1, s[10:11]
	v_cndmask_b32_e32 v0, v0, v1, vcc
	v_subrev_u32_e32 v1, s8, v0
	v_cmp_le_u32_e32 vcc, s8, v0
	v_lshl_add_u64 v[36:37], v[22:23], 1, s[10:11]
	v_add_u32_e32 v78, s27, v78
	v_cndmask_b32_e32 v0, v0, v1, vcc
	v_mov_b32_e32 v1, v79
	v_lshl_add_u64 v[30:31], v[0:1], 1, s[10:11]
	v_mul_hi_u32 v1, v80, v97
	v_mul_lo_u32 v1, v1, s8
	v_sub_u32_e32 v1, v80, v1
	v_subrev_u32_e32 v9, s8, v1
	v_cmp_le_u32_e32 vcc, s8, v1
	v_add_u32_e32 v22, s26, v0
	v_lshl_add_u64 v[38:39], v[22:23], 1, s[10:11]
	v_cndmask_b32_e32 v1, v1, v9, vcc
	v_subrev_u32_e32 v9, s8, v1
	v_cmp_le_u32_e32 vcc, s8, v1
	v_lshl_add_u64 v[42:43], v[78:79], 1, s[10:11]
	v_add_u32_e32 v78, s27, v0
	v_cndmask_b32_e32 v32, v1, v9, vcc
	v_add_u32_e32 v22, s26, v32
	v_lshl_add_u64 v[34:35], v[32:33], 1, s[10:11]
	v_lshl_add_u64 v[40:41], v[22:23], 1, s[10:11]
	;; [unrolled: 1-line block ×3, first 2 shown]
	global_load_ushort v0, v[28:29], off
	global_load_ushort v27, v[30:31], off
	;; [unrolled: 1-line block ×8, first 2 shown]
	v_add_u32_e32 v78, s27, v32
	v_lshl_add_u64 v[28:29], v[78:79], 1, s[10:11]
	global_load_ushort v9, v[28:29], off
.LBB239_18:                             ;   in Loop: Header=BB239_8 Depth=1
	v_cvt_f32_i32_e32 v1, v21
	s_waitcnt vmcnt(8)
	v_lshlrev_b32_e32 v0, 16, v0
                                        ; implicit-def: $vgpr21
	v_add_f32_e32 v1, v24, v1
	v_add_f32_e32 v0, v1, v0
	v_and_b32_e32 v1, 0x7f800000, v0
	v_cmp_ne_u32_e32 vcc, s29, v1
	s_and_saveexec_b64 s[22:23], vcc
	s_xor_b64 s[22:23], exec, s[22:23]
; %bb.19:                               ;   in Loop: Header=BB239_8 Depth=1
	v_bfe_u32 v1, v0, 16, 1
	v_add3_u32 v21, v0, v1, s30
                                        ; implicit-def: $vgpr0
; %bb.20:                               ;   in Loop: Header=BB239_8 Depth=1
	s_andn2_saveexec_b64 s[22:23], s[22:23]
; %bb.21:                               ;   in Loop: Header=BB239_8 Depth=1
	v_or_b32_e32 v1, 0x10000, v0
	v_cmp_eq_u32_sdwa vcc, v0, v79 src0_sel:WORD_0 src1_sel:DWORD
	s_nop 1
	v_cndmask_b32_e32 v21, v1, v0, vcc
; %bb.22:                               ;   in Loop: Header=BB239_8 Depth=1
	s_or_b64 exec, exec, s[22:23]
	v_cvt_f32_i32_e32 v18, v18
	v_mov_b32_e32 v77, v79
	s_waitcnt lgkmcnt(0)
	v_lshl_add_u64 v[0:1], v[76:77], 1, s[14:15]
	global_store_short_d16_hi v[0:1], v21, off
	v_add_f32_e32 v18, v20, v18
	s_waitcnt vmcnt(8)
	v_lshlrev_b32_e32 v20, 16, v27
	v_add_f32_e32 v18, v18, v20
	v_and_b32_e32 v20, 0x7f800000, v18
	v_cmp_ne_u32_e32 vcc, s29, v20
                                        ; implicit-def: $vgpr20
	s_and_saveexec_b64 s[22:23], vcc
	s_xor_b64 s[22:23], exec, s[22:23]
; %bb.23:                               ;   in Loop: Header=BB239_8 Depth=1
	v_bfe_u32 v20, v18, 16, 1
	v_add3_u32 v20, v18, v20, s30
                                        ; implicit-def: $vgpr18
; %bb.24:                               ;   in Loop: Header=BB239_8 Depth=1
	s_andn2_saveexec_b64 s[22:23], s[22:23]
; %bb.25:                               ;   in Loop: Header=BB239_8 Depth=1
	v_or_b32_e32 v20, 0x10000, v18
	v_cmp_eq_u32_sdwa vcc, v18, v79 src0_sel:WORD_0 src1_sel:DWORD
	s_nop 1
	v_cndmask_b32_e32 v20, v20, v18, vcc
; %bb.26:                               ;   in Loop: Header=BB239_8 Depth=1
	s_or_b64 exec, exec, s[22:23]
	v_cvt_f32_i32_e32 v14, v14
	global_store_short_d16_hi v[0:1], v20, off offset:2
	s_waitcnt vmcnt(8)
	v_lshlrev_b32_e32 v1, 16, v26
	v_add_f32_e32 v0, v16, v14
	v_add_f32_e32 v1, v0, v1
	v_and_b32_e32 v0, 0x7f800000, v1
	v_cmp_ne_u32_e32 vcc, s29, v0
                                        ; implicit-def: $vgpr0
	s_and_saveexec_b64 s[22:23], vcc
	s_xor_b64 s[22:23], exec, s[22:23]
; %bb.27:                               ;   in Loop: Header=BB239_8 Depth=1
	v_bfe_u32 v0, v1, 16, 1
	v_add3_u32 v0, v1, v0, s30
                                        ; implicit-def: $vgpr1
; %bb.28:                               ;   in Loop: Header=BB239_8 Depth=1
	s_andn2_saveexec_b64 s[22:23], s[22:23]
; %bb.29:                               ;   in Loop: Header=BB239_8 Depth=1
	v_or_b32_e32 v0, 0x10000, v1
	v_cmp_eq_u32_sdwa vcc, v1, v79 src0_sel:WORD_0 src1_sel:DWORD
	s_nop 1
	v_cndmask_b32_e32 v0, v0, v1, vcc
; %bb.30:                               ;   in Loop: Header=BB239_8 Depth=1
	s_or_b64 exec, exec, s[22:23]
	v_cvt_f32_i32_e32 v1, v11
	v_mov_b32_e32 v81, v79
	v_lshl_add_u64 v[20:21], v[80:81], 1, s[14:15]
	global_store_short_d16_hi v[20:21], v0, off
	v_add_f32_e32 v0, v13, v1
	s_waitcnt vmcnt(8)
	v_lshlrev_b32_e32 v1, 16, v25
	v_add_f32_e32 v1, v0, v1
	v_and_b32_e32 v0, 0x7f800000, v1
	v_cmp_ne_u32_e32 vcc, s29, v0
                                        ; implicit-def: $vgpr0
	s_and_saveexec_b64 s[22:23], vcc
	s_xor_b64 s[22:23], exec, s[22:23]
; %bb.31:                               ;   in Loop: Header=BB239_8 Depth=1
	v_bfe_u32 v0, v1, 16, 1
	v_add3_u32 v0, v1, v0, s30
                                        ; implicit-def: $vgpr1
; %bb.32:                               ;   in Loop: Header=BB239_8 Depth=1
	s_andn2_saveexec_b64 s[22:23], s[22:23]
; %bb.33:                               ;   in Loop: Header=BB239_8 Depth=1
	v_or_b32_e32 v0, 0x10000, v1
	v_cmp_eq_u32_sdwa vcc, v1, v79 src0_sel:WORD_0 src1_sel:DWORD
	s_nop 1
	v_cndmask_b32_e32 v0, v0, v1, vcc
; %bb.34:                               ;   in Loop: Header=BB239_8 Depth=1
	s_or_b64 exec, exec, s[22:23]
	v_cvt_f32_i32_e32 v1, v8
	v_add_u32_e32 v78, s7, v76
	v_lshl_add_u64 v[20:21], v[78:79], 1, s[14:15]
	global_store_short_d16_hi v[20:21], v0, off
	v_add_f32_e32 v0, v12, v1
	s_waitcnt vmcnt(8)
	v_lshlrev_b32_e32 v1, 16, v23
	v_add_f32_e32 v1, v0, v1
	v_and_b32_e32 v0, 0x7f800000, v1
	v_cmp_ne_u32_e32 vcc, s29, v0
                                        ; implicit-def: $vgpr0
	s_and_saveexec_b64 s[22:23], vcc
	s_xor_b64 s[22:23], exec, s[22:23]
; %bb.35:                               ;   in Loop: Header=BB239_8 Depth=1
	v_bfe_u32 v0, v1, 16, 1
	v_add3_u32 v0, v1, v0, s30
                                        ; implicit-def: $vgpr1
; %bb.36:                               ;   in Loop: Header=BB239_8 Depth=1
	s_andn2_saveexec_b64 s[22:23], s[22:23]
; %bb.37:                               ;   in Loop: Header=BB239_8 Depth=1
	v_or_b32_e32 v0, 0x10000, v1
	v_cmp_eq_u32_sdwa vcc, v1, v79 src0_sel:WORD_0 src1_sel:DWORD
	s_nop 1
	v_cndmask_b32_e32 v0, v0, v1, vcc
; %bb.38:                               ;   in Loop: Header=BB239_8 Depth=1
	s_or_b64 exec, exec, s[22:23]
	v_cvt_f32_i32_e32 v1, v15
	v_add_u32_e32 v12, 1, v78
	v_mov_b32_e32 v13, v79
	v_lshl_add_u64 v[12:13], v[12:13], 1, s[14:15]
	v_add_f32_e32 v1, v10, v1
	global_store_short_d16_hi v[12:13], v0, off
	s_waitcnt vmcnt(8)
	v_lshlrev_b32_e32 v0, 16, v22
	v_add_f32_e32 v1, v1, v0
	v_and_b32_e32 v0, 0x7f800000, v1
	v_cmp_ne_u32_e32 vcc, s29, v0
                                        ; implicit-def: $vgpr0
	s_and_saveexec_b64 s[22:23], vcc
	s_xor_b64 s[22:23], exec, s[22:23]
; %bb.39:                               ;   in Loop: Header=BB239_8 Depth=1
	v_bfe_u32 v0, v1, 16, 1
	v_add3_u32 v0, v1, v0, s30
                                        ; implicit-def: $vgpr1
; %bb.40:                               ;   in Loop: Header=BB239_8 Depth=1
	s_andn2_saveexec_b64 s[22:23], s[22:23]
; %bb.41:                               ;   in Loop: Header=BB239_8 Depth=1
	v_or_b32_e32 v0, 0x10000, v1
	v_cmp_eq_u32_sdwa vcc, v1, v79 src0_sel:WORD_0 src1_sel:DWORD
	s_nop 1
	v_cndmask_b32_e32 v0, v0, v1, vcc
; %bb.42:                               ;   in Loop: Header=BB239_8 Depth=1
	s_or_b64 exec, exec, s[22:23]
	v_cvt_f32_i32_e32 v1, v7
	v_add_u32_e32 v10, 2, v78
	v_mov_b32_e32 v11, v79
	v_lshl_add_u64 v[10:11], v[10:11], 1, s[14:15]
	v_add_f32_e32 v1, v6, v1
	global_store_short_d16_hi v[10:11], v0, off
	s_waitcnt vmcnt(8)
	v_lshlrev_b32_e32 v0, 16, v19
	v_add_f32_e32 v1, v1, v0
	v_and_b32_e32 v0, 0x7f800000, v1
	v_cmp_ne_u32_e32 vcc, s29, v0
                                        ; implicit-def: $vgpr0
	s_and_saveexec_b64 s[22:23], vcc
	s_xor_b64 s[22:23], exec, s[22:23]
; %bb.43:                               ;   in Loop: Header=BB239_8 Depth=1
	v_bfe_u32 v0, v1, 16, 1
	v_add3_u32 v0, v1, v0, s30
                                        ; implicit-def: $vgpr1
; %bb.44:                               ;   in Loop: Header=BB239_8 Depth=1
	s_andn2_saveexec_b64 s[22:23], s[22:23]
; %bb.45:                               ;   in Loop: Header=BB239_8 Depth=1
	v_or_b32_e32 v0, 0x10000, v1
	v_cmp_eq_u32_sdwa vcc, v1, v79 src0_sel:WORD_0 src1_sel:DWORD
	s_nop 1
	v_cndmask_b32_e32 v0, v0, v1, vcc
; %bb.46:                               ;   in Loop: Header=BB239_8 Depth=1
	s_or_b64 exec, exec, s[22:23]
	v_cvt_f32_i32_e32 v1, v5
	v_add_u32_e32 v78, s7, v78
	v_lshl_add_u64 v[6:7], v[78:79], 1, s[14:15]
	global_store_short_d16_hi v[6:7], v0, off
	v_add_f32_e32 v0, v4, v1
	s_waitcnt vmcnt(8)
	v_lshlrev_b32_e32 v1, 16, v17
	v_add_f32_e32 v1, v0, v1
	v_and_b32_e32 v0, 0x7f800000, v1
	v_cmp_ne_u32_e32 vcc, s29, v0
                                        ; implicit-def: $vgpr0
	s_and_saveexec_b64 s[22:23], vcc
	s_xor_b64 s[22:23], exec, s[22:23]
; %bb.47:                               ;   in Loop: Header=BB239_8 Depth=1
	v_bfe_u32 v0, v1, 16, 1
	v_add3_u32 v0, v1, v0, s30
                                        ; implicit-def: $vgpr1
; %bb.48:                               ;   in Loop: Header=BB239_8 Depth=1
	s_andn2_saveexec_b64 s[22:23], s[22:23]
; %bb.49:                               ;   in Loop: Header=BB239_8 Depth=1
	v_or_b32_e32 v0, 0x10000, v1
	v_cmp_eq_u32_sdwa vcc, v1, v79 src0_sel:WORD_0 src1_sel:DWORD
	s_nop 1
	v_cndmask_b32_e32 v0, v0, v1, vcc
; %bb.50:                               ;   in Loop: Header=BB239_8 Depth=1
	s_or_b64 exec, exec, s[22:23]
	v_cvt_f32_i32_e32 v1, v3
	v_add_u32_e32 v4, 1, v78
	v_mov_b32_e32 v5, v79
	v_lshl_add_u64 v[4:5], v[4:5], 1, s[14:15]
	v_add_f32_e32 v1, v2, v1
	global_store_short_d16_hi v[4:5], v0, off
	s_waitcnt vmcnt(8)
	v_lshlrev_b32_e32 v0, 16, v9
	v_add_f32_e32 v1, v1, v0
	v_and_b32_e32 v0, 0x7f800000, v1
	v_cmp_ne_u32_e32 vcc, s29, v0
                                        ; implicit-def: $vgpr0
	s_and_saveexec_b64 s[22:23], vcc
	s_xor_b64 s[22:23], exec, s[22:23]
; %bb.51:                               ;   in Loop: Header=BB239_8 Depth=1
	v_bfe_u32 v0, v1, 16, 1
	v_add3_u32 v0, v1, v0, s30
                                        ; implicit-def: $vgpr1
; %bb.52:                               ;   in Loop: Header=BB239_8 Depth=1
	s_andn2_saveexec_b64 s[22:23], s[22:23]
	s_cbranch_execz .LBB239_6
; %bb.53:                               ;   in Loop: Header=BB239_8 Depth=1
	v_or_b32_e32 v0, 0x10000, v1
	v_cmp_eq_u32_sdwa vcc, v1, v79 src0_sel:WORD_0 src1_sel:DWORD
	s_nop 1
	v_cndmask_b32_e32 v0, v0, v1, vcc
	s_branch .LBB239_6
.LBB239_54:
	s_endpgm
	.section	.rodata,"a",@progbits
	.p2align	6, 0x0
	.amdhsa_kernel _Z16wvSplitK_hf_sml_I14__hip_bfloat16Li64ELi3ELi16ELi8ELi2ELi3EEviiiiiiPKT_S3_S3_PS1_ii
		.amdhsa_group_segment_fixed_size 65536
		.amdhsa_private_segment_fixed_size 0
		.amdhsa_kernarg_size 64
		.amdhsa_user_sgpr_count 2
		.amdhsa_user_sgpr_dispatch_ptr 0
		.amdhsa_user_sgpr_queue_ptr 0
		.amdhsa_user_sgpr_kernarg_segment_ptr 1
		.amdhsa_user_sgpr_dispatch_id 0
		.amdhsa_user_sgpr_kernarg_preload_length 0
		.amdhsa_user_sgpr_kernarg_preload_offset 0
		.amdhsa_user_sgpr_private_segment_size 0
		.amdhsa_uses_dynamic_stack 0
		.amdhsa_enable_private_segment 0
		.amdhsa_system_sgpr_workgroup_id_x 1
		.amdhsa_system_sgpr_workgroup_id_y 0
		.amdhsa_system_sgpr_workgroup_id_z 0
		.amdhsa_system_sgpr_workgroup_info 0
		.amdhsa_system_vgpr_workitem_id 1
		.amdhsa_next_free_vgpr 100
		.amdhsa_next_free_sgpr 32
		.amdhsa_accum_offset 100
		.amdhsa_reserve_vcc 1
		.amdhsa_float_round_mode_32 0
		.amdhsa_float_round_mode_16_64 0
		.amdhsa_float_denorm_mode_32 3
		.amdhsa_float_denorm_mode_16_64 3
		.amdhsa_dx10_clamp 1
		.amdhsa_ieee_mode 1
		.amdhsa_fp16_overflow 0
		.amdhsa_tg_split 0
		.amdhsa_exception_fp_ieee_invalid_op 0
		.amdhsa_exception_fp_denorm_src 0
		.amdhsa_exception_fp_ieee_div_zero 0
		.amdhsa_exception_fp_ieee_overflow 0
		.amdhsa_exception_fp_ieee_underflow 0
		.amdhsa_exception_fp_ieee_inexact 0
		.amdhsa_exception_int_div_zero 0
	.end_amdhsa_kernel
	.section	.text._Z16wvSplitK_hf_sml_I14__hip_bfloat16Li64ELi3ELi16ELi8ELi2ELi3EEviiiiiiPKT_S3_S3_PS1_ii,"axG",@progbits,_Z16wvSplitK_hf_sml_I14__hip_bfloat16Li64ELi3ELi16ELi8ELi2ELi3EEviiiiiiPKT_S3_S3_PS1_ii,comdat
.Lfunc_end239:
	.size	_Z16wvSplitK_hf_sml_I14__hip_bfloat16Li64ELi3ELi16ELi8ELi2ELi3EEviiiiiiPKT_S3_S3_PS1_ii, .Lfunc_end239-_Z16wvSplitK_hf_sml_I14__hip_bfloat16Li64ELi3ELi16ELi8ELi2ELi3EEviiiiiiPKT_S3_S3_PS1_ii
                                        ; -- End function
	.section	.AMDGPU.csdata,"",@progbits
; Kernel info:
; codeLenInByte = 4120
; NumSgprs: 38
; NumVgprs: 100
; NumAgprs: 0
; TotalNumVgprs: 100
; ScratchSize: 0
; MemoryBound: 0
; FloatMode: 240
; IeeeMode: 1
; LDSByteSize: 65536 bytes/workgroup (compile time only)
; SGPRBlocks: 4
; VGPRBlocks: 12
; NumSGPRsForWavesPerEU: 38
; NumVGPRsForWavesPerEU: 100
; AccumOffset: 100
; Occupancy: 4
; WaveLimiterHint : 0
; COMPUTE_PGM_RSRC2:SCRATCH_EN: 0
; COMPUTE_PGM_RSRC2:USER_SGPR: 2
; COMPUTE_PGM_RSRC2:TRAP_HANDLER: 0
; COMPUTE_PGM_RSRC2:TGID_X_EN: 1
; COMPUTE_PGM_RSRC2:TGID_Y_EN: 0
; COMPUTE_PGM_RSRC2:TGID_Z_EN: 0
; COMPUTE_PGM_RSRC2:TIDIG_COMP_CNT: 1
; COMPUTE_PGM_RSRC3_GFX90A:ACCUM_OFFSET: 24
; COMPUTE_PGM_RSRC3_GFX90A:TG_SPLIT: 0
	.section	.text._Z12wvSplitK_hf_I14__hip_bfloat16Li64ELi3ELi16ELi8ELi2ELi3EEviiiiiiPKT_S3_S3_PS1_ii,"axG",@progbits,_Z12wvSplitK_hf_I14__hip_bfloat16Li64ELi3ELi16ELi8ELi2ELi3EEviiiiiiPKT_S3_S3_PS1_ii,comdat
	.protected	_Z12wvSplitK_hf_I14__hip_bfloat16Li64ELi3ELi16ELi8ELi2ELi3EEviiiiiiPKT_S3_S3_PS1_ii ; -- Begin function _Z12wvSplitK_hf_I14__hip_bfloat16Li64ELi3ELi16ELi8ELi2ELi3EEviiiiiiPKT_S3_S3_PS1_ii
	.globl	_Z12wvSplitK_hf_I14__hip_bfloat16Li64ELi3ELi16ELi8ELi2ELi3EEviiiiiiPKT_S3_S3_PS1_ii
	.p2align	8
	.type	_Z12wvSplitK_hf_I14__hip_bfloat16Li64ELi3ELi16ELi8ELi2ELi3EEviiiiiiPKT_S3_S3_PS1_ii,@function
_Z12wvSplitK_hf_I14__hip_bfloat16Li64ELi3ELi16ELi8ELi2ELi3EEviiiiiiPKT_S3_S3_PS1_ii: ; @_Z12wvSplitK_hf_I14__hip_bfloat16Li64ELi3ELi16ELi8ELi2ELi3EEviiiiiiPKT_S3_S3_PS1_ii
; %bb.0:
	s_load_dwordx2 s[8:9], s[0:1], 0x38
	s_load_dwordx4 s[12:15], s[0:1], 0x0
	s_load_dwordx2 s[10:11], s[0:1], 0x10
	v_bfe_u32 v3, v0, 10, 10
	s_mov_b32 s4, 1
	s_waitcnt lgkmcnt(0)
	s_mul_i32 s2, s2, s8
	v_add_u32_e32 v1, s2, v3
	v_lshl_add_u32 v88, v1, 1, v1
	v_add_u32_e32 v1, 3, v88
	s_mov_b32 s6, s4
	v_cmp_gt_u32_e32 vcc, s15, v88
	v_cmp_le_u32_e64 s[2:3], s15, v1
	s_mov_b32 s5, s4
	v_mov_b32_e32 v86, s6
	s_and_b64 s[16:17], vcc, s[2:3]
	v_mov_b32_e32 v85, s5
	v_mov_b32_e32 v84, s4
	s_and_saveexec_b64 s[2:3], s[16:17]
	s_cbranch_execz .LBB240_6
; %bb.1:
	s_add_i32 s7, s15, -3
	v_mov_b32_e32 v86, s6
	v_cmp_ne_u32_e32 vcc, s7, v88
	v_mov_b32_e32 v85, s5
	v_mov_b32_e32 v84, s4
	s_and_saveexec_b64 s[16:17], vcc
	s_cbranch_execz .LBB240_5
; %bb.2:
	v_subrev_u32_e32 v1, s7, v88
	v_cmp_lt_u32_e32 vcc, 1, v1
	s_mov_b64 s[18:19], 0
	s_mov_b64 s[20:21], 0
	v_cndmask_b32_e32 v2, 1, v1, vcc
	s_mov_b32 s5, s4
	s_mov_b32 s6, s4
.LBB240_3:                              ; =>This Inner Loop Header: Depth=1
	s_cmp_lg_u32 s20, 2
	s_cselect_b32 s6, s6, 0
	s_cmp_lg_u32 s20, 1
	s_cselect_b32 s5, s5, 0
	;; [unrolled: 2-line block ×3, first 2 shown]
	s_add_u32 s20, s20, 1
	s_addc_u32 s21, s21, 0
	v_cmp_eq_u32_e32 vcc, s20, v2
	v_mov_b32_e32 v86, s6
	s_or_b64 s[18:19], vcc, s[18:19]
	v_mov_b32_e32 v85, s5
	v_mov_b32_e32 v84, s4
	s_andn2_b64 exec, exec, s[18:19]
	s_cbranch_execnz .LBB240_3
; %bb.4:
	s_or_b64 exec, exec, s[18:19]
	v_mov_b32_e32 v88, s7
.LBB240_5:
	s_or_b64 exec, exec, s[16:17]
.LBB240_6:
	s_or_b64 exec, exec, s[2:3]
	s_load_dwordx4 s[16:19], s[0:1], 0x20
	v_and_b32_e32 v2, 0x3ff, v0
	v_lshlrev_b32_e32 v87, 3, v2
	s_mul_i32 s2, s14, 3
	v_lshl_add_u32 v4, v3, 9, v87
	s_min_u32 s20, s2, 0x8000
	v_cmp_gt_u32_e32 vcc, s20, v4
	s_and_saveexec_b64 s[2:3], vcc
	s_cbranch_execz .LBB240_9
; %bb.7:
	v_mov_b32_e32 v7, 0
	v_lshlrev_b32_e32 v6, 10, v3
	v_lshlrev_b32_e32 v8, 4, v2
	v_mov_b32_e32 v9, v7
	v_lshl_add_u64 v[0:1], v[6:7], 0, v[8:9]
	s_waitcnt lgkmcnt(0)
	v_lshl_add_u64 v[0:1], s[16:17], 0, v[0:1]
	v_add_u32_e32 v5, v6, v8
	s_mov_b64 s[4:5], 0
	s_mov_b64 s[6:7], 0x4000
.LBB240_8:                              ; =>This Inner Loop Header: Depth=1
	global_load_dwordx4 v[6:9], v[0:1], off
	v_add_u32_e32 v4, 0x2000, v4
	v_cmp_le_u32_e32 vcc, s20, v4
	v_lshl_add_u64 v[0:1], v[0:1], 0, s[6:7]
	s_or_b64 s[4:5], vcc, s[4:5]
	s_waitcnt vmcnt(0)
	ds_write_b128 v5, v[6:9]
	v_add_u32_e32 v5, 0x4000, v5
	s_andn2_b64 exec, exec, s[4:5]
	s_cbranch_execnz .LBB240_8
.LBB240_9:
	s_or_b64 exec, exec, s[2:3]
	v_cmp_gt_u32_e32 vcc, s8, v3
	v_cmp_gt_u32_e64 s[2:3], s15, v88
	s_and_b64 s[2:3], vcc, s[2:3]
	s_waitcnt lgkmcnt(0)
	s_barrier
	s_and_saveexec_b64 s[4:5], s[2:3]
	s_cbranch_execz .LBB240_106
; %bb.10:
	s_cmp_lg_u32 s12, 0
	s_cselect_b64 s[2:3], -1, 0
	s_add_i32 s33, s12, -8
	s_add_i32 s38, s15, -1
	s_cmp_lg_u64 s[18:19], 0
	s_cselect_b64 s[26:27], -1, 0
	s_abs_i32 s4, s11
	v_cvt_f32_u32_e32 v0, s10
	v_cvt_f32_u32_e32 v1, s4
	s_sub_i32 s5, 0, s10
	s_add_i32 s11, s15, -3
	v_rcp_iflag_f32_e32 v0, v0
	v_rcp_iflag_f32_e32 v1, v1
	s_load_dwordx2 s[20:21], s[0:1], 0x18
	s_load_dwordx2 s[22:23], s[0:1], 0x30
	s_mul_i32 s39, s8, s9
	v_mul_f32_e32 v0, 0x4f7ffffe, v0
	v_mul_f32_e32 v1, 0x4f7ffffe, v1
	v_cvt_u32_f32_e32 v0, v0
	v_cvt_u32_f32_e32 v1, v1
	v_cmp_eq_u32_e64 s[0:1], 63, v2
	s_mov_b64 s[24:25], 0
	v_mul_lo_u32 v3, s5, v0
	s_sub_i32 s5, 0, s4
	v_readfirstlane_b32 s6, v1
	s_mul_i32 s5, s5, s6
	s_mul_hi_u32 s5, s6, s5
	s_add_i32 s6, s6, s5
	s_sub_i32 s5, 1, s4
	s_cmp_lt_u32 s4, 2
	s_cselect_b32 s5, s5, 1
	s_sub_i32 s7, s5, s4
	s_cmp_ge_u32 s5, s4
	s_cselect_b32 s40, s7, s5
	s_lshr_b32 s5, s6, 31
	s_mul_i32 s5, s5, s4
	s_sub_i32 s5, 2, s5
	s_sub_i32 s6, s5, s4
	s_cmp_ge_u32 s5, s4
	s_cselect_b32 s5, s6, s5
	s_sub_i32 s6, s5, s4
	v_mul_hi_u32 v3, v0, v3
	s_cmp_ge_u32 s5, s4
	v_add_u32_e32 v106, v0, v3
	s_cselect_b32 s41, s6, s5
	s_lshl_b32 s42, s14, 1
	v_cndmask_b32_e64 v0, 0, 1, s[2:3]
	s_mul_i32 s39, s39, 3
	v_mov_b32_e32 v91, 0
	s_mul_i32 s40, s40, s10
	s_mul_i32 s41, s41, s10
	v_lshlrev_b32_e32 v107, 4, v2
	s_lshl_b32 s43, s14, 2
	v_add_u32_e32 v108, s42, v87
	v_add_u32_e32 v109, s14, v87
	v_cmp_ne_u32_e64 s[2:3], 1, v0
	s_movk_i32 s14, 0x7fff
	s_mov_b32 s44, 0x7f800000
	s_mov_b32 s28, 0
	s_branch .LBB240_13
.LBB240_11:                             ;   in Loop: Header=BB240_13 Depth=1
	s_or_b64 exec, exec, s[8:9]
	v_mov_b32_e32 v88, s11
.LBB240_12:                             ;   in Loop: Header=BB240_13 Depth=1
	s_or_b64 exec, exec, s[6:7]
	v_cmp_le_u32_e32 vcc, s15, v88
	s_or_b64 s[24:25], vcc, s[24:25]
	s_andn2_b64 exec, exec, s[24:25]
	s_cbranch_execz .LBB240_106
.LBB240_13:                             ; =>This Loop Header: Depth=1
                                        ;     Child Loop BB240_18 Depth 2
                                        ;     Child Loop BB240_104 Depth 2
	s_and_b64 vcc, exec, s[2:3]
	v_add_u32_e32 v94, 1, v88
	v_add_u32_e32 v92, 2, v88
	v_mov_b32_e32 v7, v91
	s_waitcnt vmcnt(0)
	v_mov_b32_e32 v6, v91
	v_mov_b32_e32 v5, v91
	;; [unrolled: 1-line block ×35, first 2 shown]
	s_cbranch_vccnz .LBB240_44
; %bb.14:                               ;   in Loop: Header=BB240_13 Depth=1
	v_min_u32_e32 v0, s38, v88
	v_mul_lo_u32 v90, v0, s13
	v_min_u32_e32 v0, s38, v94
	v_min_u32_e32 v2, s38, v92
	v_mul_lo_u32 v0, v0, s13
	v_mov_b32_e32 v1, v91
	v_mul_lo_u32 v2, v2, s13
	v_mov_b32_e32 v3, v91
	v_mov_b32_e32 v24, 0
	s_mov_b32 s4, 0
	v_lshlrev_b64 v[96:97], 1, v[90:91]
	v_lshlrev_b64 v[98:99], 1, v[0:1]
	;; [unrolled: 1-line block ×3, first 2 shown]
	v_mov_b32_e32 v89, v107
	s_mov_b32 s34, 0
	v_mov_b32_e32 v25, v24
	v_mov_b32_e32 v26, v24
	;; [unrolled: 1-line block ×35, first 2 shown]
	s_branch .LBB240_18
.LBB240_15:                             ;   in Loop: Header=BB240_18 Depth=2
	s_or_b64 exec, exec, s[30:31]
.LBB240_16:                             ;   in Loop: Header=BB240_18 Depth=2
	s_or_b64 exec, exec, s[8:9]
.LBB240_17:                             ;   in Loop: Header=BB240_18 Depth=2
	s_or_b64 exec, exec, s[6:7]
	s_waitcnt vmcnt(0) lgkmcnt(0)
	v_mfma_f32_4x4x4_16b_bf16 v[32:35], v[60:61], v[44:45], v[32:35]
	s_addk_i32 s34, 0x400
	v_mfma_f32_4x4x4_16b_bf16 v[28:31], v[60:61], v[40:41], v[28:31]
	v_add_u32_e32 v89, 0x800, v89
	v_mfma_f32_4x4x4_16b_bf16 v[24:27], v[60:61], v[52:53], v[24:27]
	s_cmp_ge_u32 s34, s12
	v_mfma_f32_4x4x4_16b_bf16 v[20:23], v[64:65], v[44:45], v[20:23]
	v_mfma_f32_4x4x4_16b_bf16 v[16:19], v[64:65], v[40:41], v[16:19]
	;; [unrolled: 1-line block ×33, first 2 shown]
	s_cbranch_scc1 .LBB240_44
.LBB240_18:                             ;   Parent Loop BB240_13 Depth=1
                                        ; =>  This Inner Loop Header: Depth=2
	v_add_u32_e32 v104, s34, v87
	v_min_u32_e32 v90, s33, v104
	s_waitcnt lgkmcnt(0)
	v_lshl_add_u64 v[36:37], v[90:91], 1, s[20:21]
	v_add_u32_e32 v102, 0x200, v104
	v_lshl_add_u64 v[38:39], v[36:37], 0, v[96:97]
	v_lshl_add_u64 v[40:41], v[36:37], 0, v[98:99]
	v_min_u32_e32 v90, s33, v102
	global_load_dwordx4 v[44:47], v[38:39], off nt
	s_nop 0
	global_load_dwordx4 v[40:43], v[40:41], off nt
	v_lshl_add_u64 v[38:39], v[90:91], 1, s[20:21]
	v_lshl_add_u64 v[36:37], v[36:37], 0, v[100:101]
	;; [unrolled: 1-line block ×3, first 2 shown]
	global_load_dwordx4 v[52:55], v[36:37], off nt
	s_nop 0
	global_load_dwordx4 v[48:51], v[48:49], off nt
	v_lshl_add_u64 v[36:37], v[38:39], 0, v[98:99]
	v_lshl_add_u64 v[38:39], v[38:39], 0, v[100:101]
	global_load_dwordx4 v[56:59], v[36:37], off nt
	s_nop 0
	global_load_dwordx4 v[36:39], v[38:39], off nt
	s_mov_b32 s5, s4
	v_cmp_gt_u32_e32 vcc, s12, v104
	v_mov_b64_e32 v[60:61], s[4:5]
	v_mov_b32_e32 v77, 0
	v_mov_b32_e32 v76, 0
	;; [unrolled: 1-line block ×4, first 2 shown]
	v_mov_b64_e32 v[62:63], s[4:5]
	v_mov_b64_e32 v[72:73], s[4:5]
	;; [unrolled: 1-line block ×9, first 2 shown]
	s_and_saveexec_b64 s[6:7], vcc
	s_cbranch_execz .LBB240_17
; %bb.19:                               ;   in Loop: Header=BB240_18 Depth=2
	v_cmp_lt_u32_e32 vcc, s14, v104
                                        ; implicit-def: $vgpr60_vgpr61
	s_and_saveexec_b64 s[8:9], vcc
	s_xor_b64 s[8:9], exec, s[8:9]
	s_cbranch_execz .LBB240_21
; %bb.20:                               ;   in Loop: Header=BB240_18 Depth=2
	v_mov_b32_e32 v105, v91
	v_lshl_add_u64 v[60:61], v[104:105], 1, s[16:17]
	global_load_dwordx4 v[60:63], v[60:61], off
.LBB240_21:                             ;   in Loop: Header=BB240_18 Depth=2
	s_andn2_saveexec_b64 s[8:9], s[8:9]
	s_cbranch_execz .LBB240_23
; %bb.22:                               ;   in Loop: Header=BB240_18 Depth=2
	s_waitcnt vmcnt(0)
	ds_read_b128 v[60:63], v89
.LBB240_23:                             ;   in Loop: Header=BB240_18 Depth=2
	s_or_b64 exec, exec, s[8:9]
	v_add_u32_e32 v90, s34, v109
	v_cmp_lt_u32_e32 vcc, s14, v90
                                        ; implicit-def: $vgpr64_vgpr65
	s_and_saveexec_b64 s[8:9], vcc
	s_xor_b64 s[8:9], exec, s[8:9]
	s_cbranch_execz .LBB240_25
; %bb.24:                               ;   in Loop: Header=BB240_18 Depth=2
	v_lshl_add_u64 v[64:65], v[90:91], 1, s[16:17]
	global_load_dwordx4 v[64:67], v[64:65], off
.LBB240_25:                             ;   in Loop: Header=BB240_18 Depth=2
	s_andn2_saveexec_b64 s[8:9], s[8:9]
	s_cbranch_execz .LBB240_27
; %bb.26:                               ;   in Loop: Header=BB240_18 Depth=2
	s_waitcnt vmcnt(0)
	v_add_u32_e32 v64, s42, v89
	ds_read_b128 v[64:67], v64
.LBB240_27:                             ;   in Loop: Header=BB240_18 Depth=2
	s_or_b64 exec, exec, s[8:9]
	v_add_u32_e32 v104, s34, v108
	v_cmp_lt_u32_e32 vcc, s14, v104
                                        ; implicit-def: $vgpr68_vgpr69
	s_and_saveexec_b64 s[8:9], vcc
	s_xor_b64 s[8:9], exec, s[8:9]
	s_cbranch_execz .LBB240_29
; %bb.28:                               ;   in Loop: Header=BB240_18 Depth=2
	v_mov_b32_e32 v105, v91
	v_lshl_add_u64 v[68:69], v[104:105], 1, s[16:17]
	global_load_dwordx4 v[68:71], v[68:69], off
.LBB240_29:                             ;   in Loop: Header=BB240_18 Depth=2
	s_andn2_saveexec_b64 s[8:9], s[8:9]
	s_cbranch_execz .LBB240_31
; %bb.30:                               ;   in Loop: Header=BB240_18 Depth=2
	s_waitcnt vmcnt(0)
	v_add_u32_e32 v70, s43, v89
	ds_read2_b32 v[68:69], v70 offset1:1
	ds_read2_b32 v[70:71], v70 offset0:2 offset1:3
.LBB240_31:                             ;   in Loop: Header=BB240_18 Depth=2
	s_or_b64 exec, exec, s[8:9]
	s_mov_b32 s29, s28
	v_cmp_gt_u32_e32 vcc, s12, v102
	v_mov_b32_e32 v77, 0
	v_mov_b64_e32 v[72:73], s[28:29]
	v_mov_b32_e32 v76, 0
	v_mov_b32_e32 v79, 0
	;; [unrolled: 1-line block ×3, first 2 shown]
	v_mov_b64_e32 v[74:75], s[28:29]
	v_mov_b64_e32 v[80:81], s[28:29]
	;; [unrolled: 1-line block ×3, first 2 shown]
	s_and_saveexec_b64 s[8:9], vcc
	s_cbranch_execz .LBB240_16
; %bb.32:                               ;   in Loop: Header=BB240_18 Depth=2
	v_cmp_lt_u32_e32 vcc, s14, v102
                                        ; implicit-def: $vgpr72_vgpr73
	s_and_saveexec_b64 s[30:31], vcc
	s_xor_b64 s[30:31], exec, s[30:31]
	s_cbranch_execz .LBB240_34
; %bb.33:                               ;   in Loop: Header=BB240_18 Depth=2
	v_mov_b32_e32 v103, v91
	v_lshl_add_u64 v[72:73], v[102:103], 1, s[16:17]
	global_load_dwordx4 v[72:75], v[72:73], off
.LBB240_34:                             ;   in Loop: Header=BB240_18 Depth=2
	s_andn2_saveexec_b64 s[30:31], s[30:31]
	s_cbranch_execz .LBB240_36
; %bb.35:                               ;   in Loop: Header=BB240_18 Depth=2
	s_waitcnt vmcnt(0)
	ds_read_b128 v[72:75], v89 offset:1024
.LBB240_36:                             ;   in Loop: Header=BB240_18 Depth=2
	s_or_b64 exec, exec, s[30:31]
	v_add_u32_e32 v90, 0x200, v90
	v_cmp_lt_u32_e32 vcc, s14, v90
                                        ; implicit-def: $vgpr80_vgpr81
	s_and_saveexec_b64 s[30:31], vcc
	s_xor_b64 s[30:31], exec, s[30:31]
	s_cbranch_execz .LBB240_38
; %bb.37:                               ;   in Loop: Header=BB240_18 Depth=2
	v_lshl_add_u64 v[76:77], v[90:91], 1, s[16:17]
	global_load_dwordx4 v[80:83], v[76:77], off
.LBB240_38:                             ;   in Loop: Header=BB240_18 Depth=2
	s_andn2_saveexec_b64 s[30:31], s[30:31]
	s_cbranch_execz .LBB240_40
; %bb.39:                               ;   in Loop: Header=BB240_18 Depth=2
	v_add_u32_e32 v76, s42, v89
	s_waitcnt vmcnt(0)
	ds_read_b128 v[80:83], v76 offset:1024
.LBB240_40:                             ;   in Loop: Header=BB240_18 Depth=2
	s_or_b64 exec, exec, s[30:31]
	v_add_u32_e32 v90, 0x200, v104
	v_cmp_lt_u32_e32 vcc, s14, v90
                                        ; implicit-def: $vgpr77
	s_and_saveexec_b64 s[30:31], vcc
	s_xor_b64 s[30:31], exec, s[30:31]
	s_cbranch_execz .LBB240_42
; %bb.41:                               ;   in Loop: Header=BB240_18 Depth=2
	v_lshl_add_u64 v[76:77], v[90:91], 1, s[16:17]
	global_load_dwordx4 v[76:79], v[76:77], off
.LBB240_42:                             ;   in Loop: Header=BB240_18 Depth=2
	s_andn2_saveexec_b64 s[30:31], s[30:31]
	s_cbranch_execz .LBB240_15
; %bb.43:                               ;   in Loop: Header=BB240_18 Depth=2
	s_waitcnt vmcnt(0)
	v_add_u32_e32 v76, s43, v89
	v_add_u32_e32 v77, 0x400, v76
	;; [unrolled: 1-line block ×3, first 2 shown]
	ds_read2_b32 v[76:77], v77 offset1:1
	ds_read2_b32 v[78:79], v78 offset1:1
	s_branch .LBB240_15
.LBB240_44:                             ;   in Loop: Header=BB240_13 Depth=1
	v_cvt_i32_f32_e32 v33, v33
	v_cvt_i32_f32_e32 v34, v34
	;; [unrolled: 1-line block ×4, first 2 shown]
	v_cvt_f32_i32_dpp v33, v33 row_shl:1 row_mask:0xf bank_mask:0xf bound_ctrl:1
	v_cvt_f32_i32_dpp v34, v34 row_shl:2 row_mask:0xf bank_mask:0xf bound_ctrl:1
	;; [unrolled: 1-line block ×3, first 2 shown]
	v_cvt_i32_f32_e32 v30, v30
	v_add_f32_e32 v32, v32, v33
	v_add_f32_e32 v32, v32, v34
	;; [unrolled: 1-line block ×3, first 2 shown]
	v_cvt_i32_f32_e32 v31, v31
	v_cvt_i32_f32_e32 v33, v32
	v_cvt_f32_i32_dpp v29, v29 row_shl:1 row_mask:0xf bank_mask:0xf bound_ctrl:1
	v_cvt_f32_i32_dpp v30, v30 row_shl:2 row_mask:0xf bank_mask:0xf bound_ctrl:1
	;; [unrolled: 1-line block ×4, first 2 shown]
	v_add_f32_e32 v28, v28, v29
	v_add_f32_e32 v28, v28, v30
	;; [unrolled: 1-line block ×4, first 2 shown]
	v_cvt_i32_f32_e32 v29, v28
	v_cvt_i32_f32_e32 v31, v30
	;; [unrolled: 1-line block ×4, first 2 shown]
	v_cvt_f32_i32_dpp v29, v29 row_shl:4 row_mask:0xf bank_mask:0xf bound_ctrl:1
	v_cvt_f32_i32_dpp v31, v31 row_shl:8 row_mask:0xf bank_mask:0xf bound_ctrl:1
	v_cvt_i32_f32_e32 v27, v27
	v_cvt_f32_i32_dpp v25, v25 row_shl:1 row_mask:0xf bank_mask:0xf bound_ctrl:1
	v_add_f32_e32 v28, v28, v29
	v_add_f32_e32 v30, v30, v31
	v_cvt_i32_f32_e32 v29, v28
	v_cvt_i32_f32_e32 v30, v30
	v_cvt_f32_i32_dpp v26, v26 row_shl:2 row_mask:0xf bank_mask:0xf bound_ctrl:1
	v_cvt_f32_i32_dpp v27, v27 row_shl:3 row_mask:0xf bank_mask:0xf bound_ctrl:1
	;; [unrolled: 1-line block ×3, first 2 shown]
	v_cvt_f32_i32_dpp v30, v30 row_shr:15 row_mask:0xf bank_mask:0xf bound_ctrl:1
	v_add_f32_e32 v24, v24, v25
	v_cvt_i32_f32_e32 v21, v21
	v_add_f32_e32 v24, v24, v26
	v_cvt_i32_f32_e32 v22, v22
	;; [unrolled: 2-line block ×4, first 2 shown]
	v_cvt_i32_f32_e32 v26, v25
	v_cvt_i32_f32_e32 v28, v28
	v_cvt_f32_i32_dpp v21, v21 row_shl:1 row_mask:0xf bank_mask:0xf bound_ctrl:1
	v_cvt_f32_i32_dpp v22, v22 row_shl:2 row_mask:0xf bank_mask:0xf bound_ctrl:1
	v_cvt_f32_i32_dpp v29, v29 row_bcast:15 row_mask:0xf bank_mask:0xf bound_ctrl:1
	v_cvt_f32_i32_dpp v23, v23 row_shl:3 row_mask:0xf bank_mask:0xf bound_ctrl:1
	v_cvt_f32_i32_dpp v26, v26 row_shl:4 row_mask:0xf bank_mask:0xf bound_ctrl:1
	v_cvt_f32_i32_dpp v28, v28 row_shr:15 row_mask:0xf bank_mask:0xf bound_ctrl:1
	v_add_f32_e32 v20, v20, v21
	v_add_f32_e32 v20, v20, v22
	;; [unrolled: 1-line block ×4, first 2 shown]
	v_cvt_i32_f32_e32 v27, v24
	v_add_f32_e32 v25, v25, v26
	v_cvt_i32_f32_e32 v20, v22
	v_cvt_i32_f32_e32 v29, v28
	;; [unrolled: 1-line block ×3, first 2 shown]
	v_mov_b32_dpp v21, v27 row_bcast:31 row_mask:0xf bank_mask:0xf bound_ctrl:1
	v_cvt_f32_i32_dpp v27, v20 row_shl:4 row_mask:0xf bank_mask:0xf bound_ctrl:1
	v_cvt_f32_i32_dpp v23, v29 row_bcast:15 row_mask:0xf bank_mask:0xf bound_ctrl:1
	v_cvt_f32_i32_dpp v26, v26 row_shl:8 row_mask:0xf bank_mask:0xf bound_ctrl:1
	v_cvt_i32_f32_e32 v17, v17
	v_add_f32_e32 v22, v22, v27
	v_cvt_i32_f32_e32 v18, v18
	v_add_f32_e32 v20, v28, v23
	v_add_f32_e32 v23, v25, v26
	v_cvt_i32_f32_e32 v19, v19
	v_cvt_i32_f32_e32 v25, v22
	v_cvt_f32_i32_dpp v17, v17 row_shl:1 row_mask:0xf bank_mask:0xf bound_ctrl:1
	v_cvt_f32_i32_dpp v18, v18 row_shl:2 row_mask:0xf bank_mask:0xf bound_ctrl:1
	;; [unrolled: 1-line block ×4, first 2 shown]
	v_add_f32_e32 v16, v16, v17
	v_add_f32_e32 v16, v16, v18
	;; [unrolled: 1-line block ×4, first 2 shown]
	v_cvt_i32_f32_e32 v17, v16
	v_cvt_i32_f32_e32 v19, v19
	;; [unrolled: 1-line block ×7, first 2 shown]
	v_cvt_f32_i32_dpp v17, v17 row_shl:4 row_mask:0xf bank_mask:0xf bound_ctrl:1
	v_cvt_i32_f32_e32 v22, v20
	v_cvt_f32_i32_dpp v19, v19 row_shr:15 row_mask:0xf bank_mask:0xf bound_ctrl:1
	v_cvt_f32_i32_dpp v1, v1 row_shl:1 row_mask:0xf bank_mask:0xf bound_ctrl:1
	v_cvt_f32_i32_dpp v13, v13 row_shl:1 row_mask:0xf bank_mask:0xf bound_ctrl:1
	v_cvt_i32_f32_e32 v9, v9
	v_cvt_f32_i32_dpp v2, v2 row_shl:2 row_mask:0xf bank_mask:0xf bound_ctrl:1
	v_cvt_i32_f32_e32 v3, v3
	;; [unrolled: 2-line block ×4, first 2 shown]
	v_add_f32_e32 v25, v16, v17
	v_mov_b32_dpp v17, v22 row_bcast:31 row_mask:0xf bank_mask:0xf bound_ctrl:1
	v_cvt_i32_f32_e32 v22, v19
	v_add_f32_e32 v0, v0, v1
	v_add_f32_e32 v12, v12, v13
	v_cvt_f32_i32_dpp v9, v9 row_shl:1 row_mask:0xf bank_mask:0xf bound_ctrl:1
	v_add_f32_e32 v0, v0, v2
	v_cvt_f32_i32_dpp v1, v3 row_shl:3 row_mask:0xf bank_mask:0xf bound_ctrl:1
	v_cvt_i32_f32_e32 v2, v5
	v_add_f32_e32 v12, v12, v14
	v_cvt_f32_i32_dpp v10, v10 row_shl:2 row_mask:0xf bank_mask:0xf bound_ctrl:1
	v_cvt_i32_f32_e32 v3, v6
	v_add_f32_e32 v15, v12, v15
	v_cvt_f32_i32_dpp v11, v11 row_shl:3 row_mask:0xf bank_mask:0xf bound_ctrl:1
	v_cvt_i32_f32_e32 v5, v7
	v_cvt_f32_i32_dpp v22, v22 row_bcast:15 row_mask:0xf bank_mask:0xf bound_ctrl:1
	v_cvt_i32_f32_e32 v12, v15
	v_add_f32_e32 v8, v8, v9
	v_add_f32_e32 v0, v0, v1
	v_cvt_f32_i32_dpp v1, v2 row_shl:1 row_mask:0xf bank_mask:0xf bound_ctrl:1
	v_add_f32_e32 v8, v8, v10
	v_cvt_f32_i32_dpp v2, v3 row_shl:2 row_mask:0xf bank_mask:0xf bound_ctrl:1
	;; [unrolled: 2-line block ×4, first 2 shown]
	v_cvt_i32_f32_e32 v10, v9
	v_add_f32_e32 v1, v4, v1
	v_add_f32_e32 v1, v1, v2
	;; [unrolled: 1-line block ×4, first 2 shown]
	v_cvt_f32_i32_dpp v10, v10 row_shl:4 row_mask:0xf bank_mask:0xf bound_ctrl:1
	v_cvt_i32_f32_e32 v5, v0
	v_cvt_i32_f32_e32 v2, v1
	;; [unrolled: 1-line block ×4, first 2 shown]
	v_add_f32_e32 v9, v9, v10
	v_cvt_f32_i32_dpp v4, v5 row_shl:4 row_mask:0xf bank_mask:0xf bound_ctrl:1
	v_cvt_f32_i32_dpp v2, v2 row_shl:4 row_mask:0xf bank_mask:0xf bound_ctrl:1
	v_cvt_f32_i32_dpp v18, v23 row_shr:15 row_mask:0xf bank_mask:0xf bound_ctrl:1
	v_cvt_f32_i32_dpp v19, v19 row_shl:8 row_mask:0xf bank_mask:0xf bound_ctrl:1
	v_cvt_i32_f32_e32 v10, v9
	v_add_f32_e32 v0, v0, v4
	v_add_f32_e32 v1, v1, v2
	v_cvt_i32_f32_e32 v23, v18
	v_cvt_i32_f32_e32 v16, v25
	v_add_f32_e32 v15, v15, v19
	v_cvt_f32_i32_dpp v3, v10 row_shl:8 row_mask:0xf bank_mask:0xf bound_ctrl:1
	v_cvt_i32_f32_e32 v4, v0
	v_cvt_i32_f32_e32 v2, v1
	v_cvt_i32_f32_e32 v15, v15
	v_cvt_f32_i32_dpp v23, v23 row_bcast:15 row_mask:0xf bank_mask:0xf bound_ctrl:1
	v_cvt_f32_i32_dpp v26, v16 row_shl:8 row_mask:0xf bank_mask:0xf bound_ctrl:1
	v_add_f32_e32 v3, v9, v3
	v_cvt_f32_i32_dpp v4, v4 row_shl:8 row_mask:0xf bank_mask:0xf bound_ctrl:1
	v_cvt_f32_i32_dpp v2, v2 row_shl:8 row_mask:0xf bank_mask:0xf bound_ctrl:1
	v_cvt_f32_i32_dpp v5, v15 row_shr:15 row_mask:0xf bank_mask:0xf bound_ctrl:1
	v_cvt_i32_f32_e32 v3, v3
	v_add_f32_e32 v16, v18, v23
	v_add_f32_e32 v23, v25, v26
	;; [unrolled: 1-line block ×4, first 2 shown]
	v_cvt_i32_f32_e32 v23, v23
	v_cvt_i32_f32_e32 v6, v5
	v_cvt_f32_i32_dpp v3, v3 row_shr:15 row_mask:0xf bank_mask:0xf bound_ctrl:1
	v_cvt_i32_f32_e32 v0, v0
	v_cvt_i32_f32_e32 v1, v1
	v_cvt_f32_i32_dpp v23, v23 row_shr:15 row_mask:0xf bank_mask:0xf bound_ctrl:1
	v_cvt_f32_i32_dpp v2, v6 row_bcast:15 row_mask:0xf bank_mask:0xf bound_ctrl:1
	v_cvt_f32_i32_dpp v0, v0 row_shr:15 row_mask:0xf bank_mask:0xf bound_ctrl:1
	v_cvt_i32_f32_e32 v4, v3
	v_cvt_f32_i32_dpp v1, v1 row_shr:15 row_mask:0xf bank_mask:0xf bound_ctrl:1
	v_cvt_i32_f32_e32 v18, v16
	v_cvt_i32_f32_e32 v25, v23
	v_add_f32_e32 v7, v5, v2
	v_cvt_i32_f32_e32 v2, v0
	v_cvt_f32_i32_dpp v4, v4 row_bcast:15 row_mask:0xf bank_mask:0xf bound_ctrl:1
	v_cvt_i32_f32_e32 v5, v1
	v_mov_b32_dpp v14, v18 row_bcast:31 row_mask:0xf bank_mask:0xf bound_ctrl:1
	v_cvt_f32_i32_dpp v18, v25 row_bcast:15 row_mask:0xf bank_mask:0xf bound_ctrl:1
	v_cvt_f32_i32_dpp v2, v2 row_bcast:15 row_mask:0xf bank_mask:0xf bound_ctrl:1
	v_add_f32_e32 v4, v3, v4
	v_cvt_f32_i32_dpp v3, v5 row_bcast:15 row_mask:0xf bank_mask:0xf bound_ctrl:1
	v_add_f32_e32 v12, v23, v18
	v_add_f32_e32 v2, v0, v2
	v_cvt_i32_f32_e32 v22, v13
	v_add_f32_e32 v0, v1, v3
	v_cvt_i32_f32_e32 v18, v12
	v_cvt_i32_f32_e32 v6, v7
	v_cvt_i32_f32_e32 v5, v4
	v_cvt_i32_f32_e32 v9, v2
	v_cvt_i32_f32_e32 v1, v0
	v_mov_b32_dpp v11, v22 row_bcast:31 row_mask:0xf bank_mask:0xf bound_ctrl:1
	v_mov_b32_dpp v8, v18 row_bcast:31 row_mask:0xf bank_mask:0xf bound_ctrl:1
	v_mov_b32_dpp v10, v6 row_bcast:31 row_mask:0xf bank_mask:0xf bound_ctrl:1
	v_mov_b32_dpp v5, v5 row_bcast:31 row_mask:0xf bank_mask:0xf bound_ctrl:1
	v_mov_b32_dpp v3, v9 row_bcast:31 row_mask:0xf bank_mask:0xf bound_ctrl:1
	v_mov_b32_dpp v1, v1 row_bcast:31 row_mask:0xf bank_mask:0xf bound_ctrl:1
	s_and_saveexec_b64 s[30:31], s[0:1]
	s_cbranch_execz .LBB240_101
; %bb.45:                               ;   in Loop: Header=BB240_13 Depth=1
	s_andn2_b64 vcc, exec, s[26:27]
	v_mov_b32_e32 v26, 0
	v_mov_b32_e32 v25, 0
	v_mov_b32_e32 v23, 0
	v_mov_b32_e32 v22, 0
	v_mov_b32_e32 v19, 0
	v_mov_b32_e32 v18, 0
	v_mov_b32_e32 v15, 0
	v_mov_b32_e32 v9, 0
	v_mov_b32_e32 v6, 0
	s_cbranch_vccnz .LBB240_47
; %bb.46:                               ;   in Loop: Header=BB240_13 Depth=1
	v_mul_hi_u32 v6, v88, v106
	v_mul_lo_u32 v6, v6, s10
	v_sub_u32_e32 v6, v88, v6
	v_subrev_u32_e32 v9, s10, v6
	v_cmp_le_u32_e32 vcc, s10, v6
	v_mov_b32_e32 v23, v91
	v_mov_b32_e32 v19, v91
	v_cndmask_b32_e32 v6, v6, v9, vcc
	v_subrev_u32_e32 v9, s10, v6
	v_cmp_le_u32_e32 vcc, s10, v6
	v_mov_b32_e32 v33, v91
	s_nop 0
	v_cndmask_b32_e32 v90, v6, v9, vcc
	v_mul_hi_u32 v6, v94, v106
	v_mul_lo_u32 v6, v6, s10
	v_sub_u32_e32 v6, v94, v6
	v_subrev_u32_e32 v9, s10, v6
	v_cmp_le_u32_e32 vcc, s10, v6
	v_add_u32_e32 v22, s40, v90
	v_lshl_add_u64 v[28:29], v[90:91], 1, s[18:19]
	v_cndmask_b32_e32 v6, v6, v9, vcc
	v_subrev_u32_e32 v9, s10, v6
	v_cmp_le_u32_e32 vcc, s10, v6
	v_lshl_add_u64 v[36:37], v[22:23], 1, s[18:19]
	v_add_u32_e32 v90, s41, v90
	v_cndmask_b32_e32 v18, v6, v9, vcc
	v_mul_hi_u32 v6, v92, v106
	v_mul_lo_u32 v6, v6, s10
	v_sub_u32_e32 v6, v92, v6
	v_subrev_u32_e32 v9, s10, v6
	v_cmp_le_u32_e32 vcc, s10, v6
	v_add_u32_e32 v22, s40, v18
	v_lshl_add_u64 v[38:39], v[22:23], 1, s[18:19]
	v_cndmask_b32_e32 v6, v6, v9, vcc
	v_subrev_u32_e32 v9, s10, v6
	v_cmp_le_u32_e32 vcc, s10, v6
	v_lshl_add_u64 v[42:43], v[90:91], 1, s[18:19]
	v_add_u32_e32 v90, s41, v18
	v_cndmask_b32_e32 v32, v6, v9, vcc
	v_add_u32_e32 v22, s40, v32
	v_lshl_add_u64 v[30:31], v[18:19], 1, s[18:19]
	v_lshl_add_u64 v[34:35], v[32:33], 1, s[18:19]
	;; [unrolled: 1-line block ×4, first 2 shown]
	global_load_ushort v26, v[28:29], off
	global_load_ushort v25, v[30:31], off
	;; [unrolled: 1-line block ×8, first 2 shown]
	v_add_u32_e32 v90, s41, v32
	v_lshl_add_u64 v[28:29], v[90:91], 1, s[18:19]
	global_load_ushort v6, v[28:29], off
.LBB240_47:                             ;   in Loop: Header=BB240_13 Depth=1
	v_cmp_ne_u32_e32 vcc, 0, v84
	s_and_saveexec_b64 s[6:7], vcc
	s_cbranch_execnz .LBB240_56
; %bb.48:                               ;   in Loop: Header=BB240_13 Depth=1
	s_or_b64 exec, exec, s[6:7]
	v_cmp_ne_u32_e64 s[4:5], 0, v85
	s_and_saveexec_b64 s[8:9], s[4:5]
	s_cbranch_execnz .LBB240_61
.LBB240_49:                             ;   in Loop: Header=BB240_13 Depth=1
	s_or_b64 exec, exec, s[8:9]
	v_cmp_ne_u32_e64 s[6:7], 0, v86
	s_and_saveexec_b64 s[34:35], s[6:7]
	s_cbranch_execnz .LBB240_66
.LBB240_50:                             ;   in Loop: Header=BB240_13 Depth=1
	s_or_b64 exec, exec, s[34:35]
	v_add_u32_e32 v90, s15, v88
	s_and_saveexec_b64 s[34:35], vcc
	s_cbranch_execnz .LBB240_71
.LBB240_51:                             ;   in Loop: Header=BB240_13 Depth=1
	s_or_b64 exec, exec, s[34:35]
	s_and_saveexec_b64 s[34:35], s[4:5]
	s_cbranch_execnz .LBB240_76
.LBB240_52:                             ;   in Loop: Header=BB240_13 Depth=1
	s_or_b64 exec, exec, s[34:35]
	s_and_saveexec_b64 s[34:35], s[6:7]
	s_cbranch_execnz .LBB240_81
.LBB240_53:                             ;   in Loop: Header=BB240_13 Depth=1
	s_or_b64 exec, exec, s[34:35]
	v_add_u32_e32 v90, s15, v90
	s_and_saveexec_b64 s[8:9], vcc
	s_cbranch_execnz .LBB240_86
.LBB240_54:                             ;   in Loop: Header=BB240_13 Depth=1
	s_or_b64 exec, exec, s[8:9]
	s_and_saveexec_b64 s[8:9], s[4:5]
	s_cbranch_execnz .LBB240_91
.LBB240_55:                             ;   in Loop: Header=BB240_13 Depth=1
	s_or_b64 exec, exec, s[8:9]
	s_and_b64 exec, exec, s[6:7]
	s_cbranch_execnz .LBB240_96
	s_branch .LBB240_101
.LBB240_56:                             ;   in Loop: Header=BB240_13 Depth=1
	v_cvt_f32_i32_e32 v21, v21
	v_add_f32_e32 v21, v24, v21
	s_waitcnt vmcnt(8)
	v_lshlrev_b32_e32 v24, 16, v26
	v_add_f32_e32 v24, v21, v24
	v_and_b32_e32 v21, 0x7f800000, v24
	v_cmp_ne_u32_e64 s[4:5], s44, v21
                                        ; implicit-def: $vgpr21
	s_and_saveexec_b64 s[8:9], s[4:5]
	s_xor_b64 s[4:5], exec, s[8:9]
; %bb.57:                               ;   in Loop: Header=BB240_13 Depth=1
	v_bfe_u32 v21, v24, 16, 1
	v_add3_u32 v21, v24, v21, s14
                                        ; implicit-def: $vgpr24
; %bb.58:                               ;   in Loop: Header=BB240_13 Depth=1
	s_andn2_saveexec_b64 s[8:9], s[4:5]
; %bb.59:                               ;   in Loop: Header=BB240_13 Depth=1
	v_or_b32_e32 v21, 0x10000, v24
	v_cmp_eq_u32_sdwa s[4:5], v24, v91 src0_sel:WORD_0 src1_sel:DWORD
	s_nop 1
	v_cndmask_b32_e64 v21, v21, v24, s[4:5]
; %bb.60:                               ;   in Loop: Header=BB240_13 Depth=1
	s_or_b64 exec, exec, s[8:9]
	v_mov_b32_e32 v89, v91
	s_waitcnt lgkmcnt(0)
	v_lshl_add_u64 v[26:27], v[88:89], 1, s[22:23]
	global_store_short_d16_hi v[26:27], v21, off
	s_or_b64 exec, exec, s[6:7]
	v_cmp_ne_u32_e64 s[4:5], 0, v85
	s_and_saveexec_b64 s[8:9], s[4:5]
	s_cbranch_execz .LBB240_49
.LBB240_61:                             ;   in Loop: Header=BB240_13 Depth=1
	v_cvt_f32_i32_e32 v17, v17
	v_add_f32_e32 v17, v20, v17
	s_waitcnt vmcnt(7)
	v_lshlrev_b32_e32 v20, 16, v25
	v_add_f32_e32 v20, v17, v20
	v_and_b32_e32 v17, 0x7f800000, v20
	v_cmp_ne_u32_e64 s[6:7], s44, v17
                                        ; implicit-def: $vgpr17
	s_and_saveexec_b64 s[34:35], s[6:7]
	s_xor_b64 s[6:7], exec, s[34:35]
; %bb.62:                               ;   in Loop: Header=BB240_13 Depth=1
	v_bfe_u32 v17, v20, 16, 1
	v_add3_u32 v17, v20, v17, s14
                                        ; implicit-def: $vgpr20
; %bb.63:                               ;   in Loop: Header=BB240_13 Depth=1
	s_andn2_saveexec_b64 s[34:35], s[6:7]
; %bb.64:                               ;   in Loop: Header=BB240_13 Depth=1
	v_or_b32_e32 v17, 0x10000, v20
	v_cmp_eq_u32_sdwa s[6:7], v20, v91 src0_sel:WORD_0 src1_sel:DWORD
	s_nop 1
	v_cndmask_b32_e64 v17, v17, v20, s[6:7]
; %bb.65:                               ;   in Loop: Header=BB240_13 Depth=1
	s_or_b64 exec, exec, s[34:35]
	v_mov_b32_e32 v95, v91
	s_waitcnt lgkmcnt(0)
	v_lshl_add_u64 v[20:21], v[94:95], 1, s[22:23]
	global_store_short_d16_hi v[20:21], v17, off
	s_or_b64 exec, exec, s[8:9]
	v_cmp_ne_u32_e64 s[6:7], 0, v86
	s_and_saveexec_b64 s[34:35], s[6:7]
	s_cbranch_execz .LBB240_50
.LBB240_66:                             ;   in Loop: Header=BB240_13 Depth=1
	v_cvt_f32_i32_e32 v14, v14
	v_add_f32_e32 v14, v16, v14
	s_waitcnt vmcnt(6)
	v_lshlrev_b32_e32 v16, 16, v23
	v_add_f32_e32 v16, v14, v16
	v_and_b32_e32 v14, 0x7f800000, v16
	v_cmp_ne_u32_e64 s[8:9], s44, v14
                                        ; implicit-def: $vgpr14
	s_and_saveexec_b64 s[36:37], s[8:9]
	s_xor_b64 s[8:9], exec, s[36:37]
; %bb.67:                               ;   in Loop: Header=BB240_13 Depth=1
	v_bfe_u32 v14, v16, 16, 1
	v_add3_u32 v14, v16, v14, s14
                                        ; implicit-def: $vgpr16
; %bb.68:                               ;   in Loop: Header=BB240_13 Depth=1
	s_andn2_saveexec_b64 s[36:37], s[8:9]
; %bb.69:                               ;   in Loop: Header=BB240_13 Depth=1
	v_or_b32_e32 v14, 0x10000, v16
	v_cmp_eq_u32_sdwa s[8:9], v16, v91 src0_sel:WORD_0 src1_sel:DWORD
	s_nop 1
	v_cndmask_b32_e64 v14, v14, v16, s[8:9]
; %bb.70:                               ;   in Loop: Header=BB240_13 Depth=1
	s_or_b64 exec, exec, s[36:37]
	v_mov_b32_e32 v93, v91
	s_waitcnt lgkmcnt(0)
	v_lshl_add_u64 v[16:17], v[92:93], 1, s[22:23]
	global_store_short_d16_hi v[16:17], v14, off
	s_or_b64 exec, exec, s[34:35]
	v_add_u32_e32 v90, s15, v88
	s_and_saveexec_b64 s[34:35], vcc
	s_cbranch_execz .LBB240_51
.LBB240_71:                             ;   in Loop: Header=BB240_13 Depth=1
	v_cvt_f32_i32_e32 v11, v11
	v_add_f32_e32 v11, v13, v11
	s_waitcnt vmcnt(5)
	v_lshlrev_b32_e32 v13, 16, v22
	v_add_f32_e32 v13, v11, v13
	v_and_b32_e32 v11, 0x7f800000, v13
	v_cmp_ne_u32_e64 s[8:9], s44, v11
                                        ; implicit-def: $vgpr11
	s_and_saveexec_b64 s[36:37], s[8:9]
	s_xor_b64 s[8:9], exec, s[36:37]
; %bb.72:                               ;   in Loop: Header=BB240_13 Depth=1
	v_bfe_u32 v11, v13, 16, 1
	v_add3_u32 v11, v13, v11, s14
                                        ; implicit-def: $vgpr13
; %bb.73:                               ;   in Loop: Header=BB240_13 Depth=1
	s_andn2_saveexec_b64 s[36:37], s[8:9]
; %bb.74:                               ;   in Loop: Header=BB240_13 Depth=1
	v_or_b32_e32 v11, 0x10000, v13
	v_cmp_eq_u32_sdwa s[8:9], v13, v91 src0_sel:WORD_0 src1_sel:DWORD
	s_nop 1
	v_cndmask_b32_e64 v11, v11, v13, s[8:9]
; %bb.75:                               ;   in Loop: Header=BB240_13 Depth=1
	s_or_b64 exec, exec, s[36:37]
	s_waitcnt lgkmcnt(0)
	v_lshl_add_u64 v[16:17], v[90:91], 1, s[22:23]
	global_store_short_d16_hi v[16:17], v11, off
	s_or_b64 exec, exec, s[34:35]
	s_and_saveexec_b64 s[34:35], s[4:5]
	s_cbranch_execz .LBB240_52
.LBB240_76:                             ;   in Loop: Header=BB240_13 Depth=1
	v_cvt_f32_i32_e32 v8, v8
	s_waitcnt vmcnt(4)
	v_lshlrev_b32_e32 v11, 16, v19
	v_add_f32_e32 v8, v12, v8
	v_add_f32_e32 v11, v8, v11
	v_and_b32_e32 v8, 0x7f800000, v11
	v_cmp_ne_u32_e64 s[8:9], s44, v8
                                        ; implicit-def: $vgpr8
	s_and_saveexec_b64 s[36:37], s[8:9]
	s_xor_b64 s[8:9], exec, s[36:37]
; %bb.77:                               ;   in Loop: Header=BB240_13 Depth=1
	v_bfe_u32 v8, v11, 16, 1
	v_add3_u32 v8, v11, v8, s14
                                        ; implicit-def: $vgpr11
; %bb.78:                               ;   in Loop: Header=BB240_13 Depth=1
	s_andn2_saveexec_b64 s[36:37], s[8:9]
; %bb.79:                               ;   in Loop: Header=BB240_13 Depth=1
	v_or_b32_e32 v8, 0x10000, v11
	v_cmp_eq_u32_sdwa s[8:9], v11, v91 src0_sel:WORD_0 src1_sel:DWORD
	s_nop 1
	v_cndmask_b32_e64 v8, v8, v11, s[8:9]
; %bb.80:                               ;   in Loop: Header=BB240_13 Depth=1
	s_or_b64 exec, exec, s[36:37]
	v_add_u32_e32 v12, 1, v90
	v_mov_b32_e32 v13, v91
	s_waitcnt lgkmcnt(0)
	v_lshl_add_u64 v[12:13], v[12:13], 1, s[22:23]
	global_store_short_d16_hi v[12:13], v8, off
	s_or_b64 exec, exec, s[34:35]
	s_and_saveexec_b64 s[34:35], s[6:7]
	s_cbranch_execz .LBB240_53
.LBB240_81:                             ;   in Loop: Header=BB240_13 Depth=1
	v_cvt_f32_i32_e32 v8, v10
	v_add_f32_e32 v7, v7, v8
	s_waitcnt vmcnt(3)
	v_lshlrev_b32_e32 v8, 16, v18
	v_add_f32_e32 v8, v7, v8
	v_and_b32_e32 v7, 0x7f800000, v8
	v_cmp_ne_u32_e64 s[8:9], s44, v7
                                        ; implicit-def: $vgpr7
	s_and_saveexec_b64 s[36:37], s[8:9]
	s_xor_b64 s[8:9], exec, s[36:37]
; %bb.82:                               ;   in Loop: Header=BB240_13 Depth=1
	v_bfe_u32 v7, v8, 16, 1
	v_add3_u32 v7, v8, v7, s14
                                        ; implicit-def: $vgpr8
; %bb.83:                               ;   in Loop: Header=BB240_13 Depth=1
	s_andn2_saveexec_b64 s[36:37], s[8:9]
; %bb.84:                               ;   in Loop: Header=BB240_13 Depth=1
	v_or_b32_e32 v7, 0x10000, v8
	v_cmp_eq_u32_sdwa s[8:9], v8, v91 src0_sel:WORD_0 src1_sel:DWORD
	s_nop 1
	v_cndmask_b32_e64 v7, v7, v8, s[8:9]
; %bb.85:                               ;   in Loop: Header=BB240_13 Depth=1
	s_or_b64 exec, exec, s[36:37]
	v_add_u32_e32 v10, 2, v90
	v_mov_b32_e32 v11, v91
	s_waitcnt lgkmcnt(0)
	v_lshl_add_u64 v[10:11], v[10:11], 1, s[22:23]
	global_store_short_d16_hi v[10:11], v7, off
	s_or_b64 exec, exec, s[34:35]
	v_add_u32_e32 v90, s15, v90
	s_and_saveexec_b64 s[8:9], vcc
	s_cbranch_execz .LBB240_54
.LBB240_86:                             ;   in Loop: Header=BB240_13 Depth=1
	v_cvt_f32_i32_e32 v5, v5
	v_add_f32_e32 v4, v4, v5
	s_waitcnt vmcnt(2)
	v_lshlrev_b32_e32 v5, 16, v15
	v_add_f32_e32 v5, v4, v5
	v_and_b32_e32 v4, 0x7f800000, v5
	v_cmp_ne_u32_e32 vcc, s44, v4
                                        ; implicit-def: $vgpr4
	s_and_saveexec_b64 s[34:35], vcc
	s_xor_b64 s[34:35], exec, s[34:35]
; %bb.87:                               ;   in Loop: Header=BB240_13 Depth=1
	v_bfe_u32 v4, v5, 16, 1
	v_add3_u32 v4, v5, v4, s14
                                        ; implicit-def: $vgpr5
; %bb.88:                               ;   in Loop: Header=BB240_13 Depth=1
	s_andn2_saveexec_b64 s[34:35], s[34:35]
; %bb.89:                               ;   in Loop: Header=BB240_13 Depth=1
	v_or_b32_e32 v4, 0x10000, v5
	v_cmp_eq_u32_sdwa vcc, v5, v91 src0_sel:WORD_0 src1_sel:DWORD
	s_nop 1
	v_cndmask_b32_e32 v4, v4, v5, vcc
; %bb.90:                               ;   in Loop: Header=BB240_13 Depth=1
	s_or_b64 exec, exec, s[34:35]
	s_waitcnt lgkmcnt(0)
	v_lshl_add_u64 v[10:11], v[90:91], 1, s[22:23]
	global_store_short_d16_hi v[10:11], v4, off
	s_or_b64 exec, exec, s[8:9]
	s_and_saveexec_b64 s[8:9], s[4:5]
	s_cbranch_execz .LBB240_55
.LBB240_91:                             ;   in Loop: Header=BB240_13 Depth=1
	v_cvt_f32_i32_e32 v3, v3
	v_add_f32_e32 v2, v2, v3
	s_waitcnt vmcnt(1)
	v_lshlrev_b32_e32 v3, 16, v9
	v_add_f32_e32 v3, v2, v3
	v_and_b32_e32 v2, 0x7f800000, v3
	v_cmp_ne_u32_e32 vcc, s44, v2
                                        ; implicit-def: $vgpr2
	s_and_saveexec_b64 s[4:5], vcc
	s_xor_b64 s[4:5], exec, s[4:5]
; %bb.92:                               ;   in Loop: Header=BB240_13 Depth=1
	v_bfe_u32 v2, v3, 16, 1
	v_add3_u32 v2, v3, v2, s14
                                        ; implicit-def: $vgpr3
; %bb.93:                               ;   in Loop: Header=BB240_13 Depth=1
	s_andn2_saveexec_b64 s[4:5], s[4:5]
; %bb.94:                               ;   in Loop: Header=BB240_13 Depth=1
	v_or_b32_e32 v2, 0x10000, v3
	v_cmp_eq_u32_sdwa vcc, v3, v91 src0_sel:WORD_0 src1_sel:DWORD
	s_nop 1
	v_cndmask_b32_e32 v2, v2, v3, vcc
; %bb.95:                               ;   in Loop: Header=BB240_13 Depth=1
	s_or_b64 exec, exec, s[4:5]
	v_add_u32_e32 v4, 1, v90
	v_mov_b32_e32 v5, v91
	s_waitcnt lgkmcnt(0)
	v_lshl_add_u64 v[4:5], v[4:5], 1, s[22:23]
	global_store_short_d16_hi v[4:5], v2, off
	s_or_b64 exec, exec, s[8:9]
	s_and_b64 exec, exec, s[6:7]
	s_cbranch_execz .LBB240_101
.LBB240_96:                             ;   in Loop: Header=BB240_13 Depth=1
	v_cvt_f32_i32_e32 v1, v1
	v_add_f32_e32 v0, v0, v1
	s_waitcnt vmcnt(0)
	v_lshlrev_b32_e32 v1, 16, v6
	v_add_f32_e32 v1, v0, v1
	v_and_b32_e32 v0, 0x7f800000, v1
	v_cmp_ne_u32_e32 vcc, s44, v0
                                        ; implicit-def: $vgpr0
	s_and_saveexec_b64 s[4:5], vcc
	s_xor_b64 s[4:5], exec, s[4:5]
; %bb.97:                               ;   in Loop: Header=BB240_13 Depth=1
	v_bfe_u32 v0, v1, 16, 1
	v_add3_u32 v0, v1, v0, s14
                                        ; implicit-def: $vgpr1
; %bb.98:                               ;   in Loop: Header=BB240_13 Depth=1
	s_andn2_saveexec_b64 s[4:5], s[4:5]
; %bb.99:                               ;   in Loop: Header=BB240_13 Depth=1
	v_or_b32_e32 v0, 0x10000, v1
	v_cmp_eq_u32_sdwa vcc, v1, v91 src0_sel:WORD_0 src1_sel:DWORD
	s_nop 1
	v_cndmask_b32_e32 v0, v0, v1, vcc
; %bb.100:                              ;   in Loop: Header=BB240_13 Depth=1
	s_or_b64 exec, exec, s[4:5]
	v_add_u32_e32 v90, 2, v90
	s_waitcnt lgkmcnt(0)
	v_lshl_add_u64 v[2:3], v[90:91], 1, s[22:23]
	global_store_short_d16_hi v[2:3], v0, off
.LBB240_101:                            ;   in Loop: Header=BB240_13 Depth=1
	s_or_b64 exec, exec, s[30:31]
	v_add_u32_e32 v88, s39, v88
	v_add_u32_e32 v0, 3, v88
	v_cmp_gt_u32_e32 vcc, s15, v88
	v_cmp_le_u32_e64 s[4:5], s15, v0
	s_and_b64 s[4:5], vcc, s[4:5]
	s_and_saveexec_b64 s[6:7], s[4:5]
	s_cbranch_execz .LBB240_12
; %bb.102:                              ;   in Loop: Header=BB240_13 Depth=1
	v_cmp_ne_u32_e32 vcc, s11, v88
	s_and_saveexec_b64 s[8:9], vcc
	s_cbranch_execz .LBB240_11
; %bb.103:                              ;   in Loop: Header=BB240_13 Depth=1
	v_subrev_u32_e32 v0, s11, v88
	v_cmp_lt_u32_e32 vcc, 1, v0
	s_mov_b64 s[30:31], 0
	s_mov_b64 s[34:35], 0
	v_cndmask_b32_e32 v0, 1, v0, vcc
.LBB240_104:                            ;   Parent Loop BB240_13 Depth=1
                                        ; =>  This Inner Loop Header: Depth=2
	s_cmp_lg_u32 s34, 2
	s_cselect_b64 vcc, -1, 0
	s_cmp_lg_u32 s34, 1
	v_cndmask_b32_e32 v86, 0, v86, vcc
	s_cselect_b64 vcc, -1, 0
	s_cmp_lg_u32 s34, 0
	v_cndmask_b32_e32 v85, 0, v85, vcc
	s_cselect_b64 vcc, -1, 0
	s_add_u32 s34, s34, 1
	s_addc_u32 s35, s35, 0
	v_cmp_eq_u32_e64 s[4:5], s34, v0
	s_or_b64 s[30:31], s[4:5], s[30:31]
	v_cndmask_b32_e32 v84, 0, v84, vcc
	s_andn2_b64 exec, exec, s[30:31]
	s_cbranch_execnz .LBB240_104
; %bb.105:                              ;   in Loop: Header=BB240_13 Depth=1
	s_or_b64 exec, exec, s[30:31]
	s_branch .LBB240_11
.LBB240_106:
	s_endpgm
	.section	.rodata,"a",@progbits
	.p2align	6, 0x0
	.amdhsa_kernel _Z12wvSplitK_hf_I14__hip_bfloat16Li64ELi3ELi16ELi8ELi2ELi3EEviiiiiiPKT_S3_S3_PS1_ii
		.amdhsa_group_segment_fixed_size 65536
		.amdhsa_private_segment_fixed_size 0
		.amdhsa_kernarg_size 64
		.amdhsa_user_sgpr_count 2
		.amdhsa_user_sgpr_dispatch_ptr 0
		.amdhsa_user_sgpr_queue_ptr 0
		.amdhsa_user_sgpr_kernarg_segment_ptr 1
		.amdhsa_user_sgpr_dispatch_id 0
		.amdhsa_user_sgpr_kernarg_preload_length 0
		.amdhsa_user_sgpr_kernarg_preload_offset 0
		.amdhsa_user_sgpr_private_segment_size 0
		.amdhsa_uses_dynamic_stack 0
		.amdhsa_enable_private_segment 0
		.amdhsa_system_sgpr_workgroup_id_x 1
		.amdhsa_system_sgpr_workgroup_id_y 0
		.amdhsa_system_sgpr_workgroup_id_z 0
		.amdhsa_system_sgpr_workgroup_info 0
		.amdhsa_system_vgpr_workitem_id 1
		.amdhsa_next_free_vgpr 110
		.amdhsa_next_free_sgpr 45
		.amdhsa_accum_offset 112
		.amdhsa_reserve_vcc 1
		.amdhsa_float_round_mode_32 0
		.amdhsa_float_round_mode_16_64 0
		.amdhsa_float_denorm_mode_32 3
		.amdhsa_float_denorm_mode_16_64 3
		.amdhsa_dx10_clamp 1
		.amdhsa_ieee_mode 1
		.amdhsa_fp16_overflow 0
		.amdhsa_tg_split 0
		.amdhsa_exception_fp_ieee_invalid_op 0
		.amdhsa_exception_fp_denorm_src 0
		.amdhsa_exception_fp_ieee_div_zero 0
		.amdhsa_exception_fp_ieee_overflow 0
		.amdhsa_exception_fp_ieee_underflow 0
		.amdhsa_exception_fp_ieee_inexact 0
		.amdhsa_exception_int_div_zero 0
	.end_amdhsa_kernel
	.section	.text._Z12wvSplitK_hf_I14__hip_bfloat16Li64ELi3ELi16ELi8ELi2ELi3EEviiiiiiPKT_S3_S3_PS1_ii,"axG",@progbits,_Z12wvSplitK_hf_I14__hip_bfloat16Li64ELi3ELi16ELi8ELi2ELi3EEviiiiiiPKT_S3_S3_PS1_ii,comdat
.Lfunc_end240:
	.size	_Z12wvSplitK_hf_I14__hip_bfloat16Li64ELi3ELi16ELi8ELi2ELi3EEviiiiiiPKT_S3_S3_PS1_ii, .Lfunc_end240-_Z12wvSplitK_hf_I14__hip_bfloat16Li64ELi3ELi16ELi8ELi2ELi3EEviiiiiiPKT_S3_S3_PS1_ii
                                        ; -- End function
	.section	.AMDGPU.csdata,"",@progbits
; Kernel info:
; codeLenInByte = 5056
; NumSgprs: 51
; NumVgprs: 110
; NumAgprs: 0
; TotalNumVgprs: 110
; ScratchSize: 0
; MemoryBound: 1
; FloatMode: 240
; IeeeMode: 1
; LDSByteSize: 65536 bytes/workgroup (compile time only)
; SGPRBlocks: 6
; VGPRBlocks: 13
; NumSGPRsForWavesPerEU: 51
; NumVGPRsForWavesPerEU: 110
; AccumOffset: 112
; Occupancy: 4
; WaveLimiterHint : 0
; COMPUTE_PGM_RSRC2:SCRATCH_EN: 0
; COMPUTE_PGM_RSRC2:USER_SGPR: 2
; COMPUTE_PGM_RSRC2:TRAP_HANDLER: 0
; COMPUTE_PGM_RSRC2:TGID_X_EN: 1
; COMPUTE_PGM_RSRC2:TGID_Y_EN: 0
; COMPUTE_PGM_RSRC2:TGID_Z_EN: 0
; COMPUTE_PGM_RSRC2:TIDIG_COMP_CNT: 1
; COMPUTE_PGM_RSRC3_GFX90A:ACCUM_OFFSET: 27
; COMPUTE_PGM_RSRC3_GFX90A:TG_SPLIT: 0
	.section	.text._Z16wvSplitK_hf_big_I14__hip_bfloat16Li64ELi3ELi16ELi8ELi2ELi3EEviiiiiiPKT_S3_S3_PS1_ii,"axG",@progbits,_Z16wvSplitK_hf_big_I14__hip_bfloat16Li64ELi3ELi16ELi8ELi2ELi3EEviiiiiiPKT_S3_S3_PS1_ii,comdat
	.protected	_Z16wvSplitK_hf_big_I14__hip_bfloat16Li64ELi3ELi16ELi8ELi2ELi3EEviiiiiiPKT_S3_S3_PS1_ii ; -- Begin function _Z16wvSplitK_hf_big_I14__hip_bfloat16Li64ELi3ELi16ELi8ELi2ELi3EEviiiiiiPKT_S3_S3_PS1_ii
	.globl	_Z16wvSplitK_hf_big_I14__hip_bfloat16Li64ELi3ELi16ELi8ELi2ELi3EEviiiiiiPKT_S3_S3_PS1_ii
	.p2align	8
	.type	_Z16wvSplitK_hf_big_I14__hip_bfloat16Li64ELi3ELi16ELi8ELi2ELi3EEviiiiiiPKT_S3_S3_PS1_ii,@function
_Z16wvSplitK_hf_big_I14__hip_bfloat16Li64ELi3ELi16ELi8ELi2ELi3EEviiiiiiPKT_S3_S3_PS1_ii: ; @_Z16wvSplitK_hf_big_I14__hip_bfloat16Li64ELi3ELi16ELi8ELi2ELi3EEviiiiiiPKT_S3_S3_PS1_ii
; %bb.0:
	s_load_dwordx2 s[8:9], s[0:1], 0x38
	v_bfe_u32 v1, v0, 10, 10
	s_waitcnt lgkmcnt(0)
	v_cmp_gt_u32_e32 vcc, s8, v1
	s_and_saveexec_b64 s[4:5], vcc
	s_cbranch_execz .LBB241_94
; %bb.1:
	s_load_dwordx4 s[20:23], s[0:1], 0x0
	s_mul_i32 s2, s2, s8
	v_add_u32_e32 v2, s2, v1
	v_lshl_add_u32 v88, v2, 1, v2
	s_mov_b32 s4, 1
	v_add_u32_e32 v2, 3, v88
	s_mov_b32 s6, s4
	s_waitcnt lgkmcnt(0)
	v_cmp_gt_u32_e32 vcc, s23, v88
	v_cmp_le_u32_e64 s[2:3], s23, v2
	s_mov_b32 s5, s4
	v_mov_b32_e32 v86, s6
	s_and_b64 s[10:11], vcc, s[2:3]
	v_mov_b32_e32 v85, s5
	v_mov_b32_e32 v84, s4
	s_and_saveexec_b64 s[2:3], s[10:11]
	s_cbranch_execz .LBB241_7
; %bb.2:
	s_add_i32 s7, s23, -3
	v_mov_b32_e32 v86, s6
	v_cmp_ne_u32_e32 vcc, s7, v88
	v_mov_b32_e32 v85, s5
	v_mov_b32_e32 v84, s4
	s_and_saveexec_b64 s[10:11], vcc
	s_cbranch_execz .LBB241_6
; %bb.3:
	v_subrev_u32_e32 v2, s7, v88
	v_cmp_lt_u32_e32 vcc, 1, v2
	s_mov_b64 s[12:13], 0
	s_mov_b64 s[14:15], 0
	v_cndmask_b32_e32 v2, 1, v2, vcc
	s_mov_b32 s5, s4
	s_mov_b32 s6, s4
.LBB241_4:                              ; =>This Inner Loop Header: Depth=1
	s_cmp_lg_u32 s14, 2
	s_cselect_b32 s6, s6, 0
	s_cmp_lg_u32 s14, 1
	s_cselect_b32 s5, s5, 0
	;; [unrolled: 2-line block ×3, first 2 shown]
	s_add_u32 s14, s14, 1
	s_addc_u32 s15, s15, 0
	v_cmp_eq_u32_e32 vcc, s14, v2
	v_mov_b32_e32 v86, s6
	s_or_b64 s[12:13], vcc, s[12:13]
	v_mov_b32_e32 v85, s5
	v_mov_b32_e32 v84, s4
	s_andn2_b64 exec, exec, s[12:13]
	s_cbranch_execnz .LBB241_4
; %bb.5:
	s_or_b64 exec, exec, s[12:13]
	v_mov_b32_e32 v88, s7
.LBB241_6:
	s_or_b64 exec, exec, s[10:11]
.LBB241_7:
	s_or_b64 exec, exec, s[2:3]
	s_mul_i32 s46, s8, 3
	s_abs_i32 s2, s46
	v_cvt_f32_u32_e32 v2, s2
	s_sub_i32 s5, 0, s2
	s_abs_i32 s4, s23
	s_ashr_i32 s3, s23, 31
	v_rcp_iflag_f32_e32 v2, v2
	s_nop 0
	v_mul_f32_e32 v2, 0x4f7ffffe, v2
	v_cvt_u32_f32_e32 v2, v2
	s_nop 0
	v_readfirstlane_b32 s6, v2
	s_mul_i32 s5, s5, s6
	s_mul_hi_u32 s5, s6, s5
	s_add_i32 s6, s6, s5
	s_mul_hi_u32 s5, s4, s6
	s_mul_i32 s5, s5, s2
	s_sub_i32 s4, s4, s5
	s_sub_i32 s5, s4, s2
	s_cmp_ge_u32 s4, s2
	s_cselect_b32 s4, s5, s4
	s_sub_i32 s5, s4, s2
	s_cmp_ge_u32 s4, s2
	s_cselect_b32 s2, s5, s4
	s_xor_b32 s2, s2, s3
	s_sub_i32 s2, s2, s3
	s_add_i32 s3, s46, s23
	s_sub_i32 s3, s3, s2
	s_cmp_eq_u32 s2, 0
	s_cselect_b32 s33, s23, s3
	v_cmp_gt_u32_e32 vcc, s33, v88
	s_and_b64 exec, exec, vcc
	s_cbranch_execz .LBB241_94
; %bb.8:
	s_load_dwordx8 s[12:19], s[0:1], 0x10
	s_min_u32 s42, s22, 0x2800
	s_cmp_lg_u32 s20, 0
	s_cselect_b64 s[2:3], -1, 0
	s_cmp_lg_u32 s22, 0
	s_cselect_b64 s[4:5], -1, 0
	s_lshl_b32 s43, s8, 9
	s_add_i32 s44, s20, -8
	s_add_i32 s45, s23, -1
	s_waitcnt lgkmcnt(0)
	s_cmp_lg_u64 s[18:19], 0
	s_cselect_b64 s[28:29], -1, 0
	s_abs_i32 s6, s13
	v_cvt_f32_u32_e32 v2, s12
	v_cvt_f32_u32_e32 v3, s6
	s_sub_i32 s7, 0, s12
	s_mul_i32 s46, s46, s9
	v_rcp_iflag_f32_e32 v2, v2
	v_rcp_iflag_f32_e32 v3, v3
	s_add_i32 s13, s23, -3
	s_load_dwordx2 s[24:25], s[0:1], 0x30
	v_mul_f32_e32 v2, 0x4f7ffffe, v2
	v_mul_f32_e32 v3, 0x4f7ffffe, v3
	v_cvt_u32_f32_e32 v2, v2
	v_cvt_u32_f32_e32 v3, v3
	v_and_b32_e32 v0, 0x3ff, v0
	v_lshlrev_b32_e32 v87, 3, v0
	v_mul_lo_u32 v4, s7, v2
	s_sub_i32 s7, 0, s6
	v_readfirstlane_b32 s9, v3
	s_mul_i32 s7, s7, s9
	s_mul_hi_u32 s7, s9, s7
	s_add_i32 s9, s9, s7
	s_sub_i32 s7, 1, s6
	s_cmp_lt_u32 s6, 2
	s_cselect_b32 s7, s7, 1
	s_sub_i32 s10, s7, s6
	s_cmp_ge_u32 s7, s6
	s_cselect_b32 s47, s10, s7
	s_lshr_b32 s7, s9, 31
	s_mul_i32 s7, s7, s6
	s_sub_i32 s7, 2, s7
	s_sub_i32 s9, s7, s6
	s_cmp_ge_u32 s7, s6
	s_cselect_b32 s7, s9, s7
	v_cmp_eq_u32_e64 s[0:1], 63, v0
	s_sub_i32 s9, s7, s6
	v_lshlrev_b32_e32 v0, 4, v0
	s_cmp_ge_u32 s7, s6
	v_lshl_add_u32 v99, v1, 10, v0
	v_cndmask_b32_e64 v0, 0, 1, s[2:3]
	v_mul_hi_u32 v4, v2, v4
	s_cselect_b32 s48, s9, s7
	s_waitcnt lgkmcnt(0)
	s_add_u32 s30, s24, 2
	v_lshl_add_u32 v100, v1, 9, v87
	v_cmp_ne_u32_e64 s[2:3], 1, v0
	v_cndmask_b32_e64 v0, 0, 1, s[4:5]
	s_mov_b64 s[26:27], 0
	v_add_u32_e32 v98, v2, v4
	v_mov_b32_e32 v91, 0
	s_mul_i32 s47, s47, s12
	s_mul_i32 s48, s48, s12
	s_addc_u32 s31, s25, 0
	s_lshl_b32 s49, s42, 2
	s_lshl_b32 s50, s8, 10
	;; [unrolled: 1-line block ×3, first 2 shown]
	v_lshl_add_u32 v101, s22, 1, v100
	v_add_u32_e32 v102, s22, v100
	s_mov_b32 s52, 0x7f800000
	s_movk_i32 s53, 0x7fff
	v_cmp_ne_u32_e64 s[4:5], 1, v0
	s_branch .LBB241_12
.LBB241_9:                              ;   in Loop: Header=BB241_12 Depth=1
	s_or_b64 exec, exec, s[10:11]
	v_mov_b32_e32 v88, s13
.LBB241_10:                             ;   in Loop: Header=BB241_12 Depth=1
	s_or_b64 exec, exec, s[8:9]
.LBB241_11:                             ;   in Loop: Header=BB241_12 Depth=1
	s_or_b64 exec, exec, s[34:35]
	v_cmp_le_u32_e32 vcc, s33, v88
	s_or_b64 s[26:27], vcc, s[26:27]
	s_andn2_b64 exec, exec, s[26:27]
	s_cbranch_execz .LBB241_94
.LBB241_12:                             ; =>This Loop Header: Depth=1
                                        ;     Child Loop BB241_17 Depth 2
                                        ;       Child Loop BB241_22 Depth 3
                                        ;     Child Loop BB241_92 Depth 2
	s_and_b64 vcc, exec, s[2:3]
	v_mov_b32_e32 v3, v91
	v_mov_b32_e32 v2, v91
	;; [unrolled: 1-line block ×5, first 2 shown]
	s_waitcnt vmcnt(0)
	v_mov_b32_e32 v6, v91
	v_mov_b32_e32 v5, v91
	;; [unrolled: 1-line block ×31, first 2 shown]
	s_cbranch_vccnz .LBB241_29
; %bb.13:                               ;   in Loop: Header=BB241_12 Depth=1
	v_min_u32_e32 v0, s45, v88
	v_mul_lo_u32 v90, v0, s21
	v_add_u32_e32 v0, 1, v88
	v_add_u32_e32 v2, 2, v88
	v_min_u32_e32 v0, s45, v0
	v_min_u32_e32 v2, s45, v2
	v_mul_lo_u32 v0, v0, s21
	v_mov_b32_e32 v1, v91
	v_mul_lo_u32 v2, v2, s21
	v_mov_b32_e32 v3, v91
	v_mov_b32_e32 v24, 0
	v_cmp_gt_u32_e64 s[6:7], s23, v88
	s_mov_b32 s36, 0
	v_lshlrev_b64 v[92:93], 1, v[90:91]
	v_lshlrev_b64 v[94:95], 1, v[0:1]
	;; [unrolled: 1-line block ×3, first 2 shown]
	s_mov_b32 s37, 0
	v_mov_b32_e32 v25, v24
	v_mov_b32_e32 v26, v24
	;; [unrolled: 1-line block ×35, first 2 shown]
	s_branch .LBB241_17
.LBB241_14:                             ;   in Loop: Header=BB241_17 Depth=2
	s_or_b64 exec, exec, s[34:35]
.LBB241_15:                             ;   in Loop: Header=BB241_17 Depth=2
	s_or_b64 exec, exec, s[10:11]
	s_waitcnt vmcnt(5) lgkmcnt(2)
	v_mfma_f32_4x4x4_16b_bf16 v[32:35], v[80:81], v[52:53], v[32:35]
	s_waitcnt vmcnt(4)
	v_mfma_f32_4x4x4_16b_bf16 v[28:31], v[80:81], v[48:49], v[28:31]
	s_waitcnt vmcnt(3)
	v_mfma_f32_4x4x4_16b_bf16 v[24:27], v[80:81], v[60:61], v[24:27]
	s_waitcnt lgkmcnt(1)
	v_mfma_f32_4x4x4_16b_bf16 v[20:23], v[76:77], v[52:53], v[20:23]
	v_mfma_f32_4x4x4_16b_bf16 v[16:19], v[76:77], v[48:49], v[16:19]
	;; [unrolled: 1-line block ×3, first 2 shown]
	s_waitcnt lgkmcnt(0)
	v_mfma_f32_4x4x4_16b_bf16 v[8:11], v[72:73], v[52:53], v[8:11]
	v_mfma_f32_4x4x4_16b_bf16 v[4:7], v[72:73], v[48:49], v[4:7]
	v_mfma_f32_4x4x4_16b_bf16 v[0:3], v[72:73], v[60:61], v[0:3]
	v_mfma_f32_4x4x4_16b_bf16 v[32:35], v[82:83], v[54:55], v[32:35]
	v_mfma_f32_4x4x4_16b_bf16 v[28:31], v[82:83], v[50:51], v[28:31]
	v_mfma_f32_4x4x4_16b_bf16 v[24:27], v[82:83], v[62:63], v[24:27]
	v_mfma_f32_4x4x4_16b_bf16 v[20:23], v[78:79], v[54:55], v[20:23]
	v_mfma_f32_4x4x4_16b_bf16 v[16:19], v[78:79], v[50:51], v[16:19]
	v_mfma_f32_4x4x4_16b_bf16 v[12:15], v[78:79], v[62:63], v[12:15]
	v_mfma_f32_4x4x4_16b_bf16 v[8:11], v[74:75], v[54:55], v[8:11]
	v_mfma_f32_4x4x4_16b_bf16 v[4:7], v[74:75], v[50:51], v[4:7]
	v_mfma_f32_4x4x4_16b_bf16 v[0:3], v[74:75], v[62:63], v[0:3]
	s_waitcnt vmcnt(2)
	v_mfma_f32_4x4x4_16b_bf16 v[32:35], v[68:69], v[36:37], v[32:35]
	s_waitcnt vmcnt(1)
	v_mfma_f32_4x4x4_16b_bf16 v[28:31], v[68:69], v[44:45], v[28:31]
	s_waitcnt vmcnt(0)
	v_mfma_f32_4x4x4_16b_bf16 v[24:27], v[68:69], v[40:41], v[24:27]
	v_mfma_f32_4x4x4_16b_bf16 v[20:23], v[64:65], v[36:37], v[20:23]
	v_mfma_f32_4x4x4_16b_bf16 v[16:19], v[64:65], v[44:45], v[16:19]
	;; [unrolled: 1-line block ×15, first 2 shown]
.LBB241_16:                             ;   in Loop: Header=BB241_17 Depth=2
	s_or_b64 exec, exec, s[8:9]
	s_addk_i32 s37, 0x400
	s_cmp_ge_u32 s37, s20
	s_cbranch_scc1 .LBB241_29
.LBB241_17:                             ;   Parent Loop BB241_12 Depth=1
                                        ; =>  This Loop Header: Depth=2
                                        ;       Child Loop BB241_22 Depth 3
	s_cmp_eq_u32 s37, 0
	s_cselect_b64 s[8:9], -1, 0
	s_add_i32 s10, s36, s42
	s_cmp_eq_u32 s37, s10
	s_cselect_b64 s[34:35], -1, 0
	s_or_b64 s[34:35], s[8:9], s[34:35]
	s_andn2_b64 vcc, exec, s[34:35]
	s_cbranch_vccz .LBB241_19
; %bb.18:                               ;   in Loop: Header=BB241_17 Depth=2
	s_and_saveexec_b64 s[8:9], s[6:7]
	s_cbranch_execz .LBB241_16
	s_branch .LBB241_26
.LBB241_19:                             ;   in Loop: Header=BB241_17 Depth=2
	s_and_b64 s[8:9], s[8:9], exec
	s_cselect_b32 s36, s36, s10
	s_and_b64 vcc, exec, s[4:5]
	s_barrier
	s_cbranch_vccnz .LBB241_25
; %bb.20:                               ;   in Loop: Header=BB241_17 Depth=2
	v_add_u32_e32 v36, s36, v101
	v_add_u32_e32 v37, s36, v102
	;; [unrolled: 1-line block ×3, first 2 shown]
	s_mov_b32 s38, 0
	s_mov_b64 s[10:11], 0
	v_mov_b32_e32 v39, v99
                                        ; implicit-def: $sgpr34_sgpr35
	s_branch .LBB241_22
.LBB241_21:                             ;   in Loop: Header=BB241_22 Depth=3
	s_or_b64 exec, exec, s[8:9]
	s_and_b64 s[8:9], exec, s[34:35]
	s_or_b64 s[10:11], s[8:9], s[10:11]
	s_andn2_b64 exec, exec, s[10:11]
	s_cbranch_execz .LBB241_24
.LBB241_22:                             ;   Parent Loop BB241_12 Depth=1
                                        ;     Parent Loop BB241_17 Depth=2
                                        ; =>    This Inner Loop Header: Depth=3
	v_add_u32_e32 v40, s38, v100
	v_add_u32_e32 v90, s38, v38
	v_cmp_gt_u32_e32 vcc, s22, v90
	v_cmp_gt_u32_e64 s[8:9], s42, v40
	s_and_b64 s[40:41], s[8:9], vcc
	s_or_b64 s[34:35], s[34:35], exec
	s_and_saveexec_b64 s[8:9], s[40:41]
	s_cbranch_execz .LBB241_21
; %bb.23:                               ;   in Loop: Header=BB241_22 Depth=3
	v_lshl_add_u64 v[40:41], v[90:91], 1, s[16:17]
	v_add_u32_e32 v90, s38, v37
	v_lshl_add_u64 v[44:45], v[90:91], 1, s[16:17]
	v_add_u32_e32 v90, s38, v36
	global_load_dwordx4 v[40:43], v[40:41], off
	s_nop 0
	global_load_dwordx4 v[44:47], v[44:45], off
	v_lshl_add_u64 v[48:49], v[90:91], 1, s[16:17]
	global_load_dwordx4 v[48:51], v[48:49], off
	s_add_i32 s38, s38, s43
	s_cmp_ge_u32 s38, s42
	s_cselect_b64 s[40:41], -1, 0
	s_andn2_b64 s[34:35], s[34:35], exec
	s_and_b64 s[40:41], s[40:41], exec
	v_add_u32_e32 v52, s51, v39
	v_add_u32_e32 v53, s49, v39
	s_or_b64 s[34:35], s[34:35], s[40:41]
	s_waitcnt vmcnt(2)
	ds_write_b128 v39, v[40:43]
	v_add_u32_e32 v39, s50, v39
	s_waitcnt vmcnt(1)
	ds_write2_b64 v52, v[44:45], v[46:47] offset1:1
	s_waitcnt vmcnt(0)
	ds_write2_b32 v53, v48, v49 offset1:1
	ds_write2_b32 v53, v50, v51 offset0:2 offset1:3
	s_branch .LBB241_21
.LBB241_24:                             ;   in Loop: Header=BB241_17 Depth=2
	s_or_b64 exec, exec, s[10:11]
.LBB241_25:                             ;   in Loop: Header=BB241_17 Depth=2
	s_waitcnt lgkmcnt(0)
	s_barrier
	s_and_saveexec_b64 s[8:9], s[6:7]
	s_cbranch_execz .LBB241_16
.LBB241_26:                             ;   in Loop: Header=BB241_17 Depth=2
	v_add_u32_e32 v89, s37, v87
	v_min_u32_e32 v90, s44, v89
	v_lshl_add_u64 v[36:37], v[90:91], 1, s[14:15]
	v_add_u32_e32 v103, 0x200, v89
	v_lshl_add_u64 v[38:39], v[36:37], 0, v[92:93]
	v_lshl_add_u64 v[40:41], v[36:37], 0, v[94:95]
	v_min_u32_e32 v90, s44, v103
	global_load_dwordx4 v[52:55], v[38:39], off nt
	global_load_dwordx4 v[48:51], v[40:41], off nt
	v_lshl_add_u64 v[40:41], v[90:91], 1, s[14:15]
	v_lshl_add_u64 v[36:37], v[36:37], 0, v[96:97]
	;; [unrolled: 1-line block ×5, first 2 shown]
	global_load_dwordx4 v[60:63], v[36:37], off nt
	s_nop 0
	global_load_dwordx4 v[36:39], v[38:39], off nt
	s_nop 0
	;; [unrolled: 2-line block ×3, first 2 shown]
	global_load_dwordx4 v[40:43], v[40:41], off nt
	v_cmp_gt_u32_e32 vcc, s20, v89
	v_mov_b32_e32 v58, 0
	v_mov_b32_e32 v59, 0
	v_mov_b32_e32 v56, 0
	v_mov_b32_e32 v57, 0
	v_mov_b32_e32 v74, 0
	v_mov_b32_e32 v75, 0
	v_mov_b32_e32 v72, 0
	v_mov_b32_e32 v73, 0
	v_mov_b32_e32 v66, 0
	v_mov_b32_e32 v67, 0
	v_mov_b32_e32 v64, 0
	v_mov_b32_e32 v65, 0
	v_mov_b32_e32 v78, 0
	v_mov_b32_e32 v79, 0
	v_mov_b32_e32 v76, 0
	v_mov_b32_e32 v77, 0
	v_mov_b32_e32 v70, 0
	v_mov_b32_e32 v71, 0
	v_mov_b32_e32 v68, 0
	v_mov_b32_e32 v69, 0
	v_mov_b32_e32 v82, 0
	v_mov_b32_e32 v83, 0
	v_mov_b32_e32 v80, 0
	v_mov_b32_e32 v81, 0
	s_and_saveexec_b64 s[10:11], vcc
	s_cbranch_execz .LBB241_15
; %bb.27:                               ;   in Loop: Header=BB241_17 Depth=2
	v_subrev_u32_e32 v56, s36, v89
	v_lshlrev_b32_e32 v104, 1, v56
	v_add_u32_e32 v90, s51, v104
	v_add_u32_e32 v89, s51, v90
	ds_read_b128 v[80:83], v104
	ds_read_b128 v[76:79], v90
	;; [unrolled: 1-line block ×3, first 2 shown]
	v_cmp_gt_u32_e32 vcc, s20, v103
	v_mov_b32_e32 v69, 0
	v_mov_b32_e32 v68, 0
	;; [unrolled: 1-line block ×12, first 2 shown]
	s_and_saveexec_b64 s[34:35], vcc
	s_cbranch_execz .LBB241_14
; %bb.28:                               ;   in Loop: Header=BB241_17 Depth=2
	ds_read_b128 v[68:71], v104 offset:1024
	ds_read_b128 v[64:67], v90 offset:1024
	;; [unrolled: 1-line block ×3, first 2 shown]
	s_branch .LBB241_14
.LBB241_29:                             ;   in Loop: Header=BB241_12 Depth=1
	v_cmp_le_u32_e32 vcc, s23, v88
	s_and_saveexec_b64 s[6:7], vcc
	s_xor_b64 s[6:7], exec, s[6:7]
; %bb.30:                               ;   in Loop: Header=BB241_12 Depth=1
	v_add_u32_e32 v88, s46, v88
                                        ; implicit-def: $vgpr3
                                        ; implicit-def: $vgpr7
                                        ; implicit-def: $vgpr11
                                        ; implicit-def: $vgpr15
                                        ; implicit-def: $vgpr19
                                        ; implicit-def: $vgpr23
                                        ; implicit-def: $vgpr35
                                        ; implicit-def: $vgpr31
                                        ; implicit-def: $vgpr27
; %bb.31:                               ;   in Loop: Header=BB241_12 Depth=1
	s_andn2_saveexec_b64 s[34:35], s[6:7]
	s_cbranch_execz .LBB241_11
; %bb.32:                               ;   in Loop: Header=BB241_12 Depth=1
	v_cvt_i32_f32_e32 v33, v33
	v_cvt_i32_f32_e32 v34, v34
	;; [unrolled: 1-line block ×4, first 2 shown]
	v_cvt_f32_i32_dpp v33, v33 row_shl:1 row_mask:0xf bank_mask:0xf bound_ctrl:1
	v_cvt_f32_i32_dpp v34, v34 row_shl:2 row_mask:0xf bank_mask:0xf bound_ctrl:1
	;; [unrolled: 1-line block ×3, first 2 shown]
	v_cvt_i32_f32_e32 v30, v30
	v_add_f32_e32 v32, v32, v33
	v_add_f32_e32 v32, v32, v34
	;; [unrolled: 1-line block ×3, first 2 shown]
	v_cvt_i32_f32_e32 v31, v31
	v_cvt_i32_f32_e32 v33, v32
	v_cvt_f32_i32_dpp v29, v29 row_shl:1 row_mask:0xf bank_mask:0xf bound_ctrl:1
	v_cvt_f32_i32_dpp v30, v30 row_shl:2 row_mask:0xf bank_mask:0xf bound_ctrl:1
	;; [unrolled: 1-line block ×4, first 2 shown]
	v_add_f32_e32 v28, v28, v29
	v_add_f32_e32 v28, v28, v30
	;; [unrolled: 1-line block ×4, first 2 shown]
	v_cvt_i32_f32_e32 v29, v28
	v_cvt_i32_f32_e32 v31, v30
	;; [unrolled: 1-line block ×4, first 2 shown]
	v_cvt_f32_i32_dpp v29, v29 row_shl:4 row_mask:0xf bank_mask:0xf bound_ctrl:1
	v_cvt_f32_i32_dpp v31, v31 row_shl:8 row_mask:0xf bank_mask:0xf bound_ctrl:1
	v_cvt_i32_f32_e32 v27, v27
	v_cvt_f32_i32_dpp v25, v25 row_shl:1 row_mask:0xf bank_mask:0xf bound_ctrl:1
	v_add_f32_e32 v28, v28, v29
	v_add_f32_e32 v30, v30, v31
	v_cvt_i32_f32_e32 v29, v28
	v_cvt_i32_f32_e32 v30, v30
	v_cvt_f32_i32_dpp v26, v26 row_shl:2 row_mask:0xf bank_mask:0xf bound_ctrl:1
	v_cvt_f32_i32_dpp v27, v27 row_shl:3 row_mask:0xf bank_mask:0xf bound_ctrl:1
	;; [unrolled: 1-line block ×3, first 2 shown]
	v_cvt_f32_i32_dpp v30, v30 row_shr:15 row_mask:0xf bank_mask:0xf bound_ctrl:1
	v_add_f32_e32 v24, v24, v25
	v_cvt_i32_f32_e32 v21, v21
	v_add_f32_e32 v24, v24, v26
	v_cvt_i32_f32_e32 v22, v22
	;; [unrolled: 2-line block ×4, first 2 shown]
	v_cvt_i32_f32_e32 v26, v25
	v_cvt_i32_f32_e32 v28, v28
	v_cvt_f32_i32_dpp v21, v21 row_shl:1 row_mask:0xf bank_mask:0xf bound_ctrl:1
	v_cvt_f32_i32_dpp v22, v22 row_shl:2 row_mask:0xf bank_mask:0xf bound_ctrl:1
	v_cvt_f32_i32_dpp v29, v29 row_bcast:15 row_mask:0xf bank_mask:0xf bound_ctrl:1
	v_cvt_f32_i32_dpp v23, v23 row_shl:3 row_mask:0xf bank_mask:0xf bound_ctrl:1
	v_cvt_f32_i32_dpp v26, v26 row_shl:4 row_mask:0xf bank_mask:0xf bound_ctrl:1
	v_cvt_f32_i32_dpp v28, v28 row_shr:15 row_mask:0xf bank_mask:0xf bound_ctrl:1
	v_add_f32_e32 v20, v20, v21
	v_add_f32_e32 v20, v20, v22
	;; [unrolled: 1-line block ×4, first 2 shown]
	v_cvt_i32_f32_e32 v27, v24
	v_add_f32_e32 v25, v25, v26
	v_cvt_i32_f32_e32 v20, v22
	v_cvt_i32_f32_e32 v29, v28
	v_cvt_i32_f32_e32 v26, v25
	v_mov_b32_dpp v21, v27 row_bcast:31 row_mask:0xf bank_mask:0xf bound_ctrl:1
	v_cvt_f32_i32_dpp v27, v20 row_shl:4 row_mask:0xf bank_mask:0xf bound_ctrl:1
	v_cvt_f32_i32_dpp v23, v29 row_bcast:15 row_mask:0xf bank_mask:0xf bound_ctrl:1
	v_cvt_f32_i32_dpp v26, v26 row_shl:8 row_mask:0xf bank_mask:0xf bound_ctrl:1
	v_cvt_i32_f32_e32 v17, v17
	v_add_f32_e32 v22, v22, v27
	v_cvt_i32_f32_e32 v18, v18
	v_add_f32_e32 v20, v28, v23
	v_add_f32_e32 v23, v25, v26
	v_cvt_i32_f32_e32 v19, v19
	v_cvt_i32_f32_e32 v25, v22
	v_cvt_f32_i32_dpp v17, v17 row_shl:1 row_mask:0xf bank_mask:0xf bound_ctrl:1
	v_cvt_f32_i32_dpp v18, v18 row_shl:2 row_mask:0xf bank_mask:0xf bound_ctrl:1
	;; [unrolled: 1-line block ×4, first 2 shown]
	v_add_f32_e32 v16, v16, v17
	v_add_f32_e32 v16, v16, v18
	;; [unrolled: 1-line block ×4, first 2 shown]
	v_cvt_i32_f32_e32 v17, v16
	v_cvt_i32_f32_e32 v19, v19
	;; [unrolled: 1-line block ×5, first 2 shown]
	v_cvt_f32_i32_dpp v17, v17 row_shl:4 row_mask:0xf bank_mask:0xf bound_ctrl:1
	v_cvt_i32_f32_e32 v22, v20
	v_cvt_f32_i32_dpp v19, v19 row_shr:15 row_mask:0xf bank_mask:0xf bound_ctrl:1
	v_cvt_f32_i32_dpp v13, v13 row_shl:1 row_mask:0xf bank_mask:0xf bound_ctrl:1
	v_cvt_f32_i32_dpp v14, v14 row_shl:2 row_mask:0xf bank_mask:0xf bound_ctrl:1
	;; [unrolled: 1-line block ×3, first 2 shown]
	v_cvt_i32_f32_e32 v5, v5
	v_add_f32_e32 v25, v16, v17
	v_mov_b32_dpp v17, v22 row_bcast:31 row_mask:0xf bank_mask:0xf bound_ctrl:1
	v_cvt_i32_f32_e32 v22, v19
	v_add_f32_e32 v12, v12, v13
	v_cvt_i32_f32_e32 v9, v9
	v_cvt_i32_f32_e32 v1, v1
	v_add_f32_e32 v12, v12, v14
	v_cvt_i32_f32_e32 v10, v10
	v_cvt_i32_f32_e32 v6, v6
	v_cvt_i32_f32_e32 v2, v2
	v_add_f32_e32 v15, v12, v15
	v_cvt_i32_f32_e32 v11, v11
	v_cvt_f32_i32_dpp v5, v5 row_shl:1 row_mask:0xf bank_mask:0xf bound_ctrl:1
	v_cvt_i32_f32_e32 v7, v7
	v_cvt_i32_f32_e32 v3, v3
	v_cvt_f32_i32_dpp v22, v22 row_bcast:15 row_mask:0xf bank_mask:0xf bound_ctrl:1
	v_cvt_i32_f32_e32 v12, v15
	v_cvt_f32_i32_dpp v9, v9 row_shl:1 row_mask:0xf bank_mask:0xf bound_ctrl:1
	v_cvt_f32_i32_dpp v1, v1 row_shl:1 row_mask:0xf bank_mask:0xf bound_ctrl:1
	;; [unrolled: 1-line block ×6, first 2 shown]
	v_add_f32_e32 v4, v4, v5
	v_cvt_f32_i32_dpp v5, v7 row_shl:3 row_mask:0xf bank_mask:0xf bound_ctrl:1
	v_cvt_f32_i32_dpp v3, v3 row_shl:3 row_mask:0xf bank_mask:0xf bound_ctrl:1
	v_add_f32_e32 v13, v19, v22
	v_cvt_f32_i32_dpp v19, v12 row_shl:4 row_mask:0xf bank_mask:0xf bound_ctrl:1
	v_add_f32_e32 v8, v8, v9
	v_add_f32_e32 v0, v0, v1
	;; [unrolled: 1-line block ×9, first 2 shown]
	v_cvt_i32_f32_e32 v10, v9
	v_cvt_i32_f32_e32 v5, v4
	;; [unrolled: 1-line block ×5, first 2 shown]
	v_cvt_f32_i32_dpp v10, v10 row_shl:4 row_mask:0xf bank_mask:0xf bound_ctrl:1
	v_cvt_f32_i32_dpp v3, v5 row_shl:4 row_mask:0xf bank_mask:0xf bound_ctrl:1
	;; [unrolled: 1-line block ×3, first 2 shown]
	v_cvt_f32_i32_dpp v18, v23 row_shr:15 row_mask:0xf bank_mask:0xf bound_ctrl:1
	v_cvt_f32_i32_dpp v19, v19 row_shl:8 row_mask:0xf bank_mask:0xf bound_ctrl:1
	v_add_f32_e32 v9, v9, v10
	v_add_f32_e32 v3, v4, v3
	;; [unrolled: 1-line block ×3, first 2 shown]
	v_cvt_i32_f32_e32 v23, v18
	v_cvt_i32_f32_e32 v16, v25
	v_add_f32_e32 v15, v15, v19
	v_cvt_i32_f32_e32 v10, v9
	v_cvt_i32_f32_e32 v4, v3
	;; [unrolled: 1-line block ×4, first 2 shown]
	v_cvt_f32_i32_dpp v23, v23 row_bcast:15 row_mask:0xf bank_mask:0xf bound_ctrl:1
	v_cvt_f32_i32_dpp v26, v16 row_shl:8 row_mask:0xf bank_mask:0xf bound_ctrl:1
	v_cvt_f32_i32_dpp v2, v10 row_shl:8 row_mask:0xf bank_mask:0xf bound_ctrl:1
	;; [unrolled: 1-line block ×4, first 2 shown]
	v_cvt_f32_i32_dpp v5, v15 row_shr:15 row_mask:0xf bank_mask:0xf bound_ctrl:1
	v_add_f32_e32 v16, v18, v23
	v_add_f32_e32 v23, v25, v26
	;; [unrolled: 1-line block ×5, first 2 shown]
	v_cvt_i32_f32_e32 v23, v23
	v_cvt_i32_f32_e32 v2, v2
	;; [unrolled: 1-line block ×5, first 2 shown]
	v_cvt_f32_i32_dpp v23, v23 row_shr:15 row_mask:0xf bank_mask:0xf bound_ctrl:1
	v_cvt_f32_i32_dpp v2, v2 row_shr:15 row_mask:0xf bank_mask:0xf bound_ctrl:1
	v_cvt_f32_i32_dpp v1, v6 row_bcast:15 row_mask:0xf bank_mask:0xf bound_ctrl:1
	v_cvt_f32_i32_dpp v3, v3 row_shr:15 row_mask:0xf bank_mask:0xf bound_ctrl:1
	v_cvt_f32_i32_dpp v0, v0 row_shr:15 row_mask:0xf bank_mask:0xf bound_ctrl:1
	v_cvt_i32_f32_e32 v18, v16
	v_cvt_i32_f32_e32 v25, v23
	;; [unrolled: 1-line block ×3, first 2 shown]
	v_add_f32_e32 v7, v5, v1
	v_cvt_i32_f32_e32 v1, v3
	v_cvt_i32_f32_e32 v5, v0
	v_mov_b32_dpp v14, v18 row_bcast:31 row_mask:0xf bank_mask:0xf bound_ctrl:1
	v_cvt_f32_i32_dpp v18, v25 row_bcast:15 row_mask:0xf bank_mask:0xf bound_ctrl:1
	v_cvt_f32_i32_dpp v4, v4 row_bcast:15 row_mask:0xf bank_mask:0xf bound_ctrl:1
	;; [unrolled: 1-line block ×4, first 2 shown]
	v_add_f32_e32 v12, v23, v18
	v_add_f32_e32 v4, v2, v4
	;; [unrolled: 1-line block ×4, first 2 shown]
	v_cvt_i32_f32_e32 v22, v13
	v_cvt_i32_f32_e32 v18, v12
	;; [unrolled: 1-line block ×6, first 2 shown]
	v_mov_b32_dpp v11, v22 row_bcast:31 row_mask:0xf bank_mask:0xf bound_ctrl:1
	v_mov_b32_dpp v8, v18 row_bcast:31 row_mask:0xf bank_mask:0xf bound_ctrl:1
	;; [unrolled: 1-line block ×6, first 2 shown]
	s_and_saveexec_b64 s[36:37], s[0:1]
	s_cbranch_execz .LBB241_89
; %bb.33:                               ;   in Loop: Header=BB241_12 Depth=1
	s_andn2_b64 vcc, exec, s[28:29]
	v_mov_b32_e32 v26, 0
	v_add_u32_e32 v90, 2, v88
	v_mov_b32_e32 v25, 0
	v_mov_b32_e32 v23, 0
	;; [unrolled: 1-line block ×8, first 2 shown]
	s_cbranch_vccnz .LBB241_35
; %bb.34:                               ;   in Loop: Header=BB241_12 Depth=1
	v_mul_hi_u32 v6, v88, v98
	v_mul_lo_u32 v6, v6, s12
	v_sub_u32_e32 v6, v88, v6
	v_subrev_u32_e32 v9, s12, v6
	v_cmp_le_u32_e32 vcc, s12, v6
	v_mov_b32_e32 v19, v91
	v_mov_b32_e32 v27, v91
	v_cndmask_b32_e32 v6, v6, v9, vcc
	v_subrev_u32_e32 v9, s12, v6
	v_cmp_le_u32_e32 vcc, s12, v6
	v_mov_b32_e32 v23, v91
	v_mov_b32_e32 v33, v91
	v_cndmask_b32_e32 v18, v6, v9, vcc
	v_add_u32_e32 v6, 1, v88
	v_mul_hi_u32 v9, v6, v98
	v_mul_lo_u32 v9, v9, s12
	v_sub_u32_e32 v6, v6, v9
	v_subrev_u32_e32 v9, s12, v6
	v_cmp_le_u32_e32 vcc, s12, v6
	v_add_u32_e32 v26, s47, v18
	v_lshl_add_u64 v[28:29], v[18:19], 1, s[18:19]
	v_cndmask_b32_e32 v6, v6, v9, vcc
	v_subrev_u32_e32 v9, s12, v6
	v_cmp_le_u32_e32 vcc, s12, v6
	v_lshl_add_u64 v[36:37], v[26:27], 1, s[18:19]
	v_add_u32_e32 v18, s48, v18
	v_cndmask_b32_e32 v22, v6, v9, vcc
	v_mul_hi_u32 v6, v90, v98
	v_mul_lo_u32 v6, v6, s12
	v_sub_u32_e32 v6, v90, v6
	v_subrev_u32_e32 v9, s12, v6
	v_cmp_le_u32_e32 vcc, s12, v6
	v_add_u32_e32 v26, s47, v22
	v_lshl_add_u64 v[38:39], v[26:27], 1, s[18:19]
	v_cndmask_b32_e32 v6, v6, v9, vcc
	v_subrev_u32_e32 v9, s12, v6
	v_cmp_le_u32_e32 vcc, s12, v6
	v_lshl_add_u64 v[42:43], v[18:19], 1, s[18:19]
	v_add_u32_e32 v18, s48, v22
	v_cndmask_b32_e32 v32, v6, v9, vcc
	v_add_u32_e32 v26, s47, v32
	v_lshl_add_u64 v[30:31], v[22:23], 1, s[18:19]
	v_lshl_add_u64 v[34:35], v[32:33], 1, s[18:19]
	;; [unrolled: 1-line block ×4, first 2 shown]
	global_load_ushort v26, v[28:29], off
	global_load_ushort v25, v[30:31], off
	global_load_ushort v23, v[34:35], off
	global_load_ushort v22, v[36:37], off
	global_load_ushort v19, v[38:39], off
	global_load_ushort v18, v[40:41], off
	global_load_ushort v15, v[42:43], off
	global_load_ushort v9, v[44:45], off
	v_add_u32_e32 v28, s48, v32
	v_mov_b32_e32 v29, v91
	v_lshl_add_u64 v[28:29], v[28:29], 1, s[18:19]
	global_load_ushort v6, v[28:29], off
.LBB241_35:                             ;   in Loop: Header=BB241_12 Depth=1
	v_cmp_ne_u32_e32 vcc, 0, v84
	s_and_saveexec_b64 s[8:9], vcc
	s_cbranch_execnz .LBB241_44
; %bb.36:                               ;   in Loop: Header=BB241_12 Depth=1
	s_or_b64 exec, exec, s[8:9]
	v_cmp_ne_u32_e64 s[6:7], 0, v85
	s_and_saveexec_b64 s[10:11], s[6:7]
	s_cbranch_execnz .LBB241_49
.LBB241_37:                             ;   in Loop: Header=BB241_12 Depth=1
	s_or_b64 exec, exec, s[10:11]
	v_cmp_ne_u32_e64 s[8:9], 0, v86
	s_and_saveexec_b64 s[38:39], s[8:9]
	s_cbranch_execnz .LBB241_54
.LBB241_38:                             ;   in Loop: Header=BB241_12 Depth=1
	s_or_b64 exec, exec, s[38:39]
	v_add_u32_e32 v90, s23, v88
	s_and_saveexec_b64 s[38:39], vcc
	s_cbranch_execnz .LBB241_59
.LBB241_39:                             ;   in Loop: Header=BB241_12 Depth=1
	s_or_b64 exec, exec, s[38:39]
	s_and_saveexec_b64 s[38:39], s[6:7]
	s_cbranch_execnz .LBB241_64
.LBB241_40:                             ;   in Loop: Header=BB241_12 Depth=1
	s_or_b64 exec, exec, s[38:39]
	s_and_saveexec_b64 s[38:39], s[8:9]
	s_cbranch_execnz .LBB241_69
.LBB241_41:                             ;   in Loop: Header=BB241_12 Depth=1
	s_or_b64 exec, exec, s[38:39]
	v_add_u32_e32 v90, s23, v90
	s_and_saveexec_b64 s[10:11], vcc
	s_cbranch_execnz .LBB241_74
.LBB241_42:                             ;   in Loop: Header=BB241_12 Depth=1
	s_or_b64 exec, exec, s[10:11]
	s_and_saveexec_b64 s[10:11], s[6:7]
	s_cbranch_execnz .LBB241_79
.LBB241_43:                             ;   in Loop: Header=BB241_12 Depth=1
	s_or_b64 exec, exec, s[10:11]
	s_and_b64 exec, exec, s[8:9]
	s_cbranch_execnz .LBB241_84
	s_branch .LBB241_89
.LBB241_44:                             ;   in Loop: Header=BB241_12 Depth=1
	v_cvt_f32_i32_e32 v21, v21
	v_add_f32_e32 v21, v24, v21
	s_waitcnt vmcnt(8)
	v_lshlrev_b32_e32 v24, 16, v26
	v_add_f32_e32 v24, v21, v24
	v_and_b32_e32 v21, 0x7f800000, v24
	v_cmp_ne_u32_e64 s[6:7], s52, v21
                                        ; implicit-def: $vgpr21
	s_and_saveexec_b64 s[10:11], s[6:7]
	s_xor_b64 s[6:7], exec, s[10:11]
; %bb.45:                               ;   in Loop: Header=BB241_12 Depth=1
	v_bfe_u32 v21, v24, 16, 1
	v_add3_u32 v21, v24, v21, s53
                                        ; implicit-def: $vgpr24
; %bb.46:                               ;   in Loop: Header=BB241_12 Depth=1
	s_andn2_saveexec_b64 s[10:11], s[6:7]
; %bb.47:                               ;   in Loop: Header=BB241_12 Depth=1
	v_or_b32_e32 v21, 0x10000, v24
	v_cmp_eq_u32_sdwa s[6:7], v24, v91 src0_sel:WORD_0 src1_sel:DWORD
	s_nop 1
	v_cndmask_b32_e64 v21, v21, v24, s[6:7]
; %bb.48:                               ;   in Loop: Header=BB241_12 Depth=1
	s_or_b64 exec, exec, s[10:11]
	v_mov_b32_e32 v89, v91
	v_lshl_add_u64 v[26:27], v[88:89], 1, s[24:25]
	global_store_short_d16_hi v[26:27], v21, off
	s_or_b64 exec, exec, s[8:9]
	v_cmp_ne_u32_e64 s[6:7], 0, v85
	s_and_saveexec_b64 s[10:11], s[6:7]
	s_cbranch_execz .LBB241_37
.LBB241_49:                             ;   in Loop: Header=BB241_12 Depth=1
	v_cvt_f32_i32_e32 v17, v17
	v_add_f32_e32 v17, v20, v17
	s_waitcnt vmcnt(7)
	v_lshlrev_b32_e32 v20, 16, v25
	v_add_f32_e32 v20, v17, v20
	v_and_b32_e32 v17, 0x7f800000, v20
	v_cmp_ne_u32_e64 s[8:9], s52, v17
                                        ; implicit-def: $vgpr17
	s_and_saveexec_b64 s[38:39], s[8:9]
	s_xor_b64 s[8:9], exec, s[38:39]
; %bb.50:                               ;   in Loop: Header=BB241_12 Depth=1
	v_bfe_u32 v17, v20, 16, 1
	v_add3_u32 v17, v20, v17, s53
                                        ; implicit-def: $vgpr20
; %bb.51:                               ;   in Loop: Header=BB241_12 Depth=1
	s_andn2_saveexec_b64 s[38:39], s[8:9]
; %bb.52:                               ;   in Loop: Header=BB241_12 Depth=1
	v_or_b32_e32 v17, 0x10000, v20
	v_cmp_eq_u32_sdwa s[8:9], v20, v91 src0_sel:WORD_0 src1_sel:DWORD
	s_nop 1
	v_cndmask_b32_e64 v17, v17, v20, s[8:9]
; %bb.53:                               ;   in Loop: Header=BB241_12 Depth=1
	s_or_b64 exec, exec, s[38:39]
	v_mov_b32_e32 v89, v91
	v_lshl_add_u64 v[20:21], v[88:89], 1, s[30:31]
	global_store_short_d16_hi v[20:21], v17, off
	s_or_b64 exec, exec, s[10:11]
	v_cmp_ne_u32_e64 s[8:9], 0, v86
	s_and_saveexec_b64 s[38:39], s[8:9]
	s_cbranch_execz .LBB241_38
.LBB241_54:                             ;   in Loop: Header=BB241_12 Depth=1
	v_cvt_f32_i32_e32 v14, v14
	v_add_f32_e32 v14, v16, v14
	s_waitcnt vmcnt(6)
	v_lshlrev_b32_e32 v16, 16, v23
	v_add_f32_e32 v16, v14, v16
	v_and_b32_e32 v14, 0x7f800000, v16
	v_cmp_ne_u32_e64 s[10:11], s52, v14
                                        ; implicit-def: $vgpr14
	s_and_saveexec_b64 s[40:41], s[10:11]
	s_xor_b64 s[10:11], exec, s[40:41]
; %bb.55:                               ;   in Loop: Header=BB241_12 Depth=1
	v_bfe_u32 v14, v16, 16, 1
	v_add3_u32 v14, v16, v14, s53
                                        ; implicit-def: $vgpr16
; %bb.56:                               ;   in Loop: Header=BB241_12 Depth=1
	s_andn2_saveexec_b64 s[40:41], s[10:11]
; %bb.57:                               ;   in Loop: Header=BB241_12 Depth=1
	v_or_b32_e32 v14, 0x10000, v16
	v_cmp_eq_u32_sdwa s[10:11], v16, v91 src0_sel:WORD_0 src1_sel:DWORD
	s_nop 1
	v_cndmask_b32_e64 v14, v14, v16, s[10:11]
; %bb.58:                               ;   in Loop: Header=BB241_12 Depth=1
	s_or_b64 exec, exec, s[40:41]
	v_lshl_add_u64 v[16:17], v[90:91], 1, s[24:25]
	global_store_short_d16_hi v[16:17], v14, off
	s_or_b64 exec, exec, s[38:39]
	v_add_u32_e32 v90, s23, v88
	s_and_saveexec_b64 s[38:39], vcc
	s_cbranch_execz .LBB241_39
.LBB241_59:                             ;   in Loop: Header=BB241_12 Depth=1
	v_cvt_f32_i32_e32 v11, v11
	v_add_f32_e32 v11, v13, v11
	s_waitcnt vmcnt(5)
	v_lshlrev_b32_e32 v13, 16, v22
	v_add_f32_e32 v13, v11, v13
	v_and_b32_e32 v11, 0x7f800000, v13
	v_cmp_ne_u32_e64 s[10:11], s52, v11
                                        ; implicit-def: $vgpr11
	s_and_saveexec_b64 s[40:41], s[10:11]
	s_xor_b64 s[10:11], exec, s[40:41]
; %bb.60:                               ;   in Loop: Header=BB241_12 Depth=1
	v_bfe_u32 v11, v13, 16, 1
	v_add3_u32 v11, v13, v11, s53
                                        ; implicit-def: $vgpr13
; %bb.61:                               ;   in Loop: Header=BB241_12 Depth=1
	s_andn2_saveexec_b64 s[40:41], s[10:11]
; %bb.62:                               ;   in Loop: Header=BB241_12 Depth=1
	v_or_b32_e32 v11, 0x10000, v13
	v_cmp_eq_u32_sdwa s[10:11], v13, v91 src0_sel:WORD_0 src1_sel:DWORD
	s_nop 1
	v_cndmask_b32_e64 v11, v11, v13, s[10:11]
; %bb.63:                               ;   in Loop: Header=BB241_12 Depth=1
	s_or_b64 exec, exec, s[40:41]
	v_lshl_add_u64 v[16:17], v[90:91], 1, s[24:25]
	global_store_short_d16_hi v[16:17], v11, off
	s_or_b64 exec, exec, s[38:39]
	s_and_saveexec_b64 s[38:39], s[6:7]
	s_cbranch_execz .LBB241_40
.LBB241_64:                             ;   in Loop: Header=BB241_12 Depth=1
	v_cvt_f32_i32_e32 v8, v8
	s_waitcnt vmcnt(4)
	v_lshlrev_b32_e32 v11, 16, v19
	v_add_f32_e32 v8, v12, v8
	v_add_f32_e32 v11, v8, v11
	v_and_b32_e32 v8, 0x7f800000, v11
	v_cmp_ne_u32_e64 s[10:11], s52, v8
                                        ; implicit-def: $vgpr8
	s_and_saveexec_b64 s[40:41], s[10:11]
	s_xor_b64 s[10:11], exec, s[40:41]
; %bb.65:                               ;   in Loop: Header=BB241_12 Depth=1
	v_bfe_u32 v8, v11, 16, 1
	v_add3_u32 v8, v11, v8, s53
                                        ; implicit-def: $vgpr11
; %bb.66:                               ;   in Loop: Header=BB241_12 Depth=1
	s_andn2_saveexec_b64 s[40:41], s[10:11]
; %bb.67:                               ;   in Loop: Header=BB241_12 Depth=1
	v_or_b32_e32 v8, 0x10000, v11
	v_cmp_eq_u32_sdwa s[10:11], v11, v91 src0_sel:WORD_0 src1_sel:DWORD
	s_nop 1
	v_cndmask_b32_e64 v8, v8, v11, s[10:11]
; %bb.68:                               ;   in Loop: Header=BB241_12 Depth=1
	s_or_b64 exec, exec, s[40:41]
	v_add_u32_e32 v12, 1, v90
	v_mov_b32_e32 v13, v91
	v_lshl_add_u64 v[12:13], v[12:13], 1, s[24:25]
	global_store_short_d16_hi v[12:13], v8, off
	s_or_b64 exec, exec, s[38:39]
	s_and_saveexec_b64 s[38:39], s[8:9]
	s_cbranch_execz .LBB241_41
.LBB241_69:                             ;   in Loop: Header=BB241_12 Depth=1
	v_cvt_f32_i32_e32 v8, v10
	v_add_f32_e32 v7, v7, v8
	s_waitcnt vmcnt(3)
	v_lshlrev_b32_e32 v8, 16, v18
	v_add_f32_e32 v8, v7, v8
	v_and_b32_e32 v7, 0x7f800000, v8
	v_cmp_ne_u32_e64 s[10:11], s52, v7
                                        ; implicit-def: $vgpr7
	s_and_saveexec_b64 s[40:41], s[10:11]
	s_xor_b64 s[10:11], exec, s[40:41]
; %bb.70:                               ;   in Loop: Header=BB241_12 Depth=1
	v_bfe_u32 v7, v8, 16, 1
	v_add3_u32 v7, v8, v7, s53
                                        ; implicit-def: $vgpr8
; %bb.71:                               ;   in Loop: Header=BB241_12 Depth=1
	s_andn2_saveexec_b64 s[40:41], s[10:11]
; %bb.72:                               ;   in Loop: Header=BB241_12 Depth=1
	v_or_b32_e32 v7, 0x10000, v8
	v_cmp_eq_u32_sdwa s[10:11], v8, v91 src0_sel:WORD_0 src1_sel:DWORD
	s_nop 1
	v_cndmask_b32_e64 v7, v7, v8, s[10:11]
; %bb.73:                               ;   in Loop: Header=BB241_12 Depth=1
	s_or_b64 exec, exec, s[40:41]
	v_add_u32_e32 v10, 2, v90
	v_mov_b32_e32 v11, v91
	v_lshl_add_u64 v[10:11], v[10:11], 1, s[24:25]
	global_store_short_d16_hi v[10:11], v7, off
	s_or_b64 exec, exec, s[38:39]
	v_add_u32_e32 v90, s23, v90
	s_and_saveexec_b64 s[10:11], vcc
	s_cbranch_execz .LBB241_42
.LBB241_74:                             ;   in Loop: Header=BB241_12 Depth=1
	v_cvt_f32_i32_e32 v5, v5
	v_add_f32_e32 v4, v4, v5
	s_waitcnt vmcnt(2)
	v_lshlrev_b32_e32 v5, 16, v15
	v_add_f32_e32 v5, v4, v5
	v_and_b32_e32 v4, 0x7f800000, v5
	v_cmp_ne_u32_e32 vcc, s52, v4
                                        ; implicit-def: $vgpr4
	s_and_saveexec_b64 s[38:39], vcc
	s_xor_b64 s[38:39], exec, s[38:39]
; %bb.75:                               ;   in Loop: Header=BB241_12 Depth=1
	v_bfe_u32 v4, v5, 16, 1
	v_add3_u32 v4, v5, v4, s53
                                        ; implicit-def: $vgpr5
; %bb.76:                               ;   in Loop: Header=BB241_12 Depth=1
	s_andn2_saveexec_b64 s[38:39], s[38:39]
; %bb.77:                               ;   in Loop: Header=BB241_12 Depth=1
	v_or_b32_e32 v4, 0x10000, v5
	v_cmp_eq_u32_sdwa vcc, v5, v91 src0_sel:WORD_0 src1_sel:DWORD
	s_nop 1
	v_cndmask_b32_e32 v4, v4, v5, vcc
; %bb.78:                               ;   in Loop: Header=BB241_12 Depth=1
	s_or_b64 exec, exec, s[38:39]
	v_lshl_add_u64 v[10:11], v[90:91], 1, s[24:25]
	global_store_short_d16_hi v[10:11], v4, off
	s_or_b64 exec, exec, s[10:11]
	s_and_saveexec_b64 s[10:11], s[6:7]
	s_cbranch_execz .LBB241_43
.LBB241_79:                             ;   in Loop: Header=BB241_12 Depth=1
	v_cvt_f32_i32_e32 v3, v3
	v_add_f32_e32 v2, v2, v3
	s_waitcnt vmcnt(1)
	v_lshlrev_b32_e32 v3, 16, v9
	v_add_f32_e32 v3, v2, v3
	v_and_b32_e32 v2, 0x7f800000, v3
	v_cmp_ne_u32_e32 vcc, s52, v2
                                        ; implicit-def: $vgpr2
	s_and_saveexec_b64 s[6:7], vcc
	s_xor_b64 s[6:7], exec, s[6:7]
; %bb.80:                               ;   in Loop: Header=BB241_12 Depth=1
	v_bfe_u32 v2, v3, 16, 1
	v_add3_u32 v2, v3, v2, s53
                                        ; implicit-def: $vgpr3
; %bb.81:                               ;   in Loop: Header=BB241_12 Depth=1
	s_andn2_saveexec_b64 s[6:7], s[6:7]
; %bb.82:                               ;   in Loop: Header=BB241_12 Depth=1
	v_or_b32_e32 v2, 0x10000, v3
	v_cmp_eq_u32_sdwa vcc, v3, v91 src0_sel:WORD_0 src1_sel:DWORD
	s_nop 1
	v_cndmask_b32_e32 v2, v2, v3, vcc
; %bb.83:                               ;   in Loop: Header=BB241_12 Depth=1
	s_or_b64 exec, exec, s[6:7]
	v_add_u32_e32 v4, 1, v90
	v_mov_b32_e32 v5, v91
	v_lshl_add_u64 v[4:5], v[4:5], 1, s[24:25]
	global_store_short_d16_hi v[4:5], v2, off
	s_or_b64 exec, exec, s[10:11]
	s_and_b64 exec, exec, s[8:9]
	s_cbranch_execz .LBB241_89
.LBB241_84:                             ;   in Loop: Header=BB241_12 Depth=1
	v_cvt_f32_i32_e32 v1, v1
	v_add_f32_e32 v0, v0, v1
	s_waitcnt vmcnt(0)
	v_lshlrev_b32_e32 v1, 16, v6
	v_add_f32_e32 v1, v0, v1
	v_and_b32_e32 v0, 0x7f800000, v1
	v_cmp_ne_u32_e32 vcc, s52, v0
                                        ; implicit-def: $vgpr0
	s_and_saveexec_b64 s[6:7], vcc
	s_xor_b64 s[6:7], exec, s[6:7]
; %bb.85:                               ;   in Loop: Header=BB241_12 Depth=1
	v_bfe_u32 v0, v1, 16, 1
	v_add3_u32 v0, v1, v0, s53
                                        ; implicit-def: $vgpr1
; %bb.86:                               ;   in Loop: Header=BB241_12 Depth=1
	s_andn2_saveexec_b64 s[6:7], s[6:7]
; %bb.87:                               ;   in Loop: Header=BB241_12 Depth=1
	v_or_b32_e32 v0, 0x10000, v1
	v_cmp_eq_u32_sdwa vcc, v1, v91 src0_sel:WORD_0 src1_sel:DWORD
	s_nop 1
	v_cndmask_b32_e32 v0, v0, v1, vcc
; %bb.88:                               ;   in Loop: Header=BB241_12 Depth=1
	s_or_b64 exec, exec, s[6:7]
	v_add_u32_e32 v90, 2, v90
	v_lshl_add_u64 v[2:3], v[90:91], 1, s[24:25]
	global_store_short_d16_hi v[2:3], v0, off
.LBB241_89:                             ;   in Loop: Header=BB241_12 Depth=1
	s_or_b64 exec, exec, s[36:37]
	v_add_u32_e32 v88, s46, v88
	v_add_u32_e32 v0, 3, v88
	v_cmp_gt_u32_e32 vcc, s23, v88
	v_cmp_le_u32_e64 s[6:7], s23, v0
	s_and_b64 s[6:7], vcc, s[6:7]
	s_and_saveexec_b64 s[8:9], s[6:7]
	s_cbranch_execz .LBB241_10
; %bb.90:                               ;   in Loop: Header=BB241_12 Depth=1
	v_cmp_ne_u32_e32 vcc, s13, v88
	s_and_saveexec_b64 s[10:11], vcc
	s_cbranch_execz .LBB241_9
; %bb.91:                               ;   in Loop: Header=BB241_12 Depth=1
	v_subrev_u32_e32 v0, s13, v88
	v_cmp_lt_u32_e32 vcc, 1, v0
	s_mov_b64 s[36:37], 0
	s_mov_b64 s[38:39], 0
	v_cndmask_b32_e32 v0, 1, v0, vcc
.LBB241_92:                             ;   Parent Loop BB241_12 Depth=1
                                        ; =>  This Inner Loop Header: Depth=2
	s_cmp_lg_u32 s38, 2
	s_cselect_b64 vcc, -1, 0
	s_cmp_lg_u32 s38, 1
	v_cndmask_b32_e32 v86, 0, v86, vcc
	s_cselect_b64 vcc, -1, 0
	s_cmp_lg_u32 s38, 0
	v_cndmask_b32_e32 v85, 0, v85, vcc
	s_cselect_b64 vcc, -1, 0
	s_add_u32 s38, s38, 1
	s_addc_u32 s39, s39, 0
	v_cmp_eq_u32_e64 s[6:7], s38, v0
	s_or_b64 s[36:37], s[6:7], s[36:37]
	v_cndmask_b32_e32 v84, 0, v84, vcc
	s_andn2_b64 exec, exec, s[36:37]
	s_cbranch_execnz .LBB241_92
; %bb.93:                               ;   in Loop: Header=BB241_12 Depth=1
	s_or_b64 exec, exec, s[36:37]
	s_branch .LBB241_9
.LBB241_94:
	s_endpgm
	.section	.rodata,"a",@progbits
	.p2align	6, 0x0
	.amdhsa_kernel _Z16wvSplitK_hf_big_I14__hip_bfloat16Li64ELi3ELi16ELi8ELi2ELi3EEviiiiiiPKT_S3_S3_PS1_ii
		.amdhsa_group_segment_fixed_size 65536
		.amdhsa_private_segment_fixed_size 0
		.amdhsa_kernarg_size 64
		.amdhsa_user_sgpr_count 2
		.amdhsa_user_sgpr_dispatch_ptr 0
		.amdhsa_user_sgpr_queue_ptr 0
		.amdhsa_user_sgpr_kernarg_segment_ptr 1
		.amdhsa_user_sgpr_dispatch_id 0
		.amdhsa_user_sgpr_kernarg_preload_length 0
		.amdhsa_user_sgpr_kernarg_preload_offset 0
		.amdhsa_user_sgpr_private_segment_size 0
		.amdhsa_uses_dynamic_stack 0
		.amdhsa_enable_private_segment 0
		.amdhsa_system_sgpr_workgroup_id_x 1
		.amdhsa_system_sgpr_workgroup_id_y 0
		.amdhsa_system_sgpr_workgroup_id_z 0
		.amdhsa_system_sgpr_workgroup_info 0
		.amdhsa_system_vgpr_workitem_id 1
		.amdhsa_next_free_vgpr 105
		.amdhsa_next_free_sgpr 54
		.amdhsa_accum_offset 108
		.amdhsa_reserve_vcc 1
		.amdhsa_float_round_mode_32 0
		.amdhsa_float_round_mode_16_64 0
		.amdhsa_float_denorm_mode_32 3
		.amdhsa_float_denorm_mode_16_64 3
		.amdhsa_dx10_clamp 1
		.amdhsa_ieee_mode 1
		.amdhsa_fp16_overflow 0
		.amdhsa_tg_split 0
		.amdhsa_exception_fp_ieee_invalid_op 0
		.amdhsa_exception_fp_denorm_src 0
		.amdhsa_exception_fp_ieee_div_zero 0
		.amdhsa_exception_fp_ieee_overflow 0
		.amdhsa_exception_fp_ieee_underflow 0
		.amdhsa_exception_fp_ieee_inexact 0
		.amdhsa_exception_int_div_zero 0
	.end_amdhsa_kernel
	.section	.text._Z16wvSplitK_hf_big_I14__hip_bfloat16Li64ELi3ELi16ELi8ELi2ELi3EEviiiiiiPKT_S3_S3_PS1_ii,"axG",@progbits,_Z16wvSplitK_hf_big_I14__hip_bfloat16Li64ELi3ELi16ELi8ELi2ELi3EEviiiiiiPKT_S3_S3_PS1_ii,comdat
.Lfunc_end241:
	.size	_Z16wvSplitK_hf_big_I14__hip_bfloat16Li64ELi3ELi16ELi8ELi2ELi3EEviiiiiiPKT_S3_S3_PS1_ii, .Lfunc_end241-_Z16wvSplitK_hf_big_I14__hip_bfloat16Li64ELi3ELi16ELi8ELi2ELi3EEviiiiiiPKT_S3_S3_PS1_ii
                                        ; -- End function
	.section	.AMDGPU.csdata,"",@progbits
; Kernel info:
; codeLenInByte = 5108
; NumSgprs: 60
; NumVgprs: 105
; NumAgprs: 0
; TotalNumVgprs: 105
; ScratchSize: 0
; MemoryBound: 0
; FloatMode: 240
; IeeeMode: 1
; LDSByteSize: 65536 bytes/workgroup (compile time only)
; SGPRBlocks: 7
; VGPRBlocks: 13
; NumSGPRsForWavesPerEU: 60
; NumVGPRsForWavesPerEU: 105
; AccumOffset: 108
; Occupancy: 4
; WaveLimiterHint : 0
; COMPUTE_PGM_RSRC2:SCRATCH_EN: 0
; COMPUTE_PGM_RSRC2:USER_SGPR: 2
; COMPUTE_PGM_RSRC2:TRAP_HANDLER: 0
; COMPUTE_PGM_RSRC2:TGID_X_EN: 1
; COMPUTE_PGM_RSRC2:TGID_Y_EN: 0
; COMPUTE_PGM_RSRC2:TGID_Z_EN: 0
; COMPUTE_PGM_RSRC2:TIDIG_COMP_CNT: 1
; COMPUTE_PGM_RSRC3_GFX90A:ACCUM_OFFSET: 26
; COMPUTE_PGM_RSRC3_GFX90A:TG_SPLIT: 0
	.section	.text._Z16wvSplitK_hf_sml_I14__hip_bfloat16Li64ELi4ELi16ELi8ELi1ELi3EEviiiiiiPKT_S3_S3_PS1_ii,"axG",@progbits,_Z16wvSplitK_hf_sml_I14__hip_bfloat16Li64ELi4ELi16ELi8ELi1ELi3EEviiiiiiPKT_S3_S3_PS1_ii,comdat
	.protected	_Z16wvSplitK_hf_sml_I14__hip_bfloat16Li64ELi4ELi16ELi8ELi1ELi3EEviiiiiiPKT_S3_S3_PS1_ii ; -- Begin function _Z16wvSplitK_hf_sml_I14__hip_bfloat16Li64ELi4ELi16ELi8ELi1ELi3EEviiiiiiPKT_S3_S3_PS1_ii
	.globl	_Z16wvSplitK_hf_sml_I14__hip_bfloat16Li64ELi4ELi16ELi8ELi1ELi3EEviiiiiiPKT_S3_S3_PS1_ii
	.p2align	8
	.type	_Z16wvSplitK_hf_sml_I14__hip_bfloat16Li64ELi4ELi16ELi8ELi1ELi3EEviiiiiiPKT_S3_S3_PS1_ii,@function
_Z16wvSplitK_hf_sml_I14__hip_bfloat16Li64ELi4ELi16ELi8ELi1ELi3EEviiiiiiPKT_S3_S3_PS1_ii: ; @_Z16wvSplitK_hf_sml_I14__hip_bfloat16Li64ELi4ELi16ELi8ELi1ELi3EEviiiiiiPKT_S3_S3_PS1_ii
; %bb.0:
	s_load_dwordx4 s[4:7], s[0:1], 0x0
	s_load_dwordx2 s[8:9], s[0:1], 0x10
	s_load_dwordx2 s[10:11], s[0:1], 0x28
	v_and_b32_e32 v2, 0x3ff, v0
	v_bfe_u32 v3, v0, 10, 10
	v_lshlrev_b32_e32 v88, 3, v2
	s_waitcnt lgkmcnt(0)
	s_mul_i32 s3, s6, 3
	v_lshl_add_u32 v4, v3, 9, v88
	s_min_u32 s3, s3, 0x8000
	v_cmp_gt_u32_e32 vcc, s3, v4
	s_and_saveexec_b64 s[12:13], vcc
	s_cbranch_execz .LBB242_3
; %bb.1:
	s_load_dwordx2 s[14:15], s[0:1], 0x20
	v_mov_b32_e32 v7, 0
	v_lshlrev_b32_e32 v6, 10, v3
	v_lshlrev_b32_e32 v8, 4, v2
	v_mov_b32_e32 v9, v7
	v_lshl_add_u64 v[0:1], v[6:7], 0, v[8:9]
	s_waitcnt lgkmcnt(0)
	v_lshl_add_u64 v[0:1], s[14:15], 0, v[0:1]
	v_add_u32_e32 v5, v6, v8
	s_mov_b64 s[14:15], 0
	s_mov_b64 s[16:17], 0x4000
.LBB242_2:                              ; =>This Inner Loop Header: Depth=1
	global_load_dwordx4 v[6:9], v[0:1], off
	v_add_u32_e32 v4, 0x2000, v4
	v_cmp_le_u32_e32 vcc, s3, v4
	v_lshl_add_u64 v[0:1], v[0:1], 0, s[16:17]
	s_or_b64 s[14:15], vcc, s[14:15]
	s_waitcnt vmcnt(0)
	ds_write_b128 v5, v[6:9]
	v_add_u32_e32 v5, 0x4000, v5
	s_andn2_b64 exec, exec, s[14:15]
	s_cbranch_execnz .LBB242_2
.LBB242_3:
	s_or_b64 exec, exec, s[12:13]
	s_load_dwordx2 s[16:17], s[0:1], 0x38
	s_waitcnt lgkmcnt(0)
	s_barrier
	v_cmp_gt_u32_e32 vcc, s16, v3
	s_and_saveexec_b64 s[12:13], vcc
	s_cbranch_execz .LBB242_64
; %bb.4:
	s_mul_i32 s2, s2, s16
	v_add_lshl_u32 v72, s2, v3, 2
	v_cmp_gt_u32_e32 vcc, s7, v72
	s_and_b64 exec, exec, vcc
	s_cbranch_execz .LBB242_64
; %bb.5:
	s_cmp_lg_u32 s4, 0
	s_cselect_b64 s[2:3], -1, 0
	s_add_i32 s24, s4, -8
	s_add_i32 s25, s7, -1
	s_cmp_lg_u64 s[10:11], 0
	s_cselect_b64 s[18:19], -1, 0
	s_abs_i32 s21, s9
	v_cvt_f32_u32_e32 v0, s8
	v_cvt_f32_u32_e32 v1, s21
	s_mul_i32 s20, s16, s17
	s_lshl_b32 s9, s20, 2
	v_rcp_iflag_f32_e32 v0, v0
	v_rcp_iflag_f32_e32 v1, v1
	s_sub_i32 s20, 0, s8
	s_load_dwordx2 s[12:13], s[0:1], 0x18
	s_load_dwordx2 s[14:15], s[0:1], 0x30
	v_mul_f32_e32 v0, 0x4f7ffffe, v0
	v_mul_f32_e32 v1, 0x4f7ffffe, v1
	v_cvt_u32_f32_e32 v0, v0
	v_cvt_u32_f32_e32 v1, v1
	v_cmp_eq_u32_e64 s[0:1], 63, v2
	s_mov_b64 s[16:17], 0
	v_mul_lo_u32 v3, s20, v0
	s_sub_i32 s20, 0, s21
	v_readfirstlane_b32 s22, v1
	s_mul_i32 s20, s20, s22
	s_mul_hi_u32 s20, s22, s20
	s_add_i32 s22, s22, s20
	s_sub_i32 s20, 1, s21
	s_cmp_lt_u32 s21, 2
	s_cselect_b32 s20, s20, 1
	s_sub_i32 s23, s20, s21
	s_cmp_ge_u32 s20, s21
	s_cselect_b32 s26, s23, s20
	s_lshr_b32 s20, s22, 31
	s_mul_i32 s20, s20, s21
	s_sub_i32 s20, 2, s20
	s_sub_i32 s22, s20, s21
	s_cmp_ge_u32 s20, s21
	s_cselect_b32 s20, s22, s20
	s_sub_i32 s22, s20, s21
	v_mul_hi_u32 v3, v0, v3
	s_cmp_ge_u32 s20, s21
	v_add_u32_e32 v89, v0, v3
	s_cselect_b32 s27, s22, s20
	v_cndmask_b32_e64 v0, 0, 1, s[2:3]
	v_mov_b32_e32 v75, 0
	s_mul_i32 s26, s26, s8
	s_mul_i32 s27, s27, s8
	s_lshl_b32 s28, s6, 2
	v_lshlrev_b32_e32 v90, 4, v2
	s_lshl_b32 s6, s6, 1
	v_cmp_ne_u32_e64 s[2:3], 1, v0
	s_mov_b32 s29, 0x7f800000
	s_movk_i32 s30, 0x7fff
	s_branch .LBB242_8
.LBB242_6:                              ;   in Loop: Header=BB242_8 Depth=1
	s_or_b64 exec, exec, s[22:23]
	v_add_u32_e32 v74, 3, v74
	v_lshl_add_u64 v[2:3], v[74:75], 1, s[14:15]
	global_store_short_d16_hi v[2:3], v0, off
.LBB242_7:                              ;   in Loop: Header=BB242_8 Depth=1
	s_or_b64 exec, exec, s[20:21]
	v_add_u32_e32 v72, s9, v72
	v_cmp_le_u32_e32 vcc, s7, v72
	s_or_b64 s[16:17], vcc, s[16:17]
	s_andn2_b64 exec, exec, s[16:17]
	s_cbranch_execz .LBB242_64
.LBB242_8:                              ; =>This Loop Header: Depth=1
                                        ;     Child Loop BB242_11 Depth 2
	s_and_b64 vcc, exec, s[2:3]
	v_mov_b32_e32 v7, v75
	v_mov_b32_e32 v6, v75
	;; [unrolled: 1-line block ×48, first 2 shown]
	s_cbranch_vccnz .LBB242_13
; %bb.9:                                ;   in Loop: Header=BB242_8 Depth=1
	v_min_u32_e32 v0, s25, v72
	v_mul_lo_u32 v76, v0, s5
	v_or_b32_e32 v0, 1, v72
	v_min_u32_e32 v0, s25, v0
	v_mul_lo_u32 v78, v0, s5
	v_or_b32_e32 v0, 2, v72
	;; [unrolled: 3-line block ×3, first 2 shown]
	v_min_u32_e32 v0, s25, v0
	v_mov_b32_e32 v16, 0
	v_mov_b32_e32 v77, v75
	v_mov_b32_e32 v79, v75
	v_mov_b32_e32 v81, v75
	v_mul_lo_u32 v82, v0, s5
	v_mov_b32_e32 v83, v75
	s_mov_b32 s22, 0
	v_mov_b32_e32 v73, v90
	v_mov_b32_e32 v17, v16
	;; [unrolled: 1-line block ×48, first 2 shown]
	s_branch .LBB242_11
.LBB242_10:                             ;   in Loop: Header=BB242_11 Depth=2
	s_or_b64 exec, exec, s[20:21]
	s_waitcnt vmcnt(3) lgkmcnt(1)
	v_mfma_f32_4x4x4_16b_bf16 v[44:47], v[68:69], v[56:57], v[44:47]
	s_addk_i32 s22, 0x200
	s_waitcnt vmcnt(2)
	v_mfma_f32_4x4x4_16b_bf16 v[40:43], v[68:69], v[52:53], v[40:43]
	v_add_u32_e32 v73, 0x400, v73
	s_waitcnt vmcnt(1)
	v_mfma_f32_4x4x4_16b_bf16 v[36:39], v[68:69], v[60:61], v[36:39]
	s_cmp_ge_u32 s22, s4
	s_waitcnt vmcnt(0)
	v_mfma_f32_4x4x4_16b_bf16 v[32:35], v[68:69], v[48:49], v[32:35]
	v_mfma_f32_4x4x4_16b_bf16 v[28:31], v[64:65], v[56:57], v[28:31]
	;; [unrolled: 1-line block ×17, first 2 shown]
	s_waitcnt lgkmcnt(0)
	v_mfma_f32_4x4x4_16b_bf16 v[12:15], v[84:85], v[58:59], v[12:15]
	v_mfma_f32_4x4x4_16b_bf16 v[8:11], v[84:85], v[54:55], v[8:11]
	;; [unrolled: 1-line block ×4, first 2 shown]
	s_cbranch_scc1 .LBB242_13
.LBB242_11:                             ;   Parent Loop BB242_8 Depth=1
                                        ; =>  This Inner Loop Header: Depth=2
	v_add_u32_e32 v64, s22, v88
	v_min_u32_e32 v74, s24, v64
	s_waitcnt lgkmcnt(0)
	v_lshl_add_u64 v[48:49], v[74:75], 1, s[12:13]
	v_lshl_add_u64 v[50:51], v[76:77], 1, v[48:49]
	;; [unrolled: 1-line block ×3, first 2 shown]
	global_load_dwordx4 v[56:59], v[50:51], off nt
	s_nop 0
	global_load_dwordx4 v[52:55], v[52:53], off nt
	v_lshl_add_u64 v[50:51], v[80:81], 1, v[48:49]
	v_lshl_add_u64 v[48:49], v[82:83], 1, v[48:49]
	global_load_dwordx4 v[60:63], v[50:51], off nt
	s_nop 0
	global_load_dwordx4 v[48:51], v[48:49], off nt
	v_cmp_gt_u32_e32 vcc, s4, v64
	v_mov_b32_e32 v84, 0
	v_mov_b32_e32 v85, 0
	;; [unrolled: 1-line block ×12, first 2 shown]
	s_and_saveexec_b64 s[20:21], vcc
	s_cbranch_execz .LBB242_10
; %bb.12:                               ;   in Loop: Header=BB242_11 Depth=2
	v_add_u32_e32 v64, s6, v73
	v_add_u32_e32 v74, s28, v73
	ds_read_b128 v[64:67], v64
	ds_read2_b32 v[86:87], v74 offset1:1
	ds_read_b128 v[68:71], v73
	ds_read2_b32 v[84:85], v74 offset0:2 offset1:3
	s_branch .LBB242_10
.LBB242_13:                             ;   in Loop: Header=BB242_8 Depth=1
	; sched_barrier mask(0x00000000)
	v_cvt_i32_f32_e32 v41, v41
	v_cvt_i32_f32_e32 v42, v42
	;; [unrolled: 1-line block ×6, first 2 shown]
	v_cvt_f32_i32_dpp v41, v41 row_shl:1 row_mask:0xf bank_mask:0xf bound_ctrl:1
	v_cvt_f32_i32_dpp v42, v42 row_shl:2 row_mask:0xf bank_mask:0xf bound_ctrl:1
	;; [unrolled: 1-line block ×6, first 2 shown]
	v_add_f32_e32 v40, v40, v41
	v_add_f32_e32 v40, v40, v42
	;; [unrolled: 1-line block ×5, first 2 shown]
	v_cvt_i32_f32_e32 v41, v40
	v_add_f32_e32 v44, v44, v47
	v_cvt_i32_f32_e32 v45, v44
	v_cvt_i32_f32_e32 v37, v37
	v_cvt_f32_i32_dpp v41, v41 row_shl:4 row_mask:0xf bank_mask:0xf bound_ctrl:1
	v_cvt_i32_f32_e32 v38, v38
	v_cvt_f32_i32_dpp v45, v45 row_shl:4 row_mask:0xf bank_mask:0xf bound_ctrl:1
	v_cvt_i32_f32_e32 v39, v39
	v_add_f32_e32 v40, v40, v41
	v_cvt_i32_f32_e32 v41, v40
	v_add_f32_e32 v42, v44, v45
	v_cvt_i32_f32_e32 v43, v42
	v_cvt_f32_i32_dpp v37, v37 row_shl:1 row_mask:0xf bank_mask:0xf bound_ctrl:1
	v_cvt_f32_i32_dpp v38, v38 row_shl:2 row_mask:0xf bank_mask:0xf bound_ctrl:1
	;; [unrolled: 1-line block ×5, first 2 shown]
	v_add_f32_e32 v36, v36, v37
	v_add_f32_e32 v36, v36, v38
	;; [unrolled: 1-line block ×4, first 2 shown]
	v_cvt_i32_f32_e32 v40, v40
	v_cvt_i32_f32_e32 v36, v37
	v_add_f32_e32 v42, v42, v43
	v_cvt_i32_f32_e32 v42, v42
	v_cvt_i32_f32_e32 v33, v33
	;; [unrolled: 1-line block ×3, first 2 shown]
	v_cvt_f32_i32_dpp v39, v40 row_shr:15 row_mask:0xf bank_mask:0xf bound_ctrl:1
	v_cvt_f32_i32_dpp v40, v36 row_shl:4 row_mask:0xf bank_mask:0xf bound_ctrl:1
	v_cvt_i32_f32_e32 v35, v35
	v_cvt_f32_i32_dpp v42, v42 row_shr:15 row_mask:0xf bank_mask:0xf bound_ctrl:1
	v_cvt_f32_i32_dpp v33, v33 row_shl:1 row_mask:0xf bank_mask:0xf bound_ctrl:1
	v_cvt_f32_i32_dpp v34, v34 row_shl:2 row_mask:0xf bank_mask:0xf bound_ctrl:1
	v_add_f32_e32 v37, v37, v40
	v_cvt_f32_i32_dpp v35, v35 row_shl:3 row_mask:0xf bank_mask:0xf bound_ctrl:1
	v_cvt_i32_f32_e32 v40, v37
	v_cvt_i32_f32_e32 v41, v42
	v_add_f32_e32 v32, v32, v33
	v_add_f32_e32 v32, v32, v34
	;; [unrolled: 1-line block ×3, first 2 shown]
	v_cvt_i32_f32_e32 v29, v29
	v_cvt_f32_i32_dpp v40, v40 row_shl:8 row_mask:0xf bank_mask:0xf bound_ctrl:1
	v_cvt_i32_f32_e32 v32, v34
	v_cvt_i32_f32_e32 v30, v30
	v_cvt_f32_i32_dpp v38, v41 row_bcast:15 row_mask:0xf bank_mask:0xf bound_ctrl:1
	v_cvt_i32_f32_e32 v41, v39
	v_cvt_i32_f32_e32 v31, v31
	v_cvt_f32_i32_dpp v29, v29 row_shl:1 row_mask:0xf bank_mask:0xf bound_ctrl:1
	v_add_f32_e32 v33, v37, v40
	v_cvt_f32_i32_dpp v40, v32 row_shl:4 row_mask:0xf bank_mask:0xf bound_ctrl:1
	v_cvt_f32_i32_dpp v30, v30 row_shl:2 row_mask:0xf bank_mask:0xf bound_ctrl:1
	v_cvt_f32_i32_dpp v35, v41 row_bcast:15 row_mask:0xf bank_mask:0xf bound_ctrl:1
	v_cvt_i32_f32_e32 v37, v33
	v_cvt_f32_i32_dpp v31, v31 row_shl:3 row_mask:0xf bank_mask:0xf bound_ctrl:1
	v_add_f32_e32 v28, v28, v29
	v_add_f32_e32 v34, v34, v40
	;; [unrolled: 1-line block ×4, first 2 shown]
	v_cvt_f32_i32_dpp v35, v37 row_shr:15 row_mask:0xf bank_mask:0xf bound_ctrl:1
	v_cvt_i32_f32_e32 v37, v34
	v_add_f32_e32 v28, v28, v31
	v_cvt_i32_f32_e32 v29, v28
	v_cvt_i32_f32_e32 v30, v35
	v_cvt_f32_i32_dpp v37, v37 row_shl:8 row_mask:0xf bank_mask:0xf bound_ctrl:1
	v_cvt_i32_f32_e32 v25, v25
	v_cvt_f32_i32_dpp v29, v29 row_shl:4 row_mask:0xf bank_mask:0xf bound_ctrl:1
	v_cvt_i32_f32_e32 v26, v26
	v_add_f32_e32 v31, v34, v37
	v_cvt_i32_f32_e32 v31, v31
	v_cvt_f32_i32_dpp v30, v30 row_bcast:15 row_mask:0xf bank_mask:0xf bound_ctrl:1
	v_add_f32_e32 v37, v28, v29
	v_cvt_i32_f32_e32 v27, v27
	v_cvt_i32_f32_e32 v29, v37
	v_cvt_f32_i32_dpp v25, v25 row_shl:1 row_mask:0xf bank_mask:0xf bound_ctrl:1
	v_add_f32_e32 v36, v42, v38
	v_cvt_f32_i32_dpp v26, v26 row_shl:2 row_mask:0xf bank_mask:0xf bound_ctrl:1
	v_cvt_i32_f32_e32 v38, v36
	v_cvt_f32_i32_dpp v31, v31 row_shr:15 row_mask:0xf bank_mask:0xf bound_ctrl:1
	v_add_f32_e32 v28, v35, v30
	v_cvt_f32_i32_dpp v27, v27 row_shl:3 row_mask:0xf bank_mask:0xf bound_ctrl:1
	v_cvt_i32_f32_e32 v35, v28
	v_cvt_f32_i32_dpp v39, v29 row_shl:8 row_mask:0xf bank_mask:0xf bound_ctrl:1
	v_add_f32_e32 v24, v24, v25
	v_cvt_i32_f32_e32 v21, v21
	v_add_f32_e32 v24, v24, v26
	v_cvt_i32_f32_e32 v22, v22
	v_mov_b32_dpp v33, v38 row_bcast:31 row_mask:0xf bank_mask:0xf bound_ctrl:1
	v_cvt_i32_f32_e32 v34, v32
	v_cvt_i32_f32_e32 v38, v31
	v_add_f32_e32 v25, v24, v27
	v_cvt_i32_f32_e32 v23, v23
	v_mov_b32_dpp v29, v35 row_bcast:31 row_mask:0xf bank_mask:0xf bound_ctrl:1
	v_add_f32_e32 v35, v37, v39
	v_cvt_i32_f32_e32 v26, v25
	v_cvt_i32_f32_e32 v35, v35
	v_cvt_f32_i32_dpp v21, v21 row_shl:1 row_mask:0xf bank_mask:0xf bound_ctrl:1
	v_cvt_f32_i32_dpp v22, v22 row_shl:2 row_mask:0xf bank_mask:0xf bound_ctrl:1
	v_mov_b32_dpp v30, v34 row_bcast:31 row_mask:0xf bank_mask:0xf bound_ctrl:1
	v_cvt_f32_i32_dpp v34, v38 row_bcast:15 row_mask:0xf bank_mask:0xf bound_ctrl:1
	v_cvt_f32_i32_dpp v23, v23 row_shl:3 row_mask:0xf bank_mask:0xf bound_ctrl:1
	v_cvt_f32_i32_dpp v26, v26 row_shl:4 row_mask:0xf bank_mask:0xf bound_ctrl:1
	v_cvt_f32_i32_dpp v35, v35 row_shr:15 row_mask:0xf bank_mask:0xf bound_ctrl:1
	v_add_f32_e32 v20, v20, v21
	v_add_f32_e32 v20, v20, v22
	;; [unrolled: 1-line block ×4, first 2 shown]
	v_cvt_i32_f32_e32 v27, v24
	v_add_f32_e32 v25, v25, v26
	v_cvt_i32_f32_e32 v20, v22
	v_cvt_i32_f32_e32 v31, v35
	;; [unrolled: 1-line block ×3, first 2 shown]
	v_mov_b32_dpp v21, v27 row_bcast:31 row_mask:0xf bank_mask:0xf bound_ctrl:1
	v_cvt_f32_i32_dpp v27, v20 row_shl:4 row_mask:0xf bank_mask:0xf bound_ctrl:1
	v_cvt_f32_i32_dpp v23, v31 row_bcast:15 row_mask:0xf bank_mask:0xf bound_ctrl:1
	v_cvt_f32_i32_dpp v26, v26 row_shl:8 row_mask:0xf bank_mask:0xf bound_ctrl:1
	v_cvt_i32_f32_e32 v17, v17
	v_add_f32_e32 v22, v22, v27
	v_cvt_i32_f32_e32 v18, v18
	v_add_f32_e32 v20, v35, v23
	v_add_f32_e32 v23, v25, v26
	v_cvt_i32_f32_e32 v19, v19
	v_cvt_i32_f32_e32 v25, v22
	v_cvt_f32_i32_dpp v17, v17 row_shl:1 row_mask:0xf bank_mask:0xf bound_ctrl:1
	v_cvt_f32_i32_dpp v18, v18 row_shl:2 row_mask:0xf bank_mask:0xf bound_ctrl:1
	;; [unrolled: 1-line block ×4, first 2 shown]
	v_add_f32_e32 v16, v16, v17
	v_add_f32_e32 v16, v16, v18
	;; [unrolled: 1-line block ×4, first 2 shown]
	v_cvt_i32_f32_e32 v17, v16
	v_cvt_i32_f32_e32 v19, v19
	;; [unrolled: 1-line block ×7, first 2 shown]
	v_cvt_f32_i32_dpp v17, v17 row_shl:4 row_mask:0xf bank_mask:0xf bound_ctrl:1
	v_cvt_i32_f32_e32 v22, v20
	v_cvt_f32_i32_dpp v19, v19 row_shr:15 row_mask:0xf bank_mask:0xf bound_ctrl:1
	v_cvt_f32_i32_dpp v1, v1 row_shl:1 row_mask:0xf bank_mask:0xf bound_ctrl:1
	v_cvt_f32_i32_dpp v13, v13 row_shl:1 row_mask:0xf bank_mask:0xf bound_ctrl:1
	v_cvt_i32_f32_e32 v9, v9
	v_cvt_f32_i32_dpp v2, v2 row_shl:2 row_mask:0xf bank_mask:0xf bound_ctrl:1
	v_cvt_i32_f32_e32 v3, v3
	;; [unrolled: 2-line block ×4, first 2 shown]
	v_add_f32_e32 v25, v16, v17
	v_mov_b32_dpp v17, v22 row_bcast:31 row_mask:0xf bank_mask:0xf bound_ctrl:1
	v_cvt_i32_f32_e32 v22, v19
	v_add_f32_e32 v0, v0, v1
	v_add_f32_e32 v12, v12, v13
	v_cvt_f32_i32_dpp v9, v9 row_shl:1 row_mask:0xf bank_mask:0xf bound_ctrl:1
	v_add_f32_e32 v0, v0, v2
	v_cvt_f32_i32_dpp v1, v3 row_shl:3 row_mask:0xf bank_mask:0xf bound_ctrl:1
	v_cvt_i32_f32_e32 v2, v5
	v_add_f32_e32 v12, v12, v14
	v_cvt_f32_i32_dpp v10, v10 row_shl:2 row_mask:0xf bank_mask:0xf bound_ctrl:1
	v_cvt_i32_f32_e32 v3, v6
	;; [unrolled: 3-line block ×3, first 2 shown]
	v_cvt_f32_i32_dpp v22, v22 row_bcast:15 row_mask:0xf bank_mask:0xf bound_ctrl:1
	v_cvt_i32_f32_e32 v12, v15
	v_add_f32_e32 v8, v8, v9
	v_add_f32_e32 v0, v0, v1
	v_cvt_f32_i32_dpp v1, v2 row_shl:1 row_mask:0xf bank_mask:0xf bound_ctrl:1
	v_add_f32_e32 v8, v8, v10
	v_cvt_f32_i32_dpp v2, v3 row_shl:2 row_mask:0xf bank_mask:0xf bound_ctrl:1
	;; [unrolled: 2-line block ×4, first 2 shown]
	v_cvt_i32_f32_e32 v11, v9
	v_add_f32_e32 v1, v4, v1
	v_add_f32_e32 v1, v1, v2
	;; [unrolled: 1-line block ×4, first 2 shown]
	v_cvt_f32_i32_dpp v11, v11 row_shl:4 row_mask:0xf bank_mask:0xf bound_ctrl:1
	v_cvt_i32_f32_e32 v5, v0
	v_cvt_i32_f32_e32 v2, v1
	;; [unrolled: 1-line block ×4, first 2 shown]
	v_add_f32_e32 v9, v9, v11
	v_cvt_f32_i32_dpp v4, v5 row_shl:4 row_mask:0xf bank_mask:0xf bound_ctrl:1
	v_cvt_f32_i32_dpp v2, v2 row_shl:4 row_mask:0xf bank_mask:0xf bound_ctrl:1
	v_cvt_f32_i32_dpp v18, v23 row_shr:15 row_mask:0xf bank_mask:0xf bound_ctrl:1
	v_cvt_f32_i32_dpp v19, v19 row_shl:8 row_mask:0xf bank_mask:0xf bound_ctrl:1
	v_cvt_i32_f32_e32 v11, v9
	v_add_f32_e32 v0, v0, v4
	v_add_f32_e32 v1, v1, v2
	v_cvt_i32_f32_e32 v23, v18
	v_cvt_i32_f32_e32 v16, v25
	v_add_f32_e32 v15, v15, v19
	v_cvt_f32_i32_dpp v3, v11 row_shl:8 row_mask:0xf bank_mask:0xf bound_ctrl:1
	v_cvt_i32_f32_e32 v4, v0
	v_cvt_i32_f32_e32 v2, v1
	;; [unrolled: 1-line block ×3, first 2 shown]
	v_cvt_f32_i32_dpp v23, v23 row_bcast:15 row_mask:0xf bank_mask:0xf bound_ctrl:1
	v_cvt_f32_i32_dpp v26, v16 row_shl:8 row_mask:0xf bank_mask:0xf bound_ctrl:1
	v_add_f32_e32 v3, v9, v3
	v_cvt_f32_i32_dpp v4, v4 row_shl:8 row_mask:0xf bank_mask:0xf bound_ctrl:1
	v_cvt_f32_i32_dpp v2, v2 row_shl:8 row_mask:0xf bank_mask:0xf bound_ctrl:1
	v_cvt_f32_i32_dpp v5, v15 row_shr:15 row_mask:0xf bank_mask:0xf bound_ctrl:1
	v_cvt_i32_f32_e32 v3, v3
	v_add_f32_e32 v16, v18, v23
	v_add_f32_e32 v23, v25, v26
	v_add_f32_e32 v0, v0, v4
	v_add_f32_e32 v1, v1, v2
	v_cvt_i32_f32_e32 v23, v23
	v_cvt_i32_f32_e32 v6, v5
	v_cvt_f32_i32_dpp v3, v3 row_shr:15 row_mask:0xf bank_mask:0xf bound_ctrl:1
	v_cvt_i32_f32_e32 v0, v0
	v_cvt_i32_f32_e32 v1, v1
	v_cvt_f32_i32_dpp v23, v23 row_shr:15 row_mask:0xf bank_mask:0xf bound_ctrl:1
	v_cvt_f32_i32_dpp v2, v6 row_bcast:15 row_mask:0xf bank_mask:0xf bound_ctrl:1
	v_cvt_f32_i32_dpp v0, v0 row_shr:15 row_mask:0xf bank_mask:0xf bound_ctrl:1
	v_cvt_i32_f32_e32 v4, v3
	v_cvt_f32_i32_dpp v1, v1 row_shr:15 row_mask:0xf bank_mask:0xf bound_ctrl:1
	v_cvt_i32_f32_e32 v18, v16
	v_cvt_i32_f32_e32 v25, v23
	v_add_f32_e32 v9, v5, v2
	v_cvt_i32_f32_e32 v2, v0
	v_cvt_f32_i32_dpp v4, v4 row_bcast:15 row_mask:0xf bank_mask:0xf bound_ctrl:1
	v_cvt_i32_f32_e32 v5, v1
	v_mov_b32_dpp v14, v18 row_bcast:31 row_mask:0xf bank_mask:0xf bound_ctrl:1
	v_cvt_f32_i32_dpp v18, v25 row_bcast:15 row_mask:0xf bank_mask:0xf bound_ctrl:1
	v_cvt_f32_i32_dpp v2, v2 row_bcast:15 row_mask:0xf bank_mask:0xf bound_ctrl:1
	v_add_f32_e32 v6, v3, v4
	v_cvt_f32_i32_dpp v3, v5 row_bcast:15 row_mask:0xf bank_mask:0xf bound_ctrl:1
	v_add_f32_e32 v12, v23, v18
	v_add_f32_e32 v4, v0, v2
	v_cvt_i32_f32_e32 v22, v13
	v_add_f32_e32 v2, v1, v3
	v_cvt_i32_f32_e32 v18, v12
	v_cvt_i32_f32_e32 v7, v9
	;; [unrolled: 1-line block ×5, first 2 shown]
	v_mov_b32_dpp v10, v22 row_bcast:31 row_mask:0xf bank_mask:0xf bound_ctrl:1
	v_mov_b32_dpp v8, v18 row_bcast:31 row_mask:0xf bank_mask:0xf bound_ctrl:1
	;; [unrolled: 1-line block ×6, first 2 shown]
	s_and_saveexec_b64 s[20:21], s[0:1]
	s_cbranch_execz .LBB242_7
; %bb.14:                               ;   in Loop: Header=BB242_8 Depth=1
	s_andn2_b64 vcc, exec, s[18:19]
	v_mov_b32_e32 v0, 0
	v_mov_b32_e32 v35, 0
	;; [unrolled: 1-line block ×12, first 2 shown]
	s_cbranch_vccnz .LBB242_16
; %bb.15:                               ;   in Loop: Header=BB242_8 Depth=1
	v_mul_hi_u32 v0, v72, v89
	v_mul_lo_u32 v0, v0, s8
	v_sub_u32_e32 v0, v72, v0
	v_subrev_u32_e32 v1, s8, v0
	v_cmp_le_u32_e32 vcc, s8, v0
	v_mov_b32_e32 v23, v75
	v_mov_b32_e32 v41, v75
	v_cndmask_b32_e32 v0, v0, v1, vcc
	v_subrev_u32_e32 v1, s8, v0
	v_cmp_le_u32_e32 vcc, s8, v0
	v_mov_b32_e32 v45, v75
	s_nop 0
	v_cndmask_b32_e32 v74, v0, v1, vcc
	v_or_b32_e32 v0, 1, v72
	v_mul_hi_u32 v1, v0, v89
	v_mul_lo_u32 v1, v1, s8
	v_sub_u32_e32 v0, v0, v1
	v_subrev_u32_e32 v1, s8, v0
	v_cmp_le_u32_e32 vcc, s8, v0
	v_lshl_add_u64 v[18:19], v[74:75], 1, s[10:11]
	s_nop 0
	v_cndmask_b32_e32 v0, v0, v1, vcc
	v_subrev_u32_e32 v1, s8, v0
	v_cmp_le_u32_e32 vcc, s8, v0
	s_nop 1
	v_cndmask_b32_e32 v22, v0, v1, vcc
	v_or_b32_e32 v0, 2, v72
	v_mul_hi_u32 v1, v0, v89
	v_mul_lo_u32 v1, v1, s8
	v_sub_u32_e32 v0, v0, v1
	v_subrev_u32_e32 v1, s8, v0
	v_cmp_le_u32_e32 vcc, s8, v0
	v_lshl_add_u64 v[38:39], v[22:23], 1, s[10:11]
	s_nop 0
	v_cndmask_b32_e32 v0, v0, v1, vcc
	v_subrev_u32_e32 v1, s8, v0
	v_cmp_le_u32_e32 vcc, s8, v0
	;; [unrolled: 13-line block ×3, first 2 shown]
	s_nop 1
	v_cndmask_b32_e32 v44, v0, v1, vcc
	v_add_u32_e32 v0, s26, v74
	v_mov_b32_e32 v1, v75
	v_lshl_add_u64 v[48:49], v[0:1], 1, s[10:11]
	v_add_u32_e32 v0, s26, v22
	v_lshl_add_u64 v[50:51], v[0:1], 1, s[10:11]
	v_add_u32_e32 v0, s26, v40
	;; [unrolled: 2-line block ×3, first 2 shown]
	v_lshl_add_u64 v[46:47], v[44:45], 1, s[10:11]
	v_lshl_add_u64 v[54:55], v[0:1], 1, s[10:11]
	global_load_ushort v0, v[18:19], off
	global_load_ushort v35, v[38:39], off
	;; [unrolled: 1-line block ×8, first 2 shown]
	v_add_u32_e32 v74, s27, v74
	v_lshl_add_u64 v[38:39], v[74:75], 1, s[10:11]
	v_add_u32_e32 v74, s27, v22
	v_lshl_add_u64 v[42:43], v[74:75], 1, s[10:11]
	v_add_u32_e32 v74, s27, v40
	v_lshl_add_u64 v[40:41], v[74:75], 1, s[10:11]
	v_add_u32_e32 v74, s27, v44
	v_lshl_add_u64 v[44:45], v[74:75], 1, s[10:11]
	global_load_ushort v22, v[38:39], off
	global_load_ushort v19, v[42:43], off
	;; [unrolled: 1-line block ×4, first 2 shown]
.LBB242_16:                             ;   in Loop: Header=BB242_8 Depth=1
	v_cvt_f32_i32_e32 v1, v33
	s_waitcnt vmcnt(11)
	v_lshlrev_b32_e32 v0, 16, v0
                                        ; implicit-def: $vgpr33
	v_add_f32_e32 v1, v36, v1
	v_add_f32_e32 v0, v1, v0
	v_and_b32_e32 v1, 0x7f800000, v0
	v_cmp_ne_u32_e32 vcc, s29, v1
	s_and_saveexec_b64 s[22:23], vcc
	s_xor_b64 s[22:23], exec, s[22:23]
; %bb.17:                               ;   in Loop: Header=BB242_8 Depth=1
	v_bfe_u32 v1, v0, 16, 1
	v_add3_u32 v33, v0, v1, s30
                                        ; implicit-def: $vgpr0
; %bb.18:                               ;   in Loop: Header=BB242_8 Depth=1
	s_andn2_saveexec_b64 s[22:23], s[22:23]
; %bb.19:                               ;   in Loop: Header=BB242_8 Depth=1
	v_or_b32_e32 v1, 0x10000, v0
	v_cmp_eq_u32_sdwa vcc, v0, v75 src0_sel:WORD_0 src1_sel:DWORD
	s_nop 1
	v_cndmask_b32_e32 v33, v1, v0, vcc
; %bb.20:                               ;   in Loop: Header=BB242_8 Depth=1
	s_or_b64 exec, exec, s[22:23]
	v_cvt_f32_i32_e32 v30, v30
	v_mov_b32_e32 v73, v75
	s_waitcnt lgkmcnt(0)
	v_lshl_add_u64 v[0:1], v[72:73], 1, s[14:15]
	global_store_short_d16_hi v[0:1], v33, off
	v_add_f32_e32 v30, v32, v30
	s_waitcnt vmcnt(11)
	v_lshlrev_b32_e32 v32, 16, v35
	v_add_f32_e32 v30, v30, v32
	v_and_b32_e32 v32, 0x7f800000, v30
	v_cmp_ne_u32_e32 vcc, s29, v32
                                        ; implicit-def: $vgpr32
	s_and_saveexec_b64 s[22:23], vcc
	s_xor_b64 s[22:23], exec, s[22:23]
; %bb.21:                               ;   in Loop: Header=BB242_8 Depth=1
	v_bfe_u32 v32, v30, 16, 1
	v_add3_u32 v32, v30, v32, s30
                                        ; implicit-def: $vgpr30
; %bb.22:                               ;   in Loop: Header=BB242_8 Depth=1
	s_andn2_saveexec_b64 s[22:23], s[22:23]
; %bb.23:                               ;   in Loop: Header=BB242_8 Depth=1
	v_or_b32_e32 v32, 0x10000, v30
	v_cmp_eq_u32_sdwa vcc, v30, v75 src0_sel:WORD_0 src1_sel:DWORD
	s_nop 1
	v_cndmask_b32_e32 v32, v32, v30, vcc
; %bb.24:                               ;   in Loop: Header=BB242_8 Depth=1
	s_or_b64 exec, exec, s[22:23]
	v_cvt_f32_i32_e32 v29, v29
	global_store_short_d16_hi v[0:1], v32, off offset:2
	v_add_f32_e32 v28, v28, v29
	s_waitcnt vmcnt(11)
	v_lshlrev_b32_e32 v29, 16, v34
	v_add_f32_e32 v28, v28, v29
	v_and_b32_e32 v29, 0x7f800000, v28
	v_cmp_ne_u32_e32 vcc, s29, v29
                                        ; implicit-def: $vgpr29
	s_and_saveexec_b64 s[22:23], vcc
	s_xor_b64 s[22:23], exec, s[22:23]
; %bb.25:                               ;   in Loop: Header=BB242_8 Depth=1
	v_bfe_u32 v29, v28, 16, 1
	v_add3_u32 v29, v28, v29, s30
                                        ; implicit-def: $vgpr28
; %bb.26:                               ;   in Loop: Header=BB242_8 Depth=1
	s_andn2_saveexec_b64 s[22:23], s[22:23]
; %bb.27:                               ;   in Loop: Header=BB242_8 Depth=1
	v_or_b32_e32 v29, 0x10000, v28
	v_cmp_eq_u32_sdwa vcc, v28, v75 src0_sel:WORD_0 src1_sel:DWORD
	s_nop 1
	v_cndmask_b32_e32 v29, v29, v28, vcc
; %bb.28:                               ;   in Loop: Header=BB242_8 Depth=1
	s_or_b64 exec, exec, s[22:23]
	v_cvt_f32_i32_e32 v21, v21
	global_store_short_d16_hi v[0:1], v29, off offset:4
	v_add_f32_e32 v21, v24, v21
	s_waitcnt vmcnt(11)
	v_lshlrev_b32_e32 v24, 16, v31
	v_add_f32_e32 v21, v21, v24
	v_and_b32_e32 v24, 0x7f800000, v21
	v_cmp_ne_u32_e32 vcc, s29, v24
                                        ; implicit-def: $vgpr24
	s_and_saveexec_b64 s[22:23], vcc
	s_xor_b64 s[22:23], exec, s[22:23]
; %bb.29:                               ;   in Loop: Header=BB242_8 Depth=1
	v_bfe_u32 v24, v21, 16, 1
	v_add3_u32 v24, v21, v24, s30
                                        ; implicit-def: $vgpr21
; %bb.30:                               ;   in Loop: Header=BB242_8 Depth=1
	s_andn2_saveexec_b64 s[22:23], s[22:23]
; %bb.31:                               ;   in Loop: Header=BB242_8 Depth=1
	v_or_b32_e32 v24, 0x10000, v21
	v_cmp_eq_u32_sdwa vcc, v21, v75 src0_sel:WORD_0 src1_sel:DWORD
	s_nop 1
	v_cndmask_b32_e32 v24, v24, v21, vcc
; %bb.32:                               ;   in Loop: Header=BB242_8 Depth=1
	s_or_b64 exec, exec, s[22:23]
	v_cvt_f32_i32_e32 v17, v17
	global_store_short_d16_hi v[0:1], v24, off offset:6
	s_waitcnt vmcnt(11)
	v_lshlrev_b32_e32 v1, 16, v27
	v_add_f32_e32 v0, v20, v17
	v_add_f32_e32 v1, v0, v1
	v_and_b32_e32 v0, 0x7f800000, v1
	v_cmp_ne_u32_e32 vcc, s29, v0
                                        ; implicit-def: $vgpr0
	s_and_saveexec_b64 s[22:23], vcc
	s_xor_b64 s[22:23], exec, s[22:23]
; %bb.33:                               ;   in Loop: Header=BB242_8 Depth=1
	v_bfe_u32 v0, v1, 16, 1
	v_add3_u32 v0, v1, v0, s30
                                        ; implicit-def: $vgpr1
; %bb.34:                               ;   in Loop: Header=BB242_8 Depth=1
	s_andn2_saveexec_b64 s[22:23], s[22:23]
; %bb.35:                               ;   in Loop: Header=BB242_8 Depth=1
	v_or_b32_e32 v0, 0x10000, v1
	v_cmp_eq_u32_sdwa vcc, v1, v75 src0_sel:WORD_0 src1_sel:DWORD
	s_nop 1
	v_cndmask_b32_e32 v0, v0, v1, vcc
; %bb.36:                               ;   in Loop: Header=BB242_8 Depth=1
	s_or_b64 exec, exec, s[22:23]
	v_cvt_f32_i32_e32 v1, v14
	v_add_u32_e32 v74, s7, v72
	v_lshl_add_u64 v[20:21], v[74:75], 1, s[14:15]
	global_store_short_d16_hi v[20:21], v0, off
	v_add_f32_e32 v0, v16, v1
	s_waitcnt vmcnt(11)
	v_lshlrev_b32_e32 v1, 16, v26
	v_add_f32_e32 v1, v0, v1
	v_and_b32_e32 v0, 0x7f800000, v1
	v_cmp_ne_u32_e32 vcc, s29, v0
                                        ; implicit-def: $vgpr0
	s_and_saveexec_b64 s[22:23], vcc
	s_xor_b64 s[22:23], exec, s[22:23]
; %bb.37:                               ;   in Loop: Header=BB242_8 Depth=1
	v_bfe_u32 v0, v1, 16, 1
	v_add3_u32 v0, v1, v0, s30
                                        ; implicit-def: $vgpr1
; %bb.38:                               ;   in Loop: Header=BB242_8 Depth=1
	s_andn2_saveexec_b64 s[22:23], s[22:23]
; %bb.39:                               ;   in Loop: Header=BB242_8 Depth=1
	v_or_b32_e32 v0, 0x10000, v1
	v_cmp_eq_u32_sdwa vcc, v1, v75 src0_sel:WORD_0 src1_sel:DWORD
	s_nop 1
	v_cndmask_b32_e32 v0, v0, v1, vcc
; %bb.40:                               ;   in Loop: Header=BB242_8 Depth=1
	s_or_b64 exec, exec, s[22:23]
	v_cvt_f32_i32_e32 v1, v10
	v_add_u32_e32 v16, 1, v74
	v_mov_b32_e32 v17, v75
	v_lshl_add_u64 v[16:17], v[16:17], 1, s[14:15]
	v_add_f32_e32 v1, v13, v1
	global_store_short_d16_hi v[16:17], v0, off
	s_waitcnt vmcnt(11)
	v_lshlrev_b32_e32 v0, 16, v25
	v_add_f32_e32 v1, v1, v0
	v_and_b32_e32 v0, 0x7f800000, v1
	v_cmp_ne_u32_e32 vcc, s29, v0
                                        ; implicit-def: $vgpr0
	s_and_saveexec_b64 s[22:23], vcc
	s_xor_b64 s[22:23], exec, s[22:23]
; %bb.41:                               ;   in Loop: Header=BB242_8 Depth=1
	v_bfe_u32 v0, v1, 16, 1
	v_add3_u32 v0, v1, v0, s30
                                        ; implicit-def: $vgpr1
; %bb.42:                               ;   in Loop: Header=BB242_8 Depth=1
	s_andn2_saveexec_b64 s[22:23], s[22:23]
; %bb.43:                               ;   in Loop: Header=BB242_8 Depth=1
	v_or_b32_e32 v0, 0x10000, v1
	v_cmp_eq_u32_sdwa vcc, v1, v75 src0_sel:WORD_0 src1_sel:DWORD
	s_nop 1
	v_cndmask_b32_e32 v0, v0, v1, vcc
; %bb.44:                               ;   in Loop: Header=BB242_8 Depth=1
	s_or_b64 exec, exec, s[22:23]
	v_cvt_f32_i32_e32 v1, v8
	v_add_u32_e32 v16, 2, v74
	v_mov_b32_e32 v17, v75
	v_lshl_add_u64 v[16:17], v[16:17], 1, s[14:15]
	v_add_f32_e32 v1, v12, v1
	global_store_short_d16_hi v[16:17], v0, off
	;; [unrolled: 27-line block ×3, first 2 shown]
	s_waitcnt vmcnt(11)
	v_lshlrev_b32_e32 v0, 16, v22
	v_add_f32_e32 v0, v1, v0
	v_and_b32_e32 v1, 0x7f800000, v0
	v_cmp_ne_u32_e32 vcc, s29, v1
                                        ; implicit-def: $vgpr8
	s_and_saveexec_b64 s[22:23], vcc
	s_xor_b64 s[22:23], exec, s[22:23]
; %bb.49:                               ;   in Loop: Header=BB242_8 Depth=1
	v_bfe_u32 v1, v0, 16, 1
	v_add3_u32 v8, v0, v1, s30
                                        ; implicit-def: $vgpr0
; %bb.50:                               ;   in Loop: Header=BB242_8 Depth=1
	s_andn2_saveexec_b64 s[22:23], s[22:23]
; %bb.51:                               ;   in Loop: Header=BB242_8 Depth=1
	v_or_b32_e32 v1, 0x10000, v0
	v_cmp_eq_u32_sdwa vcc, v0, v75 src0_sel:WORD_0 src1_sel:DWORD
	s_nop 1
	v_cndmask_b32_e32 v8, v1, v0, vcc
; %bb.52:                               ;   in Loop: Header=BB242_8 Depth=1
	s_or_b64 exec, exec, s[22:23]
	v_cvt_f32_i32_e32 v7, v7
	v_add_u32_e32 v74, s7, v74
	v_lshl_add_u64 v[0:1], v[74:75], 1, s[14:15]
	global_store_short_d16_hi v[0:1], v8, off
	v_add_f32_e32 v6, v6, v7
	s_waitcnt vmcnt(11)
	v_lshlrev_b32_e32 v7, 16, v19
	v_add_f32_e32 v6, v6, v7
	v_and_b32_e32 v7, 0x7f800000, v6
	v_cmp_ne_u32_e32 vcc, s29, v7
                                        ; implicit-def: $vgpr7
	s_and_saveexec_b64 s[22:23], vcc
	s_xor_b64 s[22:23], exec, s[22:23]
; %bb.53:                               ;   in Loop: Header=BB242_8 Depth=1
	v_bfe_u32 v7, v6, 16, 1
	v_add3_u32 v7, v6, v7, s30
                                        ; implicit-def: $vgpr6
; %bb.54:                               ;   in Loop: Header=BB242_8 Depth=1
	s_andn2_saveexec_b64 s[22:23], s[22:23]
; %bb.55:                               ;   in Loop: Header=BB242_8 Depth=1
	v_or_b32_e32 v7, 0x10000, v6
	v_cmp_eq_u32_sdwa vcc, v6, v75 src0_sel:WORD_0 src1_sel:DWORD
	s_nop 1
	v_cndmask_b32_e32 v7, v7, v6, vcc
; %bb.56:                               ;   in Loop: Header=BB242_8 Depth=1
	s_or_b64 exec, exec, s[22:23]
	v_cvt_f32_i32_e32 v5, v5
	global_store_short_d16_hi v[0:1], v7, off offset:2
	s_waitcnt vmcnt(11)
	v_lshlrev_b32_e32 v1, 16, v18
	v_add_f32_e32 v0, v4, v5
	v_add_f32_e32 v1, v0, v1
	v_and_b32_e32 v0, 0x7f800000, v1
	v_cmp_ne_u32_e32 vcc, s29, v0
                                        ; implicit-def: $vgpr0
	s_and_saveexec_b64 s[22:23], vcc
	s_xor_b64 s[22:23], exec, s[22:23]
; %bb.57:                               ;   in Loop: Header=BB242_8 Depth=1
	v_bfe_u32 v0, v1, 16, 1
	v_add3_u32 v0, v1, v0, s30
                                        ; implicit-def: $vgpr1
; %bb.58:                               ;   in Loop: Header=BB242_8 Depth=1
	s_andn2_saveexec_b64 s[22:23], s[22:23]
; %bb.59:                               ;   in Loop: Header=BB242_8 Depth=1
	v_or_b32_e32 v0, 0x10000, v1
	v_cmp_eq_u32_sdwa vcc, v1, v75 src0_sel:WORD_0 src1_sel:DWORD
	s_nop 1
	v_cndmask_b32_e32 v0, v0, v1, vcc
; %bb.60:                               ;   in Loop: Header=BB242_8 Depth=1
	s_or_b64 exec, exec, s[22:23]
	v_cvt_f32_i32_e32 v1, v3
	v_add_u32_e32 v4, 2, v74
	v_mov_b32_e32 v5, v75
	v_lshl_add_u64 v[4:5], v[4:5], 1, s[14:15]
	v_add_f32_e32 v1, v2, v1
	global_store_short_d16_hi v[4:5], v0, off
	s_waitcnt vmcnt(11)
	v_lshlrev_b32_e32 v0, 16, v15
	v_add_f32_e32 v1, v1, v0
	v_and_b32_e32 v0, 0x7f800000, v1
	v_cmp_ne_u32_e32 vcc, s29, v0
                                        ; implicit-def: $vgpr0
	s_and_saveexec_b64 s[22:23], vcc
	s_xor_b64 s[22:23], exec, s[22:23]
; %bb.61:                               ;   in Loop: Header=BB242_8 Depth=1
	v_bfe_u32 v0, v1, 16, 1
	v_add3_u32 v0, v1, v0, s30
                                        ; implicit-def: $vgpr1
; %bb.62:                               ;   in Loop: Header=BB242_8 Depth=1
	s_andn2_saveexec_b64 s[22:23], s[22:23]
	s_cbranch_execz .LBB242_6
; %bb.63:                               ;   in Loop: Header=BB242_8 Depth=1
	v_or_b32_e32 v0, 0x10000, v1
	v_cmp_eq_u32_sdwa vcc, v1, v75 src0_sel:WORD_0 src1_sel:DWORD
	s_nop 1
	v_cndmask_b32_e32 v0, v0, v1, vcc
	s_branch .LBB242_6
.LBB242_64:
	s_endpgm
	.section	.rodata,"a",@progbits
	.p2align	6, 0x0
	.amdhsa_kernel _Z16wvSplitK_hf_sml_I14__hip_bfloat16Li64ELi4ELi16ELi8ELi1ELi3EEviiiiiiPKT_S3_S3_PS1_ii
		.amdhsa_group_segment_fixed_size 65536
		.amdhsa_private_segment_fixed_size 0
		.amdhsa_kernarg_size 64
		.amdhsa_user_sgpr_count 2
		.amdhsa_user_sgpr_dispatch_ptr 0
		.amdhsa_user_sgpr_queue_ptr 0
		.amdhsa_user_sgpr_kernarg_segment_ptr 1
		.amdhsa_user_sgpr_dispatch_id 0
		.amdhsa_user_sgpr_kernarg_preload_length 0
		.amdhsa_user_sgpr_kernarg_preload_offset 0
		.amdhsa_user_sgpr_private_segment_size 0
		.amdhsa_uses_dynamic_stack 0
		.amdhsa_enable_private_segment 0
		.amdhsa_system_sgpr_workgroup_id_x 1
		.amdhsa_system_sgpr_workgroup_id_y 0
		.amdhsa_system_sgpr_workgroup_id_z 0
		.amdhsa_system_sgpr_workgroup_info 0
		.amdhsa_system_vgpr_workitem_id 1
		.amdhsa_next_free_vgpr 91
		.amdhsa_next_free_sgpr 31
		.amdhsa_accum_offset 92
		.amdhsa_reserve_vcc 1
		.amdhsa_float_round_mode_32 0
		.amdhsa_float_round_mode_16_64 0
		.amdhsa_float_denorm_mode_32 3
		.amdhsa_float_denorm_mode_16_64 3
		.amdhsa_dx10_clamp 1
		.amdhsa_ieee_mode 1
		.amdhsa_fp16_overflow 0
		.amdhsa_tg_split 0
		.amdhsa_exception_fp_ieee_invalid_op 0
		.amdhsa_exception_fp_denorm_src 0
		.amdhsa_exception_fp_ieee_div_zero 0
		.amdhsa_exception_fp_ieee_overflow 0
		.amdhsa_exception_fp_ieee_underflow 0
		.amdhsa_exception_fp_ieee_inexact 0
		.amdhsa_exception_int_div_zero 0
	.end_amdhsa_kernel
	.section	.text._Z16wvSplitK_hf_sml_I14__hip_bfloat16Li64ELi4ELi16ELi8ELi1ELi3EEviiiiiiPKT_S3_S3_PS1_ii,"axG",@progbits,_Z16wvSplitK_hf_sml_I14__hip_bfloat16Li64ELi4ELi16ELi8ELi1ELi3EEviiiiiiPKT_S3_S3_PS1_ii,comdat
.Lfunc_end242:
	.size	_Z16wvSplitK_hf_sml_I14__hip_bfloat16Li64ELi4ELi16ELi8ELi1ELi3EEviiiiiiPKT_S3_S3_PS1_ii, .Lfunc_end242-_Z16wvSplitK_hf_sml_I14__hip_bfloat16Li64ELi4ELi16ELi8ELi1ELi3EEviiiiiiPKT_S3_S3_PS1_ii
                                        ; -- End function
	.section	.AMDGPU.csdata,"",@progbits
; Kernel info:
; codeLenInByte = 4696
; NumSgprs: 37
; NumVgprs: 91
; NumAgprs: 0
; TotalNumVgprs: 91
; ScratchSize: 0
; MemoryBound: 0
; FloatMode: 240
; IeeeMode: 1
; LDSByteSize: 65536 bytes/workgroup (compile time only)
; SGPRBlocks: 4
; VGPRBlocks: 11
; NumSGPRsForWavesPerEU: 37
; NumVGPRsForWavesPerEU: 91
; AccumOffset: 92
; Occupancy: 4
; WaveLimiterHint : 0
; COMPUTE_PGM_RSRC2:SCRATCH_EN: 0
; COMPUTE_PGM_RSRC2:USER_SGPR: 2
; COMPUTE_PGM_RSRC2:TRAP_HANDLER: 0
; COMPUTE_PGM_RSRC2:TGID_X_EN: 1
; COMPUTE_PGM_RSRC2:TGID_Y_EN: 0
; COMPUTE_PGM_RSRC2:TGID_Z_EN: 0
; COMPUTE_PGM_RSRC2:TIDIG_COMP_CNT: 1
; COMPUTE_PGM_RSRC3_GFX90A:ACCUM_OFFSET: 22
; COMPUTE_PGM_RSRC3_GFX90A:TG_SPLIT: 0
	.section	.text._Z12wvSplitK_hf_I14__hip_bfloat16Li64ELi4ELi16ELi8ELi1ELi3EEviiiiiiPKT_S3_S3_PS1_ii,"axG",@progbits,_Z12wvSplitK_hf_I14__hip_bfloat16Li64ELi4ELi16ELi8ELi1ELi3EEviiiiiiPKT_S3_S3_PS1_ii,comdat
	.protected	_Z12wvSplitK_hf_I14__hip_bfloat16Li64ELi4ELi16ELi8ELi1ELi3EEviiiiiiPKT_S3_S3_PS1_ii ; -- Begin function _Z12wvSplitK_hf_I14__hip_bfloat16Li64ELi4ELi16ELi8ELi1ELi3EEviiiiiiPKT_S3_S3_PS1_ii
	.globl	_Z12wvSplitK_hf_I14__hip_bfloat16Li64ELi4ELi16ELi8ELi1ELi3EEviiiiiiPKT_S3_S3_PS1_ii
	.p2align	8
	.type	_Z12wvSplitK_hf_I14__hip_bfloat16Li64ELi4ELi16ELi8ELi1ELi3EEviiiiiiPKT_S3_S3_PS1_ii,@function
_Z12wvSplitK_hf_I14__hip_bfloat16Li64ELi4ELi16ELi8ELi1ELi3EEviiiiiiPKT_S3_S3_PS1_ii: ; @_Z12wvSplitK_hf_I14__hip_bfloat16Li64ELi4ELi16ELi8ELi1ELi3EEviiiiiiPKT_S3_S3_PS1_ii
; %bb.0:
	s_load_dwordx2 s[8:9], s[0:1], 0x38
	s_load_dwordx4 s[12:15], s[0:1], 0x0
	s_load_dwordx2 s[20:21], s[0:1], 0x10
	v_bfe_u32 v7, v0, 10, 10
	s_mov_b32 s4, 1
	s_waitcnt lgkmcnt(0)
	s_mul_i32 s2, s2, s8
	v_add_lshl_u32 v82, s2, v7, 2
	v_add_u32_e32 v1, 4, v82
	s_mov_b32 s5, s4
	v_cmp_gt_u32_e32 vcc, s15, v82
	v_cmp_le_u32_e64 s[2:3], s15, v1
	s_mov_b32 s6, s4
	s_mov_b32 s7, s4
	v_mov_b64_e32 v[2:3], s[4:5]
	s_and_b64 s[10:11], vcc, s[2:3]
	v_mov_b64_e32 v[4:5], s[6:7]
	s_and_saveexec_b64 s[2:3], s[10:11]
	s_cbranch_execz .LBB243_6
; %bb.1:
	s_add_i32 s22, s15, -4
	v_mov_b64_e32 v[2:3], s[4:5]
	v_cmp_ne_u32_e32 vcc, s22, v82
	v_mov_b64_e32 v[4:5], s[6:7]
	s_and_saveexec_b64 s[10:11], vcc
	s_cbranch_execz .LBB243_5
; %bb.2:
	v_subrev_u32_e32 v1, s22, v82
	v_cmp_lt_u32_e32 vcc, 1, v1
	s_mov_b64 s[16:17], 0
	s_mov_b64 s[18:19], 0
	v_cndmask_b32_e32 v6, 1, v1, vcc
	s_mov_b32 s5, s4
	s_mov_b32 s6, s4
	;; [unrolled: 1-line block ×3, first 2 shown]
.LBB243_3:                              ; =>This Inner Loop Header: Depth=1
	s_cmp_lg_u32 s18, 3
	s_cselect_b32 s7, s7, 0
	s_cmp_lg_u32 s18, 2
	s_cselect_b32 s6, s6, 0
	;; [unrolled: 2-line block ×4, first 2 shown]
	s_add_u32 s18, s18, 1
	s_addc_u32 s19, s19, 0
	v_cmp_eq_u32_e32 vcc, s18, v6
	v_mov_b64_e32 v[2:3], s[4:5]
	s_or_b64 s[16:17], vcc, s[16:17]
	v_mov_b64_e32 v[4:5], s[6:7]
	s_andn2_b64 exec, exec, s[16:17]
	s_cbranch_execnz .LBB243_3
; %bb.4:
	s_or_b64 exec, exec, s[16:17]
	v_mov_b32_e32 v82, s22
.LBB243_5:
	s_or_b64 exec, exec, s[10:11]
.LBB243_6:
	s_or_b64 exec, exec, s[2:3]
	s_load_dwordx4 s[16:19], s[0:1], 0x20
	v_and_b32_e32 v6, 0x3ff, v0
	v_lshlrev_b32_e32 v100, 3, v6
	s_mul_i32 s2, s14, 3
	v_lshl_add_u32 v8, v7, 9, v100
	s_min_u32 s10, s2, 0x8000
	v_cmp_gt_u32_e32 vcc, s10, v8
	s_and_saveexec_b64 s[2:3], vcc
	s_cbranch_execz .LBB243_9
; %bb.7:
	v_mov_b32_e32 v11, 0
	v_lshlrev_b32_e32 v10, 10, v7
	v_lshlrev_b32_e32 v12, 4, v6
	v_mov_b32_e32 v13, v11
	v_lshl_add_u64 v[0:1], v[10:11], 0, v[12:13]
	s_waitcnt lgkmcnt(0)
	v_lshl_add_u64 v[0:1], s[16:17], 0, v[0:1]
	v_add_u32_e32 v9, v10, v12
	s_mov_b64 s[4:5], 0
	s_mov_b64 s[6:7], 0x4000
.LBB243_8:                              ; =>This Inner Loop Header: Depth=1
	global_load_dwordx4 v[10:13], v[0:1], off
	v_add_u32_e32 v8, 0x2000, v8
	v_cmp_le_u32_e32 vcc, s10, v8
	v_lshl_add_u64 v[0:1], v[0:1], 0, s[6:7]
	s_or_b64 s[4:5], vcc, s[4:5]
	s_waitcnt vmcnt(0)
	ds_write_b128 v9, v[10:13]
	v_add_u32_e32 v9, 0x4000, v9
	s_andn2_b64 exec, exec, s[4:5]
	s_cbranch_execnz .LBB243_8
.LBB243_9:
	s_or_b64 exec, exec, s[2:3]
	v_cmp_gt_u32_e32 vcc, s8, v7
	v_cmp_gt_u32_e64 s[2:3], s15, v82
	s_and_b64 s[2:3], vcc, s[2:3]
	s_waitcnt lgkmcnt(0)
	s_barrier
	s_and_saveexec_b64 s[4:5], s[2:3]
	s_cbranch_execz .LBB243_110
; %bb.10:
	s_cmp_lg_u32 s12, 0
	s_cselect_b64 s[2:3], -1, 0
	s_add_i32 s33, s12, -8
	s_add_i32 s38, s15, -1
	s_mul_i32 s4, s8, s9
	s_cmp_lg_u64 s[18:19], 0
	s_cselect_b64 s[28:29], -1, 0
	s_lshl_b32 s39, s4, 2
	s_abs_i32 s4, s21
	v_cvt_f32_u32_e32 v0, s20
	v_cvt_f32_u32_e32 v1, s4
	s_sub_i32 s5, 0, s20
	s_add_i32 s21, s15, -4
	v_rcp_iflag_f32_e32 v0, v0
	v_rcp_iflag_f32_e32 v1, v1
	s_load_dwordx2 s[22:23], s[0:1], 0x18
	s_load_dwordx2 s[24:25], s[0:1], 0x30
	v_cmp_eq_u32_e64 s[0:1], 63, v6
	v_mul_f32_e32 v0, 0x4f7ffffe, v0
	v_mul_f32_e32 v1, 0x4f7ffffe, v1
	v_cvt_u32_f32_e32 v0, v0
	v_cvt_u32_f32_e32 v8, v1
	s_mov_b64 s[26:27], 0
	v_mov_b32_e32 v1, 0
	v_mul_lo_u32 v7, s5, v0
	s_sub_i32 s5, 0, s4
	v_readfirstlane_b32 s6, v8
	s_mul_i32 s5, s5, s6
	s_mul_hi_u32 s5, s6, s5
	s_add_i32 s6, s6, s5
	s_sub_i32 s5, 1, s4
	s_cmp_lt_u32 s4, 2
	s_cselect_b32 s5, s5, 1
	s_sub_i32 s7, s5, s4
	s_cmp_ge_u32 s5, s4
	s_cselect_b32 s40, s7, s5
	s_lshr_b32 s5, s6, 31
	s_mul_i32 s5, s5, s4
	s_sub_i32 s5, 2, s5
	s_sub_i32 s6, s5, s4
	s_cmp_ge_u32 s5, s4
	s_cselect_b32 s5, s6, s5
	s_sub_i32 s6, s5, s4
	v_mul_hi_u32 v7, v0, v7
	s_cmp_ge_u32 s5, s4
	v_add_u32_e32 v101, v0, v7
	s_cselect_b32 s41, s6, s5
	s_lshl_b32 s42, s14, 1
	v_cndmask_b32_e64 v0, 0, 1, s[2:3]
	s_mul_i32 s40, s40, s20
	s_mul_i32 s41, s41, s20
	v_lshlrev_b32_e32 v102, 4, v6
	v_add_u32_e32 v103, s42, v100
	s_lshl_b32 s43, s14, 2
	v_add_u32_e32 v104, s14, v100
	v_cmp_ne_u32_e64 s[2:3], 1, v0
	s_movk_i32 s14, 0x7fff
	s_mov_b32 s44, 0x7f800000
	s_branch .LBB243_13
.LBB243_11:                             ;   in Loop: Header=BB243_13 Depth=1
	s_or_b64 exec, exec, s[8:9]
	v_mov_b32_e32 v82, s21
.LBB243_12:                             ;   in Loop: Header=BB243_13 Depth=1
	s_or_b64 exec, exec, s[6:7]
	v_cmp_le_u32_e32 vcc, s15, v82
	s_or_b64 s[26:27], vcc, s[26:27]
	s_andn2_b64 exec, exec, s[26:27]
	s_cbranch_execz .LBB243_110
.LBB243_13:                             ; =>This Loop Header: Depth=1
                                        ;     Child Loop BB243_17 Depth 2
                                        ;     Child Loop BB243_108 Depth 2
	s_and_b64 vcc, exec, s[2:3]
	v_add_u32_e32 v88, 1, v82
	v_add_u32_e32 v86, 2, v82
	;; [unrolled: 1-line block ×3, first 2 shown]
	v_mov_b32_e32 v13, v1
	s_waitcnt vmcnt(0)
	v_mov_b32_e32 v12, v1
	v_mov_b32_e32 v11, v1
	;; [unrolled: 1-line block ×47, first 2 shown]
	s_cbranch_vccnz .LBB243_30
; %bb.14:                               ;   in Loop: Header=BB243_13 Depth=1
	v_min_u32_e32 v0, s38, v82
	v_mul_lo_u32 v90, v0, s13
	v_min_u32_e32 v0, s38, v88
	v_mul_lo_u32 v92, v0, s13
	;; [unrolled: 2-line block ×3, first 2 shown]
	v_min_u32_e32 v0, s38, v84
	v_mov_b32_e32 v22, 0
	v_mov_b32_e32 v91, v1
	;; [unrolled: 1-line block ×4, first 2 shown]
	v_mul_lo_u32 v96, v0, s13
	v_mov_b32_e32 v97, v1
	s_mov_b32 s4, 0
	v_mov_b32_e32 v83, v102
	s_mov_b32 s10, 0
	v_mov_b32_e32 v23, v22
	v_mov_b32_e32 v24, v22
	;; [unrolled: 1-line block ×47, first 2 shown]
	s_branch .LBB243_17
.LBB243_15:                             ;   in Loop: Header=BB243_17 Depth=2
	s_or_b64 exec, exec, s[8:9]
.LBB243_16:                             ;   in Loop: Header=BB243_17 Depth=2
	s_or_b64 exec, exec, s[6:7]
	s_waitcnt vmcnt(0) lgkmcnt(0)
	v_mfma_f32_4x4x4_16b_bf16 v[50:53], v[70:71], v[62:63], v[50:53]
	s_addk_i32 s10, 0x200
	v_mfma_f32_4x4x4_16b_bf16 v[46:49], v[70:71], v[58:59], v[46:49]
	v_add_u32_e32 v83, 0x400, v83
	v_mfma_f32_4x4x4_16b_bf16 v[42:45], v[70:71], v[66:67], v[42:45]
	s_cmp_ge_u32 s10, s12
	v_mfma_f32_4x4x4_16b_bf16 v[38:41], v[70:71], v[54:55], v[38:41]
	v_mfma_f32_4x4x4_16b_bf16 v[34:37], v[78:79], v[62:63], v[34:37]
	;; [unrolled: 1-line block ×21, first 2 shown]
	s_cbranch_scc1 .LBB243_30
.LBB243_17:                             ;   Parent Loop BB243_13 Depth=1
                                        ; =>  This Inner Loop Header: Depth=2
	v_add_u32_e32 v98, s10, v100
	v_min_u32_e32 v0, s33, v98
	s_waitcnt lgkmcnt(0)
	v_lshl_add_u64 v[54:55], v[0:1], 1, s[22:23]
	v_lshl_add_u64 v[56:57], v[90:91], 1, v[54:55]
	;; [unrolled: 1-line block ×3, first 2 shown]
	global_load_dwordx4 v[62:65], v[56:57], off nt
	s_nop 0
	global_load_dwordx4 v[58:61], v[58:59], off nt
	v_lshl_add_u64 v[56:57], v[94:95], 1, v[54:55]
	v_lshl_add_u64 v[54:55], v[96:97], 1, v[54:55]
	global_load_dwordx4 v[66:69], v[56:57], off nt
	s_nop 0
	global_load_dwordx4 v[54:57], v[54:55], off nt
	s_mov_b32 s5, s4
	v_cmp_gt_u32_e32 vcc, s12, v98
	v_mov_b64_e32 v[70:71], s[4:5]
	v_mov_b32_e32 v75, 0
	v_mov_b32_e32 v74, 0
	;; [unrolled: 1-line block ×4, first 2 shown]
	v_mov_b64_e32 v[72:73], s[4:5]
	v_mov_b64_e32 v[78:79], s[4:5]
	;; [unrolled: 1-line block ×3, first 2 shown]
	s_and_saveexec_b64 s[6:7], vcc
	s_cbranch_execz .LBB243_16
; %bb.18:                               ;   in Loop: Header=BB243_17 Depth=2
	v_cmp_lt_u32_e32 vcc, s14, v98
                                        ; implicit-def: $vgpr70_vgpr71
	s_and_saveexec_b64 s[8:9], vcc
	s_xor_b64 s[8:9], exec, s[8:9]
	s_cbranch_execz .LBB243_20
; %bb.19:                               ;   in Loop: Header=BB243_17 Depth=2
	v_mov_b32_e32 v99, v1
	v_lshl_add_u64 v[70:71], v[98:99], 1, s[16:17]
	global_load_dwordx4 v[70:73], v[70:71], off
.LBB243_20:                             ;   in Loop: Header=BB243_17 Depth=2
	s_andn2_saveexec_b64 s[8:9], s[8:9]
	s_cbranch_execz .LBB243_22
; %bb.21:                               ;   in Loop: Header=BB243_17 Depth=2
	s_waitcnt vmcnt(0)
	ds_read_b128 v[70:73], v83
.LBB243_22:                             ;   in Loop: Header=BB243_17 Depth=2
	s_or_b64 exec, exec, s[8:9]
	v_add_u32_e32 v0, s10, v104
	v_cmp_lt_u32_e32 vcc, s14, v0
                                        ; implicit-def: $vgpr78_vgpr79
	s_and_saveexec_b64 s[8:9], vcc
	s_xor_b64 s[8:9], exec, s[8:9]
	s_cbranch_execz .LBB243_24
; %bb.23:                               ;   in Loop: Header=BB243_17 Depth=2
	v_lshl_add_u64 v[74:75], v[0:1], 1, s[16:17]
	global_load_dwordx4 v[78:81], v[74:75], off
.LBB243_24:                             ;   in Loop: Header=BB243_17 Depth=2
	s_andn2_saveexec_b64 s[8:9], s[8:9]
	s_cbranch_execz .LBB243_26
; %bb.25:                               ;   in Loop: Header=BB243_17 Depth=2
	v_add_u32_e32 v0, s42, v83
	s_waitcnt vmcnt(0)
	ds_read_b128 v[78:81], v0
.LBB243_26:                             ;   in Loop: Header=BB243_17 Depth=2
	s_or_b64 exec, exec, s[8:9]
	v_add_u32_e32 v0, s10, v103
	v_cmp_lt_u32_e32 vcc, s14, v0
                                        ; implicit-def: $vgpr75
	s_and_saveexec_b64 s[8:9], vcc
	s_xor_b64 s[8:9], exec, s[8:9]
	s_cbranch_execz .LBB243_28
; %bb.27:                               ;   in Loop: Header=BB243_17 Depth=2
	v_lshl_add_u64 v[74:75], v[0:1], 1, s[16:17]
	global_load_dwordx4 v[74:77], v[74:75], off
.LBB243_28:                             ;   in Loop: Header=BB243_17 Depth=2
	s_andn2_saveexec_b64 s[8:9], s[8:9]
	s_cbranch_execz .LBB243_15
; %bb.29:                               ;   in Loop: Header=BB243_17 Depth=2
	v_add_u32_e32 v0, s43, v83
	s_waitcnt vmcnt(0)
	ds_read2_b32 v[74:75], v0 offset1:1
	ds_read2_b32 v[76:77], v0 offset0:2 offset1:3
	s_branch .LBB243_15
.LBB243_30:                             ;   in Loop: Header=BB243_13 Depth=1
	v_cvt_i32_f32_e32 v0, v51
	v_cvt_i32_f32_e32 v51, v52
	;; [unrolled: 1-line block ×4, first 2 shown]
	v_cvt_f32_i32_dpp v0, v0 row_shl:1 row_mask:0xf bank_mask:0xf bound_ctrl:1
	v_cvt_f32_i32_dpp v51, v51 row_shl:2 row_mask:0xf bank_mask:0xf bound_ctrl:1
	;; [unrolled: 1-line block ×3, first 2 shown]
	v_cvt_i32_f32_e32 v48, v48
	v_add_f32_e32 v0, v50, v0
	v_add_f32_e32 v0, v0, v51
	v_cvt_i32_f32_e32 v49, v49
	v_add_f32_e32 v0, v0, v52
	v_cvt_i32_f32_e32 v50, v0
	v_cvt_f32_i32_dpp v47, v47 row_shl:1 row_mask:0xf bank_mask:0xf bound_ctrl:1
	v_cvt_f32_i32_dpp v48, v48 row_shl:2 row_mask:0xf bank_mask:0xf bound_ctrl:1
	;; [unrolled: 1-line block ×4, first 2 shown]
	v_add_f32_e32 v46, v46, v47
	v_add_f32_e32 v46, v46, v48
	;; [unrolled: 1-line block ×3, first 2 shown]
	v_cvt_i32_f32_e32 v47, v46
	v_add_f32_e32 v0, v0, v50
	v_cvt_i32_f32_e32 v48, v0
	v_cvt_i32_f32_e32 v43, v43
	v_cvt_f32_i32_dpp v47, v47 row_shl:4 row_mask:0xf bank_mask:0xf bound_ctrl:1
	v_cvt_i32_f32_e32 v44, v44
	v_cvt_f32_i32_dpp v48, v48 row_shl:8 row_mask:0xf bank_mask:0xf bound_ctrl:1
	v_cvt_i32_f32_e32 v45, v45
	v_add_f32_e32 v46, v46, v47
	v_cvt_i32_f32_e32 v47, v46
	v_add_f32_e32 v0, v0, v48
	v_cvt_i32_f32_e32 v0, v0
	v_cvt_f32_i32_dpp v43, v43 row_shl:1 row_mask:0xf bank_mask:0xf bound_ctrl:1
	v_cvt_f32_i32_dpp v44, v44 row_shl:2 row_mask:0xf bank_mask:0xf bound_ctrl:1
	;; [unrolled: 1-line block ×4, first 2 shown]
	v_cvt_f32_i32_dpp v0, v0 row_shr:15 row_mask:0xf bank_mask:0xf bound_ctrl:1
	v_add_f32_e32 v42, v42, v43
	v_add_f32_e32 v42, v42, v44
	v_cvt_i32_f32_e32 v39, v39
	v_add_f32_e32 v46, v46, v47
	v_add_f32_e32 v43, v42, v45
	v_cvt_i32_f32_e32 v40, v40
	v_cvt_i32_f32_e32 v46, v46
	;; [unrolled: 1-line block ×5, first 2 shown]
	v_cvt_f32_i32_dpp v39, v39 row_shl:1 row_mask:0xf bank_mask:0xf bound_ctrl:1
	v_cvt_f32_i32_dpp v40, v40 row_shl:2 row_mask:0xf bank_mask:0xf bound_ctrl:1
	v_cvt_f32_i32_dpp v45, v46 row_shr:15 row_mask:0xf bank_mask:0xf bound_ctrl:1
	v_cvt_f32_i32_dpp v46, v42 row_shl:4 row_mask:0xf bank_mask:0xf bound_ctrl:1
	v_cvt_f32_i32_dpp v41, v41 row_shl:3 row_mask:0xf bank_mask:0xf bound_ctrl:1
	v_cvt_f32_i32_dpp v44, v47 row_bcast:15 row_mask:0xf bank_mask:0xf bound_ctrl:1
	v_add_f32_e32 v38, v38, v39
	v_add_f32_e32 v38, v38, v40
	;; [unrolled: 1-line block ×5, first 2 shown]
	v_cvt_i32_f32_e32 v44, v45
	v_cvt_i32_f32_e32 v46, v43
	;; [unrolled: 1-line block ×4, first 2 shown]
	v_cvt_f32_i32_dpp v41, v44 row_bcast:15 row_mask:0xf bank_mask:0xf bound_ctrl:1
	v_cvt_f32_i32_dpp v46, v46 row_shl:8 row_mask:0xf bank_mask:0xf bound_ctrl:1
	v_cvt_f32_i32_dpp v44, v38 row_shl:4 row_mask:0xf bank_mask:0xf bound_ctrl:1
	v_cvt_i32_f32_e32 v36, v36
	v_cvt_i32_f32_e32 v37, v37
	v_add_f32_e32 v39, v43, v46
	v_add_f32_e32 v40, v40, v44
	v_cvt_i32_f32_e32 v0, v42
	v_cvt_i32_f32_e32 v43, v39
	v_add_f32_e32 v38, v45, v41
	v_cvt_i32_f32_e32 v41, v40
	v_cvt_f32_i32_dpp v35, v35 row_shl:1 row_mask:0xf bank_mask:0xf bound_ctrl:1
	v_cvt_f32_i32_dpp v36, v36 row_shl:2 row_mask:0xf bank_mask:0xf bound_ctrl:1
	;; [unrolled: 1-line block ×3, first 2 shown]
	v_mov_b32_dpp v39, v0 row_bcast:31 row_mask:0xf bank_mask:0xf bound_ctrl:1
	v_cvt_f32_i32_dpp v0, v43 row_shr:15 row_mask:0xf bank_mask:0xf bound_ctrl:1
	v_cvt_f32_i32_dpp v41, v41 row_shl:8 row_mask:0xf bank_mask:0xf bound_ctrl:1
	v_add_f32_e32 v34, v34, v35
	v_add_f32_e32 v34, v34, v36
	;; [unrolled: 1-line block ×3, first 2 shown]
	v_cvt_i32_f32_e32 v35, v34
	v_cvt_i32_f32_e32 v36, v0
	v_add_f32_e32 v37, v40, v41
	v_cvt_i32_f32_e32 v37, v37
	v_cvt_f32_i32_dpp v35, v35 row_shl:4 row_mask:0xf bank_mask:0xf bound_ctrl:1
	v_cvt_f32_i32_dpp v36, v36 row_bcast:15 row_mask:0xf bank_mask:0xf bound_ctrl:1
	v_cvt_i32_f32_e32 v31, v31
	v_cvt_f32_i32_dpp v37, v37 row_shr:15 row_mask:0xf bank_mask:0xf bound_ctrl:1
	v_cvt_i32_f32_e32 v27, v27
	v_add_f32_e32 v41, v34, v35
	v_add_f32_e32 v34, v0, v36
	v_cvt_i32_f32_e32 v32, v32
	v_cvt_i32_f32_e32 v28, v28
	;; [unrolled: 1-line block ×7, first 2 shown]
	v_cvt_f32_i32_dpp v31, v31 row_shl:1 row_mask:0xf bank_mask:0xf bound_ctrl:1
	v_cvt_f32_i32_dpp v27, v27 row_shl:1 row_mask:0xf bank_mask:0xf bound_ctrl:1
	;; [unrolled: 1-line block ×5, first 2 shown]
	v_mov_b32_dpp v35, v0 row_bcast:31 row_mask:0xf bank_mask:0xf bound_ctrl:1
	v_cvt_f32_i32_dpp v0, v43 row_bcast:15 row_mask:0xf bank_mask:0xf bound_ctrl:1
	v_cvt_f32_i32_dpp v33, v33 row_shl:3 row_mask:0xf bank_mask:0xf bound_ctrl:1
	v_cvt_f32_i32_dpp v29, v29 row_shl:3 row_mask:0xf bank_mask:0xf bound_ctrl:1
	v_add_f32_e32 v30, v30, v31
	v_add_f32_e32 v26, v26, v27
	;; [unrolled: 1-line block ×7, first 2 shown]
	v_cvt_i32_f32_e32 v40, v38
	v_cvt_i32_f32_e32 v0, v30
	;; [unrolled: 1-line block ×4, first 2 shown]
	v_mov_b32_dpp v36, v40 row_bcast:31 row_mask:0xf bank_mask:0xf bound_ctrl:1
	v_add_f32_e32 v40, v41, v44
	v_mov_b32_dpp v27, v0 row_bcast:31 row_mask:0xf bank_mask:0xf bound_ctrl:1
	v_cvt_f32_i32_dpp v0, v26 row_shl:4 row_mask:0xf bank_mask:0xf bound_ctrl:1
	v_cvt_i32_f32_e32 v40, v40
	v_cvt_i32_f32_e32 v23, v23
	v_cvt_f32_i32_dpp v32, v32 row_shl:4 row_mask:0xf bank_mask:0xf bound_ctrl:1
	v_add_f32_e32 v0, v28, v0
	v_cvt_i32_f32_e32 v24, v24
	v_cvt_f32_i32_dpp v40, v40 row_shr:15 row_mask:0xf bank_mask:0xf bound_ctrl:1
	v_cvt_i32_f32_e32 v25, v25
	v_cvt_i32_f32_e32 v28, v0
	v_cvt_f32_i32_dpp v23, v23 row_shl:1 row_mask:0xf bank_mask:0xf bound_ctrl:1
	v_add_f32_e32 v31, v31, v32
	v_cvt_f32_i32_dpp v24, v24 row_shl:2 row_mask:0xf bank_mask:0xf bound_ctrl:1
	v_cvt_i32_f32_e32 v33, v40
	v_cvt_i32_f32_e32 v32, v31
	v_cvt_f32_i32_dpp v25, v25 row_shl:3 row_mask:0xf bank_mask:0xf bound_ctrl:1
	v_cvt_f32_i32_dpp v28, v28 row_shl:8 row_mask:0xf bank_mask:0xf bound_ctrl:1
	v_add_f32_e32 v22, v22, v23
	v_add_f32_e32 v22, v22, v24
	v_cvt_f32_i32_dpp v29, v33 row_bcast:15 row_mask:0xf bank_mask:0xf bound_ctrl:1
	v_cvt_f32_i32_dpp v32, v32 row_shl:8 row_mask:0xf bank_mask:0xf bound_ctrl:1
	v_add_f32_e32 v22, v22, v25
	v_add_f32_e32 v0, v0, v28
	v_cvt_i32_f32_e32 v23, v22
	v_cvt_i32_f32_e32 v0, v0
	;; [unrolled: 1-line block ×6, first 2 shown]
	v_add_f32_e32 v26, v40, v29
	v_add_f32_e32 v29, v31, v32
	v_cvt_i32_f32_e32 v21, v21
	v_cvt_i32_f32_e32 v29, v29
	v_cvt_f32_i32_dpp v23, v23 row_shl:4 row_mask:0xf bank_mask:0xf bound_ctrl:1
	v_cvt_i32_f32_e32 v25, v26
	v_cvt_f32_i32_dpp v0, v0 row_shr:15 row_mask:0xf bank_mask:0xf bound_ctrl:1
	v_cvt_f32_i32_dpp v7, v7 row_shl:1 row_mask:0xf bank_mask:0xf bound_ctrl:1
	v_cvt_f32_i32_dpp v19, v19 row_shl:1 row_mask:0xf bank_mask:0xf bound_ctrl:1
	v_cvt_i32_f32_e32 v15, v15
	v_cvt_f32_i32_dpp v8, v8 row_shl:2 row_mask:0xf bank_mask:0xf bound_ctrl:1
	v_cvt_i32_f32_e32 v9, v9
	;; [unrolled: 2-line block ×4, first 2 shown]
	v_cvt_f32_i32_dpp v24, v29 row_shr:15 row_mask:0xf bank_mask:0xf bound_ctrl:1
	v_add_f32_e32 v29, v22, v23
	v_mov_b32_dpp v23, v25 row_bcast:31 row_mask:0xf bank_mask:0xf bound_ctrl:1
	v_cvt_i32_f32_e32 v25, v0
	v_add_f32_e32 v6, v6, v7
	v_add_f32_e32 v18, v18, v19
	v_cvt_f32_i32_dpp v15, v15 row_shl:1 row_mask:0xf bank_mask:0xf bound_ctrl:1
	v_add_f32_e32 v6, v6, v8
	v_cvt_f32_i32_dpp v7, v9 row_shl:3 row_mask:0xf bank_mask:0xf bound_ctrl:1
	v_cvt_i32_f32_e32 v8, v11
	v_add_f32_e32 v18, v18, v20
	v_cvt_f32_i32_dpp v16, v16 row_shl:2 row_mask:0xf bank_mask:0xf bound_ctrl:1
	v_cvt_i32_f32_e32 v9, v12
	v_add_f32_e32 v21, v18, v21
	v_cvt_f32_i32_dpp v17, v17 row_shl:3 row_mask:0xf bank_mask:0xf bound_ctrl:1
	v_cvt_i32_f32_e32 v11, v13
	v_cvt_f32_i32_dpp v25, v25 row_bcast:15 row_mask:0xf bank_mask:0xf bound_ctrl:1
	v_cvt_i32_f32_e32 v18, v21
	v_add_f32_e32 v14, v14, v15
	v_add_f32_e32 v6, v6, v7
	v_cvt_f32_i32_dpp v7, v8 row_shl:1 row_mask:0xf bank_mask:0xf bound_ctrl:1
	v_add_f32_e32 v14, v14, v16
	v_cvt_f32_i32_dpp v8, v9 row_shl:2 row_mask:0xf bank_mask:0xf bound_ctrl:1
	v_add_f32_e32 v15, v14, v17
	v_cvt_f32_i32_dpp v9, v11 row_shl:3 row_mask:0xf bank_mask:0xf bound_ctrl:1
	v_add_f32_e32 v19, v0, v25
	v_cvt_f32_i32_dpp v0, v18 row_shl:4 row_mask:0xf bank_mask:0xf bound_ctrl:1
	v_cvt_i32_f32_e32 v17, v15
	v_add_f32_e32 v7, v10, v7
	v_add_f32_e32 v7, v7, v8
	;; [unrolled: 1-line block ×4, first 2 shown]
	v_cvt_f32_i32_dpp v17, v17 row_shl:4 row_mask:0xf bank_mask:0xf bound_ctrl:1
	v_cvt_i32_f32_e32 v11, v6
	v_cvt_i32_f32_e32 v8, v7
	;; [unrolled: 1-line block ×3, first 2 shown]
	v_add_f32_e32 v15, v15, v17
	v_cvt_f32_i32_dpp v10, v11 row_shl:4 row_mask:0xf bank_mask:0xf bound_ctrl:1
	v_cvt_f32_i32_dpp v8, v8 row_shl:4 row_mask:0xf bank_mask:0xf bound_ctrl:1
	v_cvt_f32_i32_dpp v21, v21 row_shl:8 row_mask:0xf bank_mask:0xf bound_ctrl:1
	v_cvt_i32_f32_e32 v17, v15
	v_add_f32_e32 v6, v6, v10
	v_add_f32_e32 v7, v7, v8
	v_cvt_i32_f32_e32 v28, v24
	v_cvt_i32_f32_e32 v22, v29
	v_add_f32_e32 v0, v0, v21
	v_cvt_f32_i32_dpp v9, v17 row_shl:8 row_mask:0xf bank_mask:0xf bound_ctrl:1
	v_cvt_i32_f32_e32 v10, v6
	v_cvt_i32_f32_e32 v8, v7
	v_cvt_i32_f32_e32 v0, v0
	v_cvt_f32_i32_dpp v28, v28 row_bcast:15 row_mask:0xf bank_mask:0xf bound_ctrl:1
	v_cvt_f32_i32_dpp v31, v22 row_shl:8 row_mask:0xf bank_mask:0xf bound_ctrl:1
	v_add_f32_e32 v9, v15, v9
	v_cvt_f32_i32_dpp v10, v10 row_shl:8 row_mask:0xf bank_mask:0xf bound_ctrl:1
	v_cvt_f32_i32_dpp v8, v8 row_shl:8 row_mask:0xf bank_mask:0xf bound_ctrl:1
	v_cvt_f32_i32_dpp v0, v0 row_shr:15 row_mask:0xf bank_mask:0xf bound_ctrl:1
	v_cvt_i32_f32_e32 v9, v9
	v_add_f32_e32 v22, v24, v28
	v_add_f32_e32 v28, v29, v31
	;; [unrolled: 1-line block ×4, first 2 shown]
	v_cvt_i32_f32_e32 v28, v28
	v_cvt_i32_f32_e32 v11, v0
	v_cvt_f32_i32_dpp v9, v9 row_shr:15 row_mask:0xf bank_mask:0xf bound_ctrl:1
	v_cvt_i32_f32_e32 v6, v6
	v_cvt_i32_f32_e32 v7, v7
	v_cvt_f32_i32_dpp v28, v28 row_shr:15 row_mask:0xf bank_mask:0xf bound_ctrl:1
	v_cvt_f32_i32_dpp v8, v11 row_bcast:15 row_mask:0xf bank_mask:0xf bound_ctrl:1
	v_cvt_f32_i32_dpp v6, v6 row_shr:15 row_mask:0xf bank_mask:0xf bound_ctrl:1
	v_cvt_i32_f32_e32 v10, v9
	v_cvt_f32_i32_dpp v7, v7 row_shr:15 row_mask:0xf bank_mask:0xf bound_ctrl:1
	v_cvt_i32_f32_e32 v24, v22
	v_cvt_i32_f32_e32 v29, v28
	v_add_f32_e32 v13, v0, v8
	v_cvt_i32_f32_e32 v0, v6
	v_cvt_f32_i32_dpp v8, v10 row_bcast:15 row_mask:0xf bank_mask:0xf bound_ctrl:1
	v_cvt_i32_f32_e32 v11, v7
	v_mov_b32_dpp v20, v24 row_bcast:31 row_mask:0xf bank_mask:0xf bound_ctrl:1
	v_cvt_f32_i32_dpp v24, v29 row_bcast:15 row_mask:0xf bank_mask:0xf bound_ctrl:1
	v_cvt_f32_i32_dpp v0, v0 row_bcast:15 row_mask:0xf bank_mask:0xf bound_ctrl:1
	v_add_f32_e32 v10, v9, v8
	v_cvt_f32_i32_dpp v9, v11 row_bcast:15 row_mask:0xf bank_mask:0xf bound_ctrl:1
	v_add_f32_e32 v18, v28, v24
	v_add_f32_e32 v8, v6, v0
	v_cvt_i32_f32_e32 v25, v19
	v_add_f32_e32 v6, v7, v9
	v_cvt_i32_f32_e32 v24, v18
	v_cvt_i32_f32_e32 v12, v13
	;; [unrolled: 1-line block ×5, first 2 shown]
	v_mov_b32_dpp v16, v25 row_bcast:31 row_mask:0xf bank_mask:0xf bound_ctrl:1
	v_mov_b32_dpp v14, v24 row_bcast:31 row_mask:0xf bank_mask:0xf bound_ctrl:1
	;; [unrolled: 1-line block ×6, first 2 shown]
	s_and_saveexec_b64 s[30:31], s[0:1]
	s_cbranch_execz .LBB243_105
; %bb.31:                               ;   in Loop: Header=BB243_13 Depth=1
	s_andn2_b64 vcc, exec, s[28:29]
	v_mov_b32_e32 v40, 0
	v_mov_b32_e32 v37, 0
	v_mov_b32_e32 v33, 0
	v_mov_b32_e32 v32, 0
	v_mov_b32_e32 v31, 0
	v_mov_b32_e32 v29, 0
	v_mov_b32_e32 v28, 0
	v_mov_b32_e32 v25, 0
	v_mov_b32_e32 v24, 0
	v_mov_b32_e32 v21, 0
	v_mov_b32_e32 v17, 0
	v_mov_b32_e32 v12, 0
	s_cbranch_vccnz .LBB243_33
; %bb.32:                               ;   in Loop: Header=BB243_13 Depth=1
	v_mul_hi_u32 v0, v82, v101
	v_mul_lo_u32 v0, v0, s20
	v_sub_u32_e32 v0, v82, v0
	v_subrev_u32_e32 v12, s20, v0
	v_cmp_le_u32_e32 vcc, s20, v0
	v_mov_b32_e32 v29, v1
	v_mov_b32_e32 v45, v1
	v_cndmask_b32_e32 v0, v0, v12, vcc
	v_subrev_u32_e32 v12, s20, v0
	v_cmp_le_u32_e32 vcc, s20, v0
	v_mov_b32_e32 v49, v1
	v_mov_b32_e32 v53, v1
	v_cndmask_b32_e32 v0, v0, v12, vcc
	v_mul_hi_u32 v12, v88, v101
	v_mul_lo_u32 v12, v12, s20
	v_sub_u32_e32 v12, v88, v12
	v_subrev_u32_e32 v17, s20, v12
	v_cmp_le_u32_e32 vcc, s20, v12
	v_add_u32_e32 v28, s40, v0
	v_lshl_add_u64 v[56:57], v[28:29], 1, s[18:19]
	v_cndmask_b32_e32 v12, v12, v17, vcc
	v_subrev_u32_e32 v17, s20, v12
	v_cmp_le_u32_e32 vcc, s20, v12
	v_lshl_add_u64 v[24:25], v[0:1], 1, s[18:19]
	v_add_u32_e32 v0, s41, v0
	v_cndmask_b32_e32 v44, v12, v17, vcc
	v_mul_hi_u32 v12, v86, v101
	v_mul_lo_u32 v12, v12, s20
	v_sub_u32_e32 v12, v86, v12
	v_subrev_u32_e32 v17, s20, v12
	v_cmp_le_u32_e32 vcc, s20, v12
	v_add_u32_e32 v28, s40, v44
	v_lshl_add_u64 v[58:59], v[28:29], 1, s[18:19]
	v_cndmask_b32_e32 v12, v12, v17, vcc
	v_subrev_u32_e32 v17, s20, v12
	v_cmp_le_u32_e32 vcc, s20, v12
	v_lshl_add_u64 v[46:47], v[44:45], 1, s[18:19]
	s_nop 0
	v_cndmask_b32_e32 v48, v12, v17, vcc
	v_mul_hi_u32 v12, v84, v101
	v_mul_lo_u32 v12, v12, s20
	v_sub_u32_e32 v12, v84, v12
	v_subrev_u32_e32 v17, s20, v12
	v_cmp_le_u32_e32 vcc, s20, v12
	v_add_u32_e32 v28, s40, v48
	v_lshl_add_u64 v[60:61], v[28:29], 1, s[18:19]
	v_cndmask_b32_e32 v12, v12, v17, vcc
	v_subrev_u32_e32 v17, s20, v12
	v_cmp_le_u32_e32 vcc, s20, v12
	v_lshl_add_u64 v[50:51], v[48:49], 1, s[18:19]
	s_nop 0
	v_cndmask_b32_e32 v52, v12, v17, vcc
	v_add_u32_e32 v28, s40, v52
	v_lshl_add_u64 v[54:55], v[52:53], 1, s[18:19]
	v_lshl_add_u64 v[62:63], v[28:29], 1, s[18:19]
	global_load_ushort v40, v[24:25], off
	global_load_ushort v37, v[46:47], off
	global_load_ushort v33, v[50:51], off
	global_load_ushort v32, v[54:55], off
	global_load_ushort v31, v[56:57], off
	global_load_ushort v29, v[58:59], off
                                        ; kill: killed $vgpr56_vgpr57
                                        ; kill: killed $vgpr58_vgpr59
                                        ; kill: killed $vgpr46_vgpr47
                                        ; kill: killed $vgpr24_vgpr25
                                        ; kill: killed $vgpr50_vgpr51
                                        ; kill: killed $vgpr54_vgpr55
	global_load_ushort v28, v[60:61], off
	global_load_ushort v25, v[62:63], off
	v_lshl_add_u64 v[46:47], v[0:1], 1, s[18:19]
	v_add_u32_e32 v0, s41, v44
	v_lshl_add_u64 v[44:45], v[0:1], 1, s[18:19]
	v_add_u32_e32 v0, s41, v48
	;; [unrolled: 2-line block ×3, first 2 shown]
	v_lshl_add_u64 v[50:51], v[0:1], 1, s[18:19]
	global_load_ushort v24, v[46:47], off
	global_load_ushort v21, v[44:45], off
	;; [unrolled: 1-line block ×4, first 2 shown]
.LBB243_33:                             ;   in Loop: Header=BB243_13 Depth=1
	v_cmp_ne_u32_e32 vcc, 0, v2
	s_and_saveexec_b64 s[6:7], vcc
	s_cbranch_execnz .LBB243_45
; %bb.34:                               ;   in Loop: Header=BB243_13 Depth=1
	s_or_b64 exec, exec, s[6:7]
	v_cmp_ne_u32_e64 s[4:5], 0, v3
	s_and_saveexec_b64 s[8:9], s[4:5]
	s_cbranch_execnz .LBB243_50
.LBB243_35:                             ;   in Loop: Header=BB243_13 Depth=1
	s_or_b64 exec, exec, s[8:9]
	v_cmp_ne_u32_e64 s[6:7], 0, v4
	s_and_saveexec_b64 s[10:11], s[6:7]
	s_cbranch_execnz .LBB243_55
.LBB243_36:                             ;   in Loop: Header=BB243_13 Depth=1
	s_or_b64 exec, exec, s[10:11]
	v_cmp_ne_u32_e64 s[8:9], 0, v5
	s_and_saveexec_b64 s[34:35], s[8:9]
	s_cbranch_execnz .LBB243_60
.LBB243_37:                             ;   in Loop: Header=BB243_13 Depth=1
	s_or_b64 exec, exec, s[34:35]
	v_add_u32_e32 v0, s15, v82
	s_and_saveexec_b64 s[34:35], vcc
	s_cbranch_execnz .LBB243_65
.LBB243_38:                             ;   in Loop: Header=BB243_13 Depth=1
	s_or_b64 exec, exec, s[34:35]
	s_and_saveexec_b64 s[34:35], s[4:5]
	s_cbranch_execnz .LBB243_70
.LBB243_39:                             ;   in Loop: Header=BB243_13 Depth=1
	s_or_b64 exec, exec, s[34:35]
	s_and_saveexec_b64 s[34:35], s[6:7]
	s_cbranch_execnz .LBB243_75
.LBB243_40:                             ;   in Loop: Header=BB243_13 Depth=1
	s_or_b64 exec, exec, s[34:35]
	s_and_saveexec_b64 s[34:35], s[8:9]
	s_cbranch_execnz .LBB243_80
.LBB243_41:                             ;   in Loop: Header=BB243_13 Depth=1
	s_or_b64 exec, exec, s[34:35]
	v_add_u32_e32 v0, s15, v0
	s_and_saveexec_b64 s[10:11], vcc
	s_cbranch_execnz .LBB243_85
.LBB243_42:                             ;   in Loop: Header=BB243_13 Depth=1
	s_or_b64 exec, exec, s[10:11]
	s_and_saveexec_b64 s[10:11], s[4:5]
	s_cbranch_execnz .LBB243_90
.LBB243_43:                             ;   in Loop: Header=BB243_13 Depth=1
	s_or_b64 exec, exec, s[10:11]
	s_and_saveexec_b64 s[4:5], s[6:7]
	s_cbranch_execnz .LBB243_95
.LBB243_44:                             ;   in Loop: Header=BB243_13 Depth=1
	s_or_b64 exec, exec, s[4:5]
	s_and_b64 exec, exec, s[8:9]
	s_cbranch_execnz .LBB243_100
	s_branch .LBB243_105
.LBB243_45:                             ;   in Loop: Header=BB243_13 Depth=1
	v_cvt_f32_i32_e32 v0, v39
	s_waitcnt vmcnt(11)
	v_lshlrev_b32_e32 v39, 16, v40
	v_add_f32_e32 v0, v42, v0
	v_add_f32_e32 v39, v0, v39
	v_and_b32_e32 v0, 0x7f800000, v39
	v_cmp_ne_u32_e64 s[4:5], s44, v0
                                        ; implicit-def: $vgpr0
	s_and_saveexec_b64 s[8:9], s[4:5]
	s_xor_b64 s[4:5], exec, s[8:9]
; %bb.46:                               ;   in Loop: Header=BB243_13 Depth=1
	v_bfe_u32 v0, v39, 16, 1
	v_add3_u32 v0, v39, v0, s14
                                        ; implicit-def: $vgpr39
; %bb.47:                               ;   in Loop: Header=BB243_13 Depth=1
	s_andn2_saveexec_b64 s[8:9], s[4:5]
; %bb.48:                               ;   in Loop: Header=BB243_13 Depth=1
	v_or_b32_e32 v0, 0x10000, v39
	v_cmp_eq_u32_sdwa s[4:5], v39, v1 src0_sel:WORD_0 src1_sel:DWORD
	s_nop 1
	v_cndmask_b32_e64 v0, v0, v39, s[4:5]
; %bb.49:                               ;   in Loop: Header=BB243_13 Depth=1
	s_or_b64 exec, exec, s[8:9]
	v_mov_b32_e32 v83, v1
	s_waitcnt lgkmcnt(0)
	v_lshl_add_u64 v[40:41], v[82:83], 1, s[24:25]
	global_store_short_d16_hi v[40:41], v0, off
	s_or_b64 exec, exec, s[6:7]
	v_cmp_ne_u32_e64 s[4:5], 0, v3
	s_and_saveexec_b64 s[8:9], s[4:5]
	s_cbranch_execz .LBB243_35
.LBB243_50:                             ;   in Loop: Header=BB243_13 Depth=1
	v_cvt_f32_i32_e32 v0, v36
	s_waitcnt vmcnt(10)
	v_lshlrev_b32_e32 v36, 16, v37
	v_add_f32_e32 v0, v38, v0
	v_add_f32_e32 v36, v0, v36
	v_and_b32_e32 v0, 0x7f800000, v36
	v_cmp_ne_u32_e64 s[6:7], s44, v0
                                        ; implicit-def: $vgpr0
	s_and_saveexec_b64 s[10:11], s[6:7]
	s_xor_b64 s[6:7], exec, s[10:11]
; %bb.51:                               ;   in Loop: Header=BB243_13 Depth=1
	v_bfe_u32 v0, v36, 16, 1
	v_add3_u32 v0, v36, v0, s14
                                        ; implicit-def: $vgpr36
; %bb.52:                               ;   in Loop: Header=BB243_13 Depth=1
	s_andn2_saveexec_b64 s[10:11], s[6:7]
; %bb.53:                               ;   in Loop: Header=BB243_13 Depth=1
	v_or_b32_e32 v0, 0x10000, v36
	v_cmp_eq_u32_sdwa s[6:7], v36, v1 src0_sel:WORD_0 src1_sel:DWORD
	s_nop 1
	v_cndmask_b32_e64 v0, v0, v36, s[6:7]
; %bb.54:                               ;   in Loop: Header=BB243_13 Depth=1
	s_or_b64 exec, exec, s[10:11]
	v_mov_b32_e32 v89, v1
	s_waitcnt lgkmcnt(0)
	v_lshl_add_u64 v[36:37], v[88:89], 1, s[24:25]
	global_store_short_d16_hi v[36:37], v0, off
	s_or_b64 exec, exec, s[8:9]
	v_cmp_ne_u32_e64 s[6:7], 0, v4
	s_and_saveexec_b64 s[10:11], s[6:7]
	s_cbranch_execz .LBB243_36
.LBB243_55:                             ;   in Loop: Header=BB243_13 Depth=1
	v_cvt_f32_i32_e32 v0, v35
	s_waitcnt vmcnt(9)
	v_lshlrev_b32_e32 v33, 16, v33
	v_add_f32_e32 v0, v34, v0
	v_add_f32_e32 v33, v0, v33
	v_and_b32_e32 v0, 0x7f800000, v33
	v_cmp_ne_u32_e64 s[8:9], s44, v0
                                        ; implicit-def: $vgpr0
	s_and_saveexec_b64 s[34:35], s[8:9]
	s_xor_b64 s[8:9], exec, s[34:35]
; %bb.56:                               ;   in Loop: Header=BB243_13 Depth=1
	v_bfe_u32 v0, v33, 16, 1
	v_add3_u32 v0, v33, v0, s14
                                        ; implicit-def: $vgpr33
; %bb.57:                               ;   in Loop: Header=BB243_13 Depth=1
	s_andn2_saveexec_b64 s[34:35], s[8:9]
; %bb.58:                               ;   in Loop: Header=BB243_13 Depth=1
	v_or_b32_e32 v0, 0x10000, v33
	v_cmp_eq_u32_sdwa s[8:9], v33, v1 src0_sel:WORD_0 src1_sel:DWORD
	s_nop 1
	v_cndmask_b32_e64 v0, v0, v33, s[8:9]
; %bb.59:                               ;   in Loop: Header=BB243_13 Depth=1
	s_or_b64 exec, exec, s[34:35]
	v_mov_b32_e32 v87, v1
	s_waitcnt lgkmcnt(0)
	v_lshl_add_u64 v[34:35], v[86:87], 1, s[24:25]
	global_store_short_d16_hi v[34:35], v0, off
	s_or_b64 exec, exec, s[10:11]
	v_cmp_ne_u32_e64 s[8:9], 0, v5
	s_and_saveexec_b64 s[34:35], s[8:9]
	s_cbranch_execz .LBB243_37
.LBB243_60:                             ;   in Loop: Header=BB243_13 Depth=1
	v_cvt_f32_i32_e32 v0, v27
	s_waitcnt vmcnt(8)
	v_lshlrev_b32_e32 v27, 16, v32
	v_add_f32_e32 v0, v30, v0
	v_add_f32_e32 v27, v0, v27
	v_and_b32_e32 v0, 0x7f800000, v27
	v_cmp_ne_u32_e64 s[10:11], s44, v0
                                        ; implicit-def: $vgpr0
	s_and_saveexec_b64 s[36:37], s[10:11]
	s_xor_b64 s[10:11], exec, s[36:37]
; %bb.61:                               ;   in Loop: Header=BB243_13 Depth=1
	v_bfe_u32 v0, v27, 16, 1
	v_add3_u32 v0, v27, v0, s14
                                        ; implicit-def: $vgpr27
; %bb.62:                               ;   in Loop: Header=BB243_13 Depth=1
	s_andn2_saveexec_b64 s[36:37], s[10:11]
; %bb.63:                               ;   in Loop: Header=BB243_13 Depth=1
	v_or_b32_e32 v0, 0x10000, v27
	v_cmp_eq_u32_sdwa s[10:11], v27, v1 src0_sel:WORD_0 src1_sel:DWORD
	s_nop 1
	v_cndmask_b32_e64 v0, v0, v27, s[10:11]
; %bb.64:                               ;   in Loop: Header=BB243_13 Depth=1
	s_or_b64 exec, exec, s[36:37]
	v_mov_b32_e32 v85, v1
	s_waitcnt lgkmcnt(0)
	v_lshl_add_u64 v[32:33], v[84:85], 1, s[24:25]
	global_store_short_d16_hi v[32:33], v0, off
	s_or_b64 exec, exec, s[34:35]
	v_add_u32_e32 v0, s15, v82
	s_and_saveexec_b64 s[34:35], vcc
	s_cbranch_execz .LBB243_38
.LBB243_65:                             ;   in Loop: Header=BB243_13 Depth=1
	v_cvt_f32_i32_e32 v23, v23
	v_add_f32_e32 v23, v26, v23
	s_waitcnt vmcnt(7)
	v_lshlrev_b32_e32 v26, 16, v31
	v_add_f32_e32 v26, v23, v26
	v_and_b32_e32 v23, 0x7f800000, v26
	v_cmp_ne_u32_e64 s[10:11], s44, v23
                                        ; implicit-def: $vgpr23
	s_and_saveexec_b64 s[36:37], s[10:11]
	s_xor_b64 s[10:11], exec, s[36:37]
; %bb.66:                               ;   in Loop: Header=BB243_13 Depth=1
	v_bfe_u32 v23, v26, 16, 1
	v_add3_u32 v23, v26, v23, s14
                                        ; implicit-def: $vgpr26
; %bb.67:                               ;   in Loop: Header=BB243_13 Depth=1
	s_andn2_saveexec_b64 s[36:37], s[10:11]
; %bb.68:                               ;   in Loop: Header=BB243_13 Depth=1
	v_or_b32_e32 v23, 0x10000, v26
	v_cmp_eq_u32_sdwa s[10:11], v26, v1 src0_sel:WORD_0 src1_sel:DWORD
	s_nop 1
	v_cndmask_b32_e64 v23, v23, v26, s[10:11]
; %bb.69:                               ;   in Loop: Header=BB243_13 Depth=1
	s_or_b64 exec, exec, s[36:37]
	s_waitcnt lgkmcnt(0)
	v_lshl_add_u64 v[26:27], v[0:1], 1, s[24:25]
	global_store_short_d16_hi v[26:27], v23, off
	s_or_b64 exec, exec, s[34:35]
	s_and_saveexec_b64 s[34:35], s[4:5]
	s_cbranch_execz .LBB243_39
.LBB243_70:                             ;   in Loop: Header=BB243_13 Depth=1
	v_cvt_f32_i32_e32 v20, v20
	v_add_f32_e32 v20, v22, v20
	s_waitcnt vmcnt(6)
	v_lshlrev_b32_e32 v22, 16, v29
	v_add_f32_e32 v22, v20, v22
	v_and_b32_e32 v20, 0x7f800000, v22
	v_cmp_ne_u32_e64 s[10:11], s44, v20
                                        ; implicit-def: $vgpr20
	s_and_saveexec_b64 s[36:37], s[10:11]
	s_xor_b64 s[10:11], exec, s[36:37]
; %bb.71:                               ;   in Loop: Header=BB243_13 Depth=1
	v_bfe_u32 v20, v22, 16, 1
	v_add3_u32 v20, v22, v20, s14
                                        ; implicit-def: $vgpr22
; %bb.72:                               ;   in Loop: Header=BB243_13 Depth=1
	s_andn2_saveexec_b64 s[36:37], s[10:11]
; %bb.73:                               ;   in Loop: Header=BB243_13 Depth=1
	v_or_b32_e32 v20, 0x10000, v22
	v_cmp_eq_u32_sdwa s[10:11], v22, v1 src0_sel:WORD_0 src1_sel:DWORD
	s_nop 1
	v_cndmask_b32_e64 v20, v20, v22, s[10:11]
; %bb.74:                               ;   in Loop: Header=BB243_13 Depth=1
	s_or_b64 exec, exec, s[36:37]
	v_add_u32_e32 v22, 1, v0
	v_mov_b32_e32 v23, v1
	s_waitcnt lgkmcnt(0)
	v_lshl_add_u64 v[22:23], v[22:23], 1, s[24:25]
	global_store_short_d16_hi v[22:23], v20, off
	s_or_b64 exec, exec, s[34:35]
	s_and_saveexec_b64 s[34:35], s[6:7]
	s_cbranch_execz .LBB243_40
.LBB243_75:                             ;   in Loop: Header=BB243_13 Depth=1
	v_cvt_f32_i32_e32 v16, v16
	v_add_f32_e32 v16, v19, v16
	s_waitcnt vmcnt(5)
	v_lshlrev_b32_e32 v19, 16, v28
	v_add_f32_e32 v19, v16, v19
	v_and_b32_e32 v16, 0x7f800000, v19
	v_cmp_ne_u32_e64 s[10:11], s44, v16
                                        ; implicit-def: $vgpr16
	s_and_saveexec_b64 s[36:37], s[10:11]
	s_xor_b64 s[10:11], exec, s[36:37]
; %bb.76:                               ;   in Loop: Header=BB243_13 Depth=1
	v_bfe_u32 v16, v19, 16, 1
	v_add3_u32 v16, v19, v16, s14
                                        ; implicit-def: $vgpr19
; %bb.77:                               ;   in Loop: Header=BB243_13 Depth=1
	s_andn2_saveexec_b64 s[36:37], s[10:11]
; %bb.78:                               ;   in Loop: Header=BB243_13 Depth=1
	v_or_b32_e32 v16, 0x10000, v19
	v_cmp_eq_u32_sdwa s[10:11], v19, v1 src0_sel:WORD_0 src1_sel:DWORD
	s_nop 1
	v_cndmask_b32_e64 v16, v16, v19, s[10:11]
; %bb.79:                               ;   in Loop: Header=BB243_13 Depth=1
	s_or_b64 exec, exec, s[36:37]
	v_add_u32_e32 v22, 2, v0
	v_mov_b32_e32 v23, v1
	s_waitcnt lgkmcnt(0)
	v_lshl_add_u64 v[22:23], v[22:23], 1, s[24:25]
	global_store_short_d16_hi v[22:23], v16, off
	s_or_b64 exec, exec, s[34:35]
	s_and_saveexec_b64 s[34:35], s[8:9]
	s_cbranch_execz .LBB243_41
.LBB243_80:                             ;   in Loop: Header=BB243_13 Depth=1
	v_cvt_f32_i32_e32 v14, v14
	s_waitcnt vmcnt(4)
	v_lshlrev_b32_e32 v16, 16, v25
	v_add_f32_e32 v14, v18, v14
	v_add_f32_e32 v16, v14, v16
	v_and_b32_e32 v14, 0x7f800000, v16
	v_cmp_ne_u32_e64 s[10:11], s44, v14
                                        ; implicit-def: $vgpr14
	s_and_saveexec_b64 s[36:37], s[10:11]
	s_xor_b64 s[10:11], exec, s[36:37]
; %bb.81:                               ;   in Loop: Header=BB243_13 Depth=1
	v_bfe_u32 v14, v16, 16, 1
	v_add3_u32 v14, v16, v14, s14
                                        ; implicit-def: $vgpr16
; %bb.82:                               ;   in Loop: Header=BB243_13 Depth=1
	s_andn2_saveexec_b64 s[36:37], s[10:11]
; %bb.83:                               ;   in Loop: Header=BB243_13 Depth=1
	v_or_b32_e32 v14, 0x10000, v16
	v_cmp_eq_u32_sdwa s[10:11], v16, v1 src0_sel:WORD_0 src1_sel:DWORD
	s_nop 1
	v_cndmask_b32_e64 v14, v14, v16, s[10:11]
; %bb.84:                               ;   in Loop: Header=BB243_13 Depth=1
	s_or_b64 exec, exec, s[36:37]
	v_add_u32_e32 v18, 3, v0
	v_mov_b32_e32 v19, v1
	s_waitcnt lgkmcnt(0)
	v_lshl_add_u64 v[18:19], v[18:19], 1, s[24:25]
	global_store_short_d16_hi v[18:19], v14, off
	s_or_b64 exec, exec, s[34:35]
	v_add_u32_e32 v0, s15, v0
	s_and_saveexec_b64 s[10:11], vcc
	s_cbranch_execz .LBB243_42
.LBB243_85:                             ;   in Loop: Header=BB243_13 Depth=1
	v_cvt_f32_i32_e32 v14, v15
	v_add_f32_e32 v13, v13, v14
	s_waitcnt vmcnt(3)
	v_lshlrev_b32_e32 v14, 16, v24
	v_add_f32_e32 v14, v13, v14
	v_and_b32_e32 v13, 0x7f800000, v14
	v_cmp_ne_u32_e32 vcc, s44, v13
                                        ; implicit-def: $vgpr13
	s_and_saveexec_b64 s[34:35], vcc
	s_xor_b64 s[34:35], exec, s[34:35]
; %bb.86:                               ;   in Loop: Header=BB243_13 Depth=1
	v_bfe_u32 v13, v14, 16, 1
	v_add3_u32 v13, v14, v13, s14
                                        ; implicit-def: $vgpr14
; %bb.87:                               ;   in Loop: Header=BB243_13 Depth=1
	s_andn2_saveexec_b64 s[34:35], s[34:35]
; %bb.88:                               ;   in Loop: Header=BB243_13 Depth=1
	v_or_b32_e32 v13, 0x10000, v14
	v_cmp_eq_u32_sdwa vcc, v14, v1 src0_sel:WORD_0 src1_sel:DWORD
	s_nop 1
	v_cndmask_b32_e32 v13, v13, v14, vcc
; %bb.89:                               ;   in Loop: Header=BB243_13 Depth=1
	s_or_b64 exec, exec, s[34:35]
	s_waitcnt lgkmcnt(0)
	v_lshl_add_u64 v[14:15], v[0:1], 1, s[24:25]
	global_store_short_d16_hi v[14:15], v13, off
	s_or_b64 exec, exec, s[10:11]
	s_and_saveexec_b64 s[10:11], s[4:5]
	s_cbranch_execz .LBB243_43
.LBB243_90:                             ;   in Loop: Header=BB243_13 Depth=1
	v_cvt_f32_i32_e32 v11, v11
	v_add_f32_e32 v10, v10, v11
	s_waitcnt vmcnt(2)
	v_lshlrev_b32_e32 v11, 16, v21
	v_add_f32_e32 v11, v10, v11
	v_and_b32_e32 v10, 0x7f800000, v11
	v_cmp_ne_u32_e32 vcc, s44, v10
                                        ; implicit-def: $vgpr10
	s_and_saveexec_b64 s[4:5], vcc
	s_xor_b64 s[4:5], exec, s[4:5]
; %bb.91:                               ;   in Loop: Header=BB243_13 Depth=1
	v_bfe_u32 v10, v11, 16, 1
	v_add3_u32 v10, v11, v10, s14
                                        ; implicit-def: $vgpr11
; %bb.92:                               ;   in Loop: Header=BB243_13 Depth=1
	s_andn2_saveexec_b64 s[4:5], s[4:5]
; %bb.93:                               ;   in Loop: Header=BB243_13 Depth=1
	v_or_b32_e32 v10, 0x10000, v11
	v_cmp_eq_u32_sdwa vcc, v11, v1 src0_sel:WORD_0 src1_sel:DWORD
	s_nop 1
	v_cndmask_b32_e32 v10, v10, v11, vcc
; %bb.94:                               ;   in Loop: Header=BB243_13 Depth=1
	s_or_b64 exec, exec, s[4:5]
	v_add_u32_e32 v14, 1, v0
	v_mov_b32_e32 v15, v1
	s_waitcnt lgkmcnt(0)
	v_lshl_add_u64 v[14:15], v[14:15], 1, s[24:25]
	global_store_short_d16_hi v[14:15], v10, off
	s_or_b64 exec, exec, s[10:11]
	s_and_saveexec_b64 s[4:5], s[6:7]
	s_cbranch_execz .LBB243_44
.LBB243_95:                             ;   in Loop: Header=BB243_13 Depth=1
	v_cvt_f32_i32_e32 v9, v9
	v_add_f32_e32 v8, v8, v9
	s_waitcnt vmcnt(1)
	v_lshlrev_b32_e32 v9, 16, v17
	v_add_f32_e32 v9, v8, v9
	v_and_b32_e32 v8, 0x7f800000, v9
	v_cmp_ne_u32_e32 vcc, s44, v8
                                        ; implicit-def: $vgpr8
	s_and_saveexec_b64 s[6:7], vcc
	s_xor_b64 s[6:7], exec, s[6:7]
; %bb.96:                               ;   in Loop: Header=BB243_13 Depth=1
	v_bfe_u32 v8, v9, 16, 1
	v_add3_u32 v8, v9, v8, s14
                                        ; implicit-def: $vgpr9
; %bb.97:                               ;   in Loop: Header=BB243_13 Depth=1
	s_andn2_saveexec_b64 s[6:7], s[6:7]
; %bb.98:                               ;   in Loop: Header=BB243_13 Depth=1
	v_or_b32_e32 v8, 0x10000, v9
	v_cmp_eq_u32_sdwa vcc, v9, v1 src0_sel:WORD_0 src1_sel:DWORD
	s_nop 1
	v_cndmask_b32_e32 v8, v8, v9, vcc
; %bb.99:                               ;   in Loop: Header=BB243_13 Depth=1
	s_or_b64 exec, exec, s[6:7]
	v_add_u32_e32 v10, 2, v0
	v_mov_b32_e32 v11, v1
	s_waitcnt lgkmcnt(0)
	v_lshl_add_u64 v[10:11], v[10:11], 1, s[24:25]
	global_store_short_d16_hi v[10:11], v8, off
	s_or_b64 exec, exec, s[4:5]
	s_and_b64 exec, exec, s[8:9]
	s_cbranch_execz .LBB243_105
.LBB243_100:                            ;   in Loop: Header=BB243_13 Depth=1
	v_cvt_f32_i32_e32 v7, v7
	v_add_f32_e32 v6, v6, v7
	s_waitcnt vmcnt(0)
	v_lshlrev_b32_e32 v7, 16, v12
	v_add_f32_e32 v7, v6, v7
	v_and_b32_e32 v6, 0x7f800000, v7
	v_cmp_ne_u32_e32 vcc, s44, v6
                                        ; implicit-def: $vgpr6
	s_and_saveexec_b64 s[4:5], vcc
	s_xor_b64 s[4:5], exec, s[4:5]
; %bb.101:                              ;   in Loop: Header=BB243_13 Depth=1
	v_bfe_u32 v6, v7, 16, 1
	v_add3_u32 v6, v7, v6, s14
                                        ; implicit-def: $vgpr7
; %bb.102:                              ;   in Loop: Header=BB243_13 Depth=1
	s_andn2_saveexec_b64 s[4:5], s[4:5]
; %bb.103:                              ;   in Loop: Header=BB243_13 Depth=1
	v_or_b32_e32 v6, 0x10000, v7
	v_cmp_eq_u32_sdwa vcc, v7, v1 src0_sel:WORD_0 src1_sel:DWORD
	s_nop 1
	v_cndmask_b32_e32 v6, v6, v7, vcc
; %bb.104:                              ;   in Loop: Header=BB243_13 Depth=1
	s_or_b64 exec, exec, s[4:5]
	v_add_u32_e32 v0, 3, v0
	s_waitcnt lgkmcnt(0)
	v_lshl_add_u64 v[8:9], v[0:1], 1, s[24:25]
	global_store_short_d16_hi v[8:9], v6, off
.LBB243_105:                            ;   in Loop: Header=BB243_13 Depth=1
	s_or_b64 exec, exec, s[30:31]
	v_add_u32_e32 v82, s39, v82
	v_add_u32_e32 v0, 4, v82
	v_cmp_gt_u32_e32 vcc, s15, v82
	v_cmp_le_u32_e64 s[4:5], s15, v0
	s_and_b64 s[4:5], vcc, s[4:5]
	s_and_saveexec_b64 s[6:7], s[4:5]
	s_cbranch_execz .LBB243_12
; %bb.106:                              ;   in Loop: Header=BB243_13 Depth=1
	v_cmp_ne_u32_e32 vcc, s21, v82
	s_and_saveexec_b64 s[8:9], vcc
	s_cbranch_execz .LBB243_11
; %bb.107:                              ;   in Loop: Header=BB243_13 Depth=1
	v_subrev_u32_e32 v0, s21, v82
	v_cmp_lt_u32_e32 vcc, 1, v0
	s_mov_b64 s[10:11], 0
	s_mov_b64 s[30:31], 0
	v_cndmask_b32_e32 v0, 1, v0, vcc
.LBB243_108:                            ;   Parent Loop BB243_13 Depth=1
                                        ; =>  This Inner Loop Header: Depth=2
	s_cmp_lg_u32 s30, 3
	s_cselect_b64 vcc, -1, 0
	s_cmp_lg_u32 s30, 2
	v_cndmask_b32_e32 v5, 0, v5, vcc
	s_cselect_b64 vcc, -1, 0
	s_cmp_lg_u32 s30, 1
	v_cndmask_b32_e32 v4, 0, v4, vcc
	;; [unrolled: 3-line block ×3, first 2 shown]
	s_cselect_b64 vcc, -1, 0
	s_add_u32 s30, s30, 1
	s_addc_u32 s31, s31, 0
	v_cmp_eq_u32_e64 s[4:5], s30, v0
	s_or_b64 s[10:11], s[4:5], s[10:11]
	v_cndmask_b32_e32 v2, 0, v2, vcc
	s_andn2_b64 exec, exec, s[10:11]
	s_cbranch_execnz .LBB243_108
; %bb.109:                              ;   in Loop: Header=BB243_13 Depth=1
	s_or_b64 exec, exec, s[10:11]
	s_branch .LBB243_11
.LBB243_110:
	s_endpgm
	.section	.rodata,"a",@progbits
	.p2align	6, 0x0
	.amdhsa_kernel _Z12wvSplitK_hf_I14__hip_bfloat16Li64ELi4ELi16ELi8ELi1ELi3EEviiiiiiPKT_S3_S3_PS1_ii
		.amdhsa_group_segment_fixed_size 65536
		.amdhsa_private_segment_fixed_size 0
		.amdhsa_kernarg_size 64
		.amdhsa_user_sgpr_count 2
		.amdhsa_user_sgpr_dispatch_ptr 0
		.amdhsa_user_sgpr_queue_ptr 0
		.amdhsa_user_sgpr_kernarg_segment_ptr 1
		.amdhsa_user_sgpr_dispatch_id 0
		.amdhsa_user_sgpr_kernarg_preload_length 0
		.amdhsa_user_sgpr_kernarg_preload_offset 0
		.amdhsa_user_sgpr_private_segment_size 0
		.amdhsa_uses_dynamic_stack 0
		.amdhsa_enable_private_segment 0
		.amdhsa_system_sgpr_workgroup_id_x 1
		.amdhsa_system_sgpr_workgroup_id_y 0
		.amdhsa_system_sgpr_workgroup_id_z 0
		.amdhsa_system_sgpr_workgroup_info 0
		.amdhsa_system_vgpr_workitem_id 1
		.amdhsa_next_free_vgpr 105
		.amdhsa_next_free_sgpr 45
		.amdhsa_accum_offset 108
		.amdhsa_reserve_vcc 1
		.amdhsa_float_round_mode_32 0
		.amdhsa_float_round_mode_16_64 0
		.amdhsa_float_denorm_mode_32 3
		.amdhsa_float_denorm_mode_16_64 3
		.amdhsa_dx10_clamp 1
		.amdhsa_ieee_mode 1
		.amdhsa_fp16_overflow 0
		.amdhsa_tg_split 0
		.amdhsa_exception_fp_ieee_invalid_op 0
		.amdhsa_exception_fp_denorm_src 0
		.amdhsa_exception_fp_ieee_div_zero 0
		.amdhsa_exception_fp_ieee_overflow 0
		.amdhsa_exception_fp_ieee_underflow 0
		.amdhsa_exception_fp_ieee_inexact 0
		.amdhsa_exception_int_div_zero 0
	.end_amdhsa_kernel
	.section	.text._Z12wvSplitK_hf_I14__hip_bfloat16Li64ELi4ELi16ELi8ELi1ELi3EEviiiiiiPKT_S3_S3_PS1_ii,"axG",@progbits,_Z12wvSplitK_hf_I14__hip_bfloat16Li64ELi4ELi16ELi8ELi1ELi3EEviiiiiiPKT_S3_S3_PS1_ii,comdat
.Lfunc_end243:
	.size	_Z12wvSplitK_hf_I14__hip_bfloat16Li64ELi4ELi16ELi8ELi1ELi3EEviiiiiiPKT_S3_S3_PS1_ii, .Lfunc_end243-_Z12wvSplitK_hf_I14__hip_bfloat16Li64ELi4ELi16ELi8ELi1ELi3EEviiiiiiPKT_S3_S3_PS1_ii
                                        ; -- End function
	.section	.AMDGPU.csdata,"",@progbits
; Kernel info:
; codeLenInByte = 5636
; NumSgprs: 51
; NumVgprs: 105
; NumAgprs: 0
; TotalNumVgprs: 105
; ScratchSize: 0
; MemoryBound: 1
; FloatMode: 240
; IeeeMode: 1
; LDSByteSize: 65536 bytes/workgroup (compile time only)
; SGPRBlocks: 6
; VGPRBlocks: 13
; NumSGPRsForWavesPerEU: 51
; NumVGPRsForWavesPerEU: 105
; AccumOffset: 108
; Occupancy: 4
; WaveLimiterHint : 0
; COMPUTE_PGM_RSRC2:SCRATCH_EN: 0
; COMPUTE_PGM_RSRC2:USER_SGPR: 2
; COMPUTE_PGM_RSRC2:TRAP_HANDLER: 0
; COMPUTE_PGM_RSRC2:TGID_X_EN: 1
; COMPUTE_PGM_RSRC2:TGID_Y_EN: 0
; COMPUTE_PGM_RSRC2:TGID_Z_EN: 0
; COMPUTE_PGM_RSRC2:TIDIG_COMP_CNT: 1
; COMPUTE_PGM_RSRC3_GFX90A:ACCUM_OFFSET: 26
; COMPUTE_PGM_RSRC3_GFX90A:TG_SPLIT: 0
	.section	.text._Z16wvSplitK_hf_big_I14__hip_bfloat16Li64ELi4ELi16ELi8ELi1ELi3EEviiiiiiPKT_S3_S3_PS1_ii,"axG",@progbits,_Z16wvSplitK_hf_big_I14__hip_bfloat16Li64ELi4ELi16ELi8ELi1ELi3EEviiiiiiPKT_S3_S3_PS1_ii,comdat
	.protected	_Z16wvSplitK_hf_big_I14__hip_bfloat16Li64ELi4ELi16ELi8ELi1ELi3EEviiiiiiPKT_S3_S3_PS1_ii ; -- Begin function _Z16wvSplitK_hf_big_I14__hip_bfloat16Li64ELi4ELi16ELi8ELi1ELi3EEviiiiiiPKT_S3_S3_PS1_ii
	.globl	_Z16wvSplitK_hf_big_I14__hip_bfloat16Li64ELi4ELi16ELi8ELi1ELi3EEviiiiiiPKT_S3_S3_PS1_ii
	.p2align	8
	.type	_Z16wvSplitK_hf_big_I14__hip_bfloat16Li64ELi4ELi16ELi8ELi1ELi3EEviiiiiiPKT_S3_S3_PS1_ii,@function
_Z16wvSplitK_hf_big_I14__hip_bfloat16Li64ELi4ELi16ELi8ELi1ELi3EEviiiiiiPKT_S3_S3_PS1_ii: ; @_Z16wvSplitK_hf_big_I14__hip_bfloat16Li64ELi4ELi16ELi8ELi1ELi3EEviiiiiiPKT_S3_S3_PS1_ii
; %bb.0:
	s_load_dwordx2 s[8:9], s[0:1], 0x38
	v_bfe_u32 v7, v0, 10, 10
	s_waitcnt lgkmcnt(0)
	v_cmp_gt_u32_e32 vcc, s8, v7
	s_and_saveexec_b64 s[4:5], vcc
	s_cbranch_execz .LBB244_110
; %bb.1:
	s_load_dwordx4 s[24:27], s[0:1], 0x0
	s_mul_i32 s2, s2, s8
	v_add_lshl_u32 v82, s2, v7, 2
	s_mov_b32 s4, 1
	v_add_u32_e32 v1, 4, v82
	s_mov_b32 s5, s4
	s_waitcnt lgkmcnt(0)
	v_cmp_gt_u32_e32 vcc, s27, v82
	v_cmp_le_u32_e64 s[2:3], s27, v1
	s_mov_b32 s6, s4
	s_mov_b32 s7, s4
	v_mov_b64_e32 v[2:3], s[4:5]
	s_and_b64 s[10:11], vcc, s[2:3]
	v_mov_b64_e32 v[4:5], s[6:7]
	s_and_saveexec_b64 s[2:3], s[10:11]
	s_cbranch_execz .LBB244_7
; %bb.2:
	s_add_i32 s16, s27, -4
	v_mov_b64_e32 v[2:3], s[4:5]
	v_cmp_ne_u32_e32 vcc, s16, v82
	v_mov_b64_e32 v[4:5], s[6:7]
	s_and_saveexec_b64 s[10:11], vcc
	s_cbranch_execz .LBB244_6
; %bb.3:
	v_subrev_u32_e32 v1, s16, v82
	v_cmp_lt_u32_e32 vcc, 1, v1
	s_mov_b64 s[12:13], 0
	s_mov_b64 s[14:15], 0
	v_cndmask_b32_e32 v6, 1, v1, vcc
	s_mov_b32 s5, s4
	s_mov_b32 s6, s4
	;; [unrolled: 1-line block ×3, first 2 shown]
.LBB244_4:                              ; =>This Inner Loop Header: Depth=1
	s_cmp_lg_u32 s14, 3
	s_cselect_b32 s7, s7, 0
	s_cmp_lg_u32 s14, 2
	s_cselect_b32 s6, s6, 0
	;; [unrolled: 2-line block ×4, first 2 shown]
	s_add_u32 s14, s14, 1
	s_addc_u32 s15, s15, 0
	v_cmp_eq_u32_e32 vcc, s14, v6
	v_mov_b64_e32 v[2:3], s[4:5]
	s_or_b64 s[12:13], vcc, s[12:13]
	v_mov_b64_e32 v[4:5], s[6:7]
	s_andn2_b64 exec, exec, s[12:13]
	s_cbranch_execnz .LBB244_4
; %bb.5:
	s_or_b64 exec, exec, s[12:13]
	v_mov_b32_e32 v82, s16
.LBB244_6:
	s_or_b64 exec, exec, s[10:11]
.LBB244_7:
	s_or_b64 exec, exec, s[2:3]
	s_lshl_b32 s2, s8, 2
	s_abs_i32 s3, s2
	v_cvt_f32_u32_e32 v1, s3
	s_sub_i32 s6, 0, s3
	s_abs_i32 s5, s27
	s_ashr_i32 s4, s27, 31
	v_rcp_iflag_f32_e32 v1, v1
	s_nop 0
	v_mul_f32_e32 v1, 0x4f7ffffe, v1
	v_cvt_u32_f32_e32 v1, v1
	s_nop 0
	v_readfirstlane_b32 s7, v1
	s_mul_i32 s6, s6, s7
	s_mul_hi_u32 s6, s7, s6
	s_add_i32 s7, s7, s6
	s_mul_hi_u32 s6, s5, s7
	s_mul_i32 s6, s6, s3
	s_sub_i32 s5, s5, s6
	s_sub_i32 s6, s5, s3
	s_cmp_ge_u32 s5, s3
	s_cselect_b32 s5, s6, s5
	s_sub_i32 s6, s5, s3
	s_cmp_ge_u32 s5, s3
	s_cselect_b32 s3, s6, s5
	s_xor_b32 s3, s3, s4
	s_sub_i32 s3, s3, s4
	s_add_i32 s2, s2, s27
	s_sub_i32 s2, s2, s3
	s_cmp_eq_u32 s3, 0
	s_cselect_b32 s33, s27, s2
	v_cmp_gt_u32_e32 vcc, s33, v82
	s_and_b64 exec, exec, vcc
	s_cbranch_execz .LBB244_110
; %bb.8:
	s_load_dwordx8 s[16:23], s[0:1], 0x10
	s_min_u32 s44, s26, 0x2a00
	s_cmp_lg_u32 s24, 0
	s_load_dwordx2 s[14:15], s[0:1], 0x30
	s_cselect_b64 s[2:3], -1, 0
	s_cmp_lg_u32 s26, 0
	s_mul_i32 s0, s9, s8
	s_cselect_b64 s[4:5], -1, 0
	s_lshl_b32 s45, s8, 9
	s_add_i32 s46, s24, -8
	s_add_i32 s47, s27, -1
	s_lshl_b32 s48, s0, 2
	s_waitcnt lgkmcnt(0)
	s_cmp_lg_u64 s[22:23], 0
	s_cselect_b64 s[30:31], -1, 0
	s_abs_i32 s6, s17
	v_cvt_f32_u32_e32 v1, s16
	v_cvt_f32_u32_e32 v6, s6
	s_sub_i32 s7, 0, s16
	s_add_i32 s17, s27, -4
	v_rcp_iflag_f32_e32 v1, v1
	v_rcp_iflag_f32_e32 v6, v6
	v_and_b32_e32 v0, 0x3ff, v0
	v_lshlrev_b32_e32 v92, 3, v0
	v_mul_f32_e32 v1, 0x4f7ffffe, v1
	v_mul_f32_e32 v6, 0x4f7ffffe, v6
	v_cvt_u32_f32_e32 v1, v1
	v_cvt_u32_f32_e32 v6, v6
	v_cmp_eq_u32_e64 s[0:1], 63, v0
	v_lshlrev_b32_e32 v0, 4, v0
	v_mul_lo_u32 v8, s7, v1
	s_sub_i32 s7, 0, s6
	v_readfirstlane_b32 s9, v6
	s_mul_i32 s7, s7, s9
	s_mul_hi_u32 s7, s9, s7
	s_add_i32 s9, s9, s7
	s_sub_i32 s7, 1, s6
	s_cmp_lt_u32 s6, 2
	s_cselect_b32 s7, s7, 1
	s_sub_i32 s10, s7, s6
	s_cmp_ge_u32 s7, s6
	s_cselect_b32 s49, s10, s7
	s_lshr_b32 s7, s9, 31
	s_mul_i32 s7, s7, s6
	s_sub_i32 s7, 2, s7
	s_sub_i32 s9, s7, s6
	s_cmp_ge_u32 s7, s6
	s_cselect_b32 s7, s9, s7
	s_sub_i32 s9, s7, s6
	s_cmp_ge_u32 s7, s6
	v_lshl_add_u32 v94, v7, 10, v0
	v_cndmask_b32_e64 v0, 0, 1, s[2:3]
	v_mul_hi_u32 v8, v1, v8
	s_cselect_b32 s50, s9, s7
	s_add_u32 s34, s14, 2
	v_lshl_add_u32 v95, v7, 9, v92
	v_cmp_ne_u32_e64 s[2:3], 1, v0
	v_cndmask_b32_e64 v0, 0, 1, s[4:5]
	s_mov_b64 s[28:29], 0
	v_add_u32_e32 v93, v1, v8
	v_mov_b32_e32 v1, 0
	s_mul_i32 s49, s49, s16
	s_mul_i32 s50, s50, s16
	s_addc_u32 s35, s15, 0
	s_lshl_b32 s51, s44, 2
	s_lshl_b32 s52, s8, 10
	;; [unrolled: 1-line block ×3, first 2 shown]
	v_lshl_add_u32 v96, s26, 1, v95
	v_add_u32_e32 v97, s26, v95
	s_mov_b32 s54, 0x7f800000
	s_movk_i32 s55, 0x7fff
	v_cmp_ne_u32_e64 s[4:5], 1, v0
	s_branch .LBB244_12
.LBB244_9:                              ;   in Loop: Header=BB244_12 Depth=1
	s_or_b64 exec, exec, s[10:11]
	v_mov_b32_e32 v82, s17
.LBB244_10:                             ;   in Loop: Header=BB244_12 Depth=1
	s_or_b64 exec, exec, s[8:9]
.LBB244_11:                             ;   in Loop: Header=BB244_12 Depth=1
	s_or_b64 exec, exec, s[36:37]
	v_cmp_le_u32_e32 vcc, s33, v82
	s_or_b64 s[28:29], vcc, s[28:29]
	s_andn2_b64 exec, exec, s[28:29]
	s_cbranch_execz .LBB244_110
.LBB244_12:                             ; =>This Loop Header: Depth=1
                                        ;     Child Loop BB244_16 Depth 2
                                        ;       Child Loop BB244_21 Depth 3
                                        ;     Child Loop BB244_108 Depth 2
	s_and_b64 vcc, exec, s[2:3]
	v_mov_b32_e32 v9, v1
	v_mov_b32_e32 v8, v1
	s_waitcnt vmcnt(8)
	v_mov_b32_e32 v7, v1
	v_mov_b32_e32 v6, v1
	;; [unrolled: 1-line block ×8, first 2 shown]
	s_waitcnt vmcnt(0)
	v_mov_b32_e32 v15, v1
	v_mov_b32_e32 v14, v1
	;; [unrolled: 1-line block ×38, first 2 shown]
	s_cbranch_vccnz .LBB244_27
; %bb.13:                               ;   in Loop: Header=BB244_12 Depth=1
	v_min_u32_e32 v0, s47, v82
	v_mul_lo_u32 v84, v0, s25
	v_add_u32_e32 v0, 1, v82
	v_min_u32_e32 v0, s47, v0
	v_mul_lo_u32 v86, v0, s25
	v_add_u32_e32 v0, 2, v82
	;; [unrolled: 3-line block ×3, first 2 shown]
	v_min_u32_e32 v0, s47, v0
	v_mov_b32_e32 v22, 0
	v_cmp_gt_u32_e64 s[6:7], s27, v82
	v_mov_b32_e32 v85, v1
	v_mov_b32_e32 v87, v1
	;; [unrolled: 1-line block ×3, first 2 shown]
	v_mul_lo_u32 v90, v0, s25
	v_mov_b32_e32 v91, v1
	s_mov_b32 s36, 0
	s_mov_b32 s37, 0
	v_mov_b32_e32 v23, v22
	v_mov_b32_e32 v24, v22
	;; [unrolled: 1-line block ×47, first 2 shown]
	s_branch .LBB244_16
.LBB244_14:                             ;   in Loop: Header=BB244_16 Depth=2
	s_or_b64 exec, exec, s[10:11]
	s_waitcnt vmcnt(3) lgkmcnt(2)
	v_mfma_f32_4x4x4_16b_bf16 v[50:53], v[78:79], v[58:59], v[50:53]
	s_waitcnt vmcnt(2)
	v_mfma_f32_4x4x4_16b_bf16 v[46:49], v[78:79], v[54:55], v[46:49]
	s_waitcnt vmcnt(1)
	v_mfma_f32_4x4x4_16b_bf16 v[42:45], v[78:79], v[66:67], v[42:45]
	s_waitcnt vmcnt(0)
	v_mfma_f32_4x4x4_16b_bf16 v[38:41], v[78:79], v[62:63], v[38:41]
	s_waitcnt lgkmcnt(1)
	v_mfma_f32_4x4x4_16b_bf16 v[34:37], v[74:75], v[58:59], v[34:37]
	v_mfma_f32_4x4x4_16b_bf16 v[30:33], v[74:75], v[54:55], v[30:33]
	;; [unrolled: 1-line block ×4, first 2 shown]
	s_waitcnt lgkmcnt(0)
	v_mfma_f32_4x4x4_16b_bf16 v[18:21], v[70:71], v[58:59], v[18:21]
	v_mfma_f32_4x4x4_16b_bf16 v[14:17], v[70:71], v[54:55], v[14:17]
	;; [unrolled: 1-line block ×16, first 2 shown]
.LBB244_15:                             ;   in Loop: Header=BB244_16 Depth=2
	s_or_b64 exec, exec, s[8:9]
	s_addk_i32 s37, 0x200
	s_cmp_ge_u32 s37, s24
	s_cbranch_scc1 .LBB244_27
.LBB244_16:                             ;   Parent Loop BB244_12 Depth=1
                                        ; =>  This Loop Header: Depth=2
                                        ;       Child Loop BB244_21 Depth 3
	s_cmp_eq_u32 s37, 0
	s_cselect_b64 s[8:9], -1, 0
	s_add_i32 s10, s36, s44
	s_cmp_eq_u32 s37, s10
	s_cselect_b64 s[12:13], -1, 0
	s_or_b64 s[12:13], s[8:9], s[12:13]
	s_andn2_b64 vcc, exec, s[12:13]
	s_cbranch_vccz .LBB244_18
; %bb.17:                               ;   in Loop: Header=BB244_16 Depth=2
	s_and_saveexec_b64 s[8:9], s[6:7]
	s_cbranch_execz .LBB244_15
	s_branch .LBB244_25
.LBB244_18:                             ;   in Loop: Header=BB244_16 Depth=2
	s_and_b64 s[8:9], s[8:9], exec
	s_cselect_b32 s36, s36, s10
	s_and_b64 vcc, exec, s[4:5]
	s_barrier
	s_cbranch_vccnz .LBB244_24
; %bb.19:                               ;   in Loop: Header=BB244_16 Depth=2
	v_add_u32_e32 v54, s36, v96
	v_add_u32_e32 v55, s36, v97
	;; [unrolled: 1-line block ×3, first 2 shown]
	s_mov_b32 s38, 0
	s_mov_b64 s[10:11], 0
	v_mov_b32_e32 v57, v94
                                        ; implicit-def: $sgpr12_sgpr13
	s_branch .LBB244_21
.LBB244_20:                             ;   in Loop: Header=BB244_21 Depth=3
	s_or_b64 exec, exec, s[8:9]
	s_and_b64 s[8:9], exec, s[12:13]
	s_or_b64 s[10:11], s[8:9], s[10:11]
	s_andn2_b64 exec, exec, s[10:11]
	s_cbranch_execz .LBB244_23
.LBB244_21:                             ;   Parent Loop BB244_12 Depth=1
                                        ;     Parent Loop BB244_16 Depth=2
                                        ; =>    This Inner Loop Header: Depth=3
	v_add_u32_e32 v58, s38, v95
	v_add_u32_e32 v0, s38, v56
	v_cmp_gt_u32_e32 vcc, s26, v0
	v_cmp_gt_u32_e64 s[8:9], s44, v58
	s_and_b64 s[40:41], s[8:9], vcc
	s_or_b64 s[12:13], s[12:13], exec
	s_and_saveexec_b64 s[8:9], s[40:41]
	s_cbranch_execz .LBB244_20
; %bb.22:                               ;   in Loop: Header=BB244_21 Depth=3
	v_lshl_add_u64 v[58:59], v[0:1], 1, s[20:21]
	v_add_u32_e32 v0, s38, v55
	v_lshl_add_u64 v[62:63], v[0:1], 1, s[20:21]
	v_add_u32_e32 v0, s38, v54
	global_load_dwordx4 v[58:61], v[58:59], off
	s_nop 0
	global_load_dwordx4 v[62:65], v[62:63], off
	v_lshl_add_u64 v[66:67], v[0:1], 1, s[20:21]
	global_load_dwordx4 v[66:69], v[66:67], off
	s_add_i32 s38, s38, s45
	s_cmp_ge_u32 s38, s44
	s_cselect_b64 s[40:41], -1, 0
	s_andn2_b64 s[12:13], s[12:13], exec
	s_and_b64 s[40:41], s[40:41], exec
	v_add_u32_e32 v0, s53, v57
	v_add_u32_e32 v70, s51, v57
	s_or_b64 s[12:13], s[12:13], s[40:41]
	s_waitcnt vmcnt(2)
	ds_write_b128 v57, v[58:61]
	v_add_u32_e32 v57, s52, v57
	s_waitcnt vmcnt(1)
	ds_write2_b64 v0, v[62:63], v[64:65] offset1:1
	s_waitcnt vmcnt(0)
	ds_write2_b32 v70, v66, v67 offset1:1
	ds_write2_b32 v70, v68, v69 offset0:2 offset1:3
	s_branch .LBB244_20
.LBB244_23:                             ;   in Loop: Header=BB244_16 Depth=2
	s_or_b64 exec, exec, s[10:11]
.LBB244_24:                             ;   in Loop: Header=BB244_16 Depth=2
	s_waitcnt lgkmcnt(0)
	s_barrier
	s_and_saveexec_b64 s[8:9], s[6:7]
	s_cbranch_execz .LBB244_15
.LBB244_25:                             ;   in Loop: Header=BB244_16 Depth=2
	v_add_u32_e32 v83, s37, v92
	v_min_u32_e32 v0, s46, v83
	v_lshl_add_u64 v[62:63], v[0:1], 1, s[18:19]
	v_lshl_add_u64 v[54:55], v[84:85], 1, v[62:63]
	;; [unrolled: 1-line block ×5, first 2 shown]
	global_load_dwordx4 v[58:61], v[54:55], off nt
	s_nop 0
	global_load_dwordx4 v[54:57], v[56:57], off nt
	s_nop 0
	;; [unrolled: 2-line block ×3, first 2 shown]
	global_load_dwordx4 v[62:65], v[62:63], off nt
	v_cmp_gt_u32_e32 vcc, s24, v83
	v_mov_b32_e32 v72, 0
	v_mov_b32_e32 v73, 0
	;; [unrolled: 1-line block ×12, first 2 shown]
	s_and_saveexec_b64 s[10:11], vcc
	s_cbranch_execz .LBB244_14
; %bb.26:                               ;   in Loop: Header=BB244_16 Depth=2
	v_subrev_u32_e32 v0, s36, v83
	v_lshlrev_b32_e32 v0, 1, v0
	v_add_u32_e32 v70, s53, v0
	ds_read_b128 v[78:81], v0
	ds_read_b128 v[74:77], v70
	v_add_u32_e32 v0, s53, v70
	ds_read_b128 v[70:73], v0
	s_branch .LBB244_14
.LBB244_27:                             ;   in Loop: Header=BB244_12 Depth=1
	v_cmp_le_u32_e32 vcc, s27, v82
	s_and_saveexec_b64 s[6:7], vcc
	s_xor_b64 s[6:7], exec, s[6:7]
; %bb.28:                               ;   in Loop: Header=BB244_12 Depth=1
	v_add_u32_e32 v82, s48, v82
                                        ; implicit-def: $vgpr9
                                        ; implicit-def: $vgpr13
                                        ; implicit-def: $vgpr17
                                        ; implicit-def: $vgpr21
                                        ; implicit-def: $vgpr53
                                        ; implicit-def: $vgpr49
                                        ; implicit-def: $vgpr45
                                        ; implicit-def: $vgpr41
                                        ; implicit-def: $vgpr37
                                        ; implicit-def: $vgpr33
                                        ; implicit-def: $vgpr29
                                        ; implicit-def: $vgpr25
; %bb.29:                               ;   in Loop: Header=BB244_12 Depth=1
	s_andn2_saveexec_b64 s[36:37], s[6:7]
	s_cbranch_execz .LBB244_11
; %bb.30:                               ;   in Loop: Header=BB244_12 Depth=1
	v_cvt_i32_f32_e32 v0, v51
	v_cvt_i32_f32_e32 v51, v52
	;; [unrolled: 1-line block ×4, first 2 shown]
	v_cvt_f32_i32_dpp v0, v0 row_shl:1 row_mask:0xf bank_mask:0xf bound_ctrl:1
	v_cvt_f32_i32_dpp v51, v51 row_shl:2 row_mask:0xf bank_mask:0xf bound_ctrl:1
	;; [unrolled: 1-line block ×3, first 2 shown]
	v_cvt_i32_f32_e32 v48, v48
	v_add_f32_e32 v0, v50, v0
	v_add_f32_e32 v0, v0, v51
	v_cvt_i32_f32_e32 v49, v49
	v_add_f32_e32 v0, v0, v52
	v_cvt_i32_f32_e32 v50, v0
	v_cvt_f32_i32_dpp v47, v47 row_shl:1 row_mask:0xf bank_mask:0xf bound_ctrl:1
	v_cvt_f32_i32_dpp v48, v48 row_shl:2 row_mask:0xf bank_mask:0xf bound_ctrl:1
	;; [unrolled: 1-line block ×4, first 2 shown]
	v_add_f32_e32 v46, v46, v47
	v_add_f32_e32 v46, v46, v48
	;; [unrolled: 1-line block ×3, first 2 shown]
	v_cvt_i32_f32_e32 v47, v46
	v_add_f32_e32 v0, v0, v50
	v_cvt_i32_f32_e32 v48, v0
	v_cvt_i32_f32_e32 v43, v43
	v_cvt_f32_i32_dpp v47, v47 row_shl:4 row_mask:0xf bank_mask:0xf bound_ctrl:1
	v_cvt_i32_f32_e32 v44, v44
	v_cvt_f32_i32_dpp v48, v48 row_shl:8 row_mask:0xf bank_mask:0xf bound_ctrl:1
	v_cvt_i32_f32_e32 v45, v45
	v_add_f32_e32 v46, v46, v47
	v_cvt_i32_f32_e32 v47, v46
	v_add_f32_e32 v0, v0, v48
	v_cvt_i32_f32_e32 v0, v0
	v_cvt_f32_i32_dpp v43, v43 row_shl:1 row_mask:0xf bank_mask:0xf bound_ctrl:1
	v_cvt_f32_i32_dpp v44, v44 row_shl:2 row_mask:0xf bank_mask:0xf bound_ctrl:1
	;; [unrolled: 1-line block ×4, first 2 shown]
	v_cvt_f32_i32_dpp v0, v0 row_shr:15 row_mask:0xf bank_mask:0xf bound_ctrl:1
	v_add_f32_e32 v42, v42, v43
	v_add_f32_e32 v42, v42, v44
	v_cvt_i32_f32_e32 v39, v39
	v_add_f32_e32 v46, v46, v47
	v_add_f32_e32 v43, v42, v45
	v_cvt_i32_f32_e32 v40, v40
	v_cvt_i32_f32_e32 v46, v46
	;; [unrolled: 1-line block ×5, first 2 shown]
	v_cvt_f32_i32_dpp v39, v39 row_shl:1 row_mask:0xf bank_mask:0xf bound_ctrl:1
	v_cvt_f32_i32_dpp v40, v40 row_shl:2 row_mask:0xf bank_mask:0xf bound_ctrl:1
	v_cvt_f32_i32_dpp v45, v46 row_shr:15 row_mask:0xf bank_mask:0xf bound_ctrl:1
	v_cvt_f32_i32_dpp v46, v42 row_shl:4 row_mask:0xf bank_mask:0xf bound_ctrl:1
	v_cvt_f32_i32_dpp v41, v41 row_shl:3 row_mask:0xf bank_mask:0xf bound_ctrl:1
	v_cvt_f32_i32_dpp v44, v47 row_bcast:15 row_mask:0xf bank_mask:0xf bound_ctrl:1
	v_add_f32_e32 v38, v38, v39
	v_add_f32_e32 v38, v38, v40
	;; [unrolled: 1-line block ×5, first 2 shown]
	v_cvt_i32_f32_e32 v44, v45
	v_cvt_i32_f32_e32 v46, v43
	;; [unrolled: 1-line block ×4, first 2 shown]
	v_cvt_f32_i32_dpp v41, v44 row_bcast:15 row_mask:0xf bank_mask:0xf bound_ctrl:1
	v_cvt_f32_i32_dpp v46, v46 row_shl:8 row_mask:0xf bank_mask:0xf bound_ctrl:1
	v_cvt_f32_i32_dpp v44, v38 row_shl:4 row_mask:0xf bank_mask:0xf bound_ctrl:1
	v_cvt_i32_f32_e32 v36, v36
	v_cvt_i32_f32_e32 v37, v37
	v_cvt_f32_i32_dpp v35, v35 row_shl:1 row_mask:0xf bank_mask:0xf bound_ctrl:1
	v_add_f32_e32 v39, v43, v46
	v_add_f32_e32 v40, v40, v44
	v_cvt_f32_i32_dpp v36, v36 row_shl:2 row_mask:0xf bank_mask:0xf bound_ctrl:1
	v_cvt_i32_f32_e32 v0, v42
	v_cvt_i32_f32_e32 v43, v39
	v_add_f32_e32 v38, v45, v41
	v_cvt_i32_f32_e32 v41, v40
	v_cvt_f32_i32_dpp v37, v37 row_shl:3 row_mask:0xf bank_mask:0xf bound_ctrl:1
	v_add_f32_e32 v34, v34, v35
	v_add_f32_e32 v34, v34, v36
	v_mov_b32_dpp v39, v0 row_bcast:31 row_mask:0xf bank_mask:0xf bound_ctrl:1
	v_cvt_f32_i32_dpp v0, v43 row_shr:15 row_mask:0xf bank_mask:0xf bound_ctrl:1
	v_cvt_f32_i32_dpp v41, v41 row_shl:8 row_mask:0xf bank_mask:0xf bound_ctrl:1
	v_add_f32_e32 v34, v34, v37
	v_cvt_i32_f32_e32 v35, v34
	v_cvt_i32_f32_e32 v36, v0
	v_add_f32_e32 v37, v40, v41
	v_cvt_i32_f32_e32 v37, v37
	v_cvt_f32_i32_dpp v35, v35 row_shl:4 row_mask:0xf bank_mask:0xf bound_ctrl:1
	v_cvt_i32_f32_e32 v31, v31
	v_cvt_f32_i32_dpp v36, v36 row_bcast:15 row_mask:0xf bank_mask:0xf bound_ctrl:1
	v_cvt_i32_f32_e32 v32, v32
	v_cvt_f32_i32_dpp v37, v37 row_shr:15 row_mask:0xf bank_mask:0xf bound_ctrl:1
	v_add_f32_e32 v41, v34, v35
	v_cvt_i32_f32_e32 v33, v33
	v_cvt_i32_f32_e32 v35, v41
	v_cvt_f32_i32_dpp v31, v31 row_shl:1 row_mask:0xf bank_mask:0xf bound_ctrl:1
	v_cvt_i32_f32_e32 v27, v27
	v_add_f32_e32 v34, v0, v36
	v_cvt_f32_i32_dpp v32, v32 row_shl:2 row_mask:0xf bank_mask:0xf bound_ctrl:1
	v_cvt_i32_f32_e32 v28, v28
	v_cvt_i32_f32_e32 v0, v34
	;; [unrolled: 1-line block ×3, first 2 shown]
	v_cvt_f32_i32_dpp v33, v33 row_shl:3 row_mask:0xf bank_mask:0xf bound_ctrl:1
	v_cvt_i32_f32_e32 v29, v29
	v_cvt_i32_f32_e32 v40, v38
	v_cvt_f32_i32_dpp v44, v35 row_shl:8 row_mask:0xf bank_mask:0xf bound_ctrl:1
	v_add_f32_e32 v30, v30, v31
	v_cvt_f32_i32_dpp v27, v27 row_shl:1 row_mask:0xf bank_mask:0xf bound_ctrl:1
	v_add_f32_e32 v30, v30, v32
	v_cvt_f32_i32_dpp v28, v28 row_shl:2 row_mask:0xf bank_mask:0xf bound_ctrl:1
	v_mov_b32_dpp v35, v0 row_bcast:31 row_mask:0xf bank_mask:0xf bound_ctrl:1
	v_cvt_f32_i32_dpp v0, v43 row_bcast:15 row_mask:0xf bank_mask:0xf bound_ctrl:1
	v_add_f32_e32 v31, v30, v33
	v_cvt_f32_i32_dpp v29, v29 row_shl:3 row_mask:0xf bank_mask:0xf bound_ctrl:1
	v_mov_b32_dpp v36, v40 row_bcast:31 row_mask:0xf bank_mask:0xf bound_ctrl:1
	v_add_f32_e32 v40, v41, v44
	v_cvt_i32_f32_e32 v32, v31
	v_cvt_i32_f32_e32 v40, v40
	v_add_f32_e32 v26, v26, v27
	v_add_f32_e32 v26, v26, v28
	v_cvt_i32_f32_e32 v23, v23
	v_add_f32_e32 v30, v37, v0
	v_add_f32_e32 v28, v26, v29
	v_cvt_i32_f32_e32 v24, v24
	v_cvt_i32_f32_e32 v0, v30
	v_cvt_f32_i32_dpp v32, v32 row_shl:4 row_mask:0xf bank_mask:0xf bound_ctrl:1
	v_cvt_i32_f32_e32 v26, v28
	v_cvt_i32_f32_e32 v25, v25
	v_cvt_f32_i32_dpp v40, v40 row_shr:15 row_mask:0xf bank_mask:0xf bound_ctrl:1
	v_cvt_f32_i32_dpp v23, v23 row_shl:1 row_mask:0xf bank_mask:0xf bound_ctrl:1
	v_cvt_f32_i32_dpp v24, v24 row_shl:2 row_mask:0xf bank_mask:0xf bound_ctrl:1
	v_add_f32_e32 v31, v31, v32
	v_mov_b32_dpp v27, v0 row_bcast:31 row_mask:0xf bank_mask:0xf bound_ctrl:1
	v_cvt_f32_i32_dpp v0, v26 row_shl:4 row_mask:0xf bank_mask:0xf bound_ctrl:1
	v_cvt_f32_i32_dpp v25, v25 row_shl:3 row_mask:0xf bank_mask:0xf bound_ctrl:1
	v_cvt_i32_f32_e32 v33, v40
	v_cvt_i32_f32_e32 v32, v31
	v_add_f32_e32 v22, v22, v23
	v_add_f32_e32 v22, v22, v24
	;; [unrolled: 1-line block ×4, first 2 shown]
	v_cvt_f32_i32_dpp v29, v33 row_bcast:15 row_mask:0xf bank_mask:0xf bound_ctrl:1
	v_cvt_f32_i32_dpp v32, v32 row_shl:8 row_mask:0xf bank_mask:0xf bound_ctrl:1
	v_cvt_i32_f32_e32 v28, v0
	v_cvt_i32_f32_e32 v23, v22
	v_add_f32_e32 v26, v40, v29
	v_add_f32_e32 v29, v31, v32
	v_cvt_f32_i32_dpp v28, v28 row_shl:8 row_mask:0xf bank_mask:0xf bound_ctrl:1
	v_cvt_f32_i32_dpp v23, v23 row_shl:4 row_mask:0xf bank_mask:0xf bound_ctrl:1
	v_cvt_i32_f32_e32 v29, v29
	v_cvt_i32_f32_e32 v19, v19
	v_add_f32_e32 v0, v0, v28
	v_add_f32_e32 v23, v22, v23
	v_cvt_f32_i32_dpp v25, v29 row_shr:15 row_mask:0xf bank_mask:0xf bound_ctrl:1
	v_cvt_i32_f32_e32 v0, v0
	v_cvt_i32_f32_e32 v22, v23
	;; [unrolled: 1-line block ×5, first 2 shown]
	v_cvt_f32_i32_dpp v0, v0 row_shr:15 row_mask:0xf bank_mask:0xf bound_ctrl:1
	v_cvt_f32_i32_dpp v31, v22 row_shl:8 row_mask:0xf bank_mask:0xf bound_ctrl:1
	v_cvt_f32_i32_dpp v19, v19 row_shl:1 row_mask:0xf bank_mask:0xf bound_ctrl:1
	v_cvt_i32_f32_e32 v15, v15
	v_cvt_f32_i32_dpp v20, v20 row_shl:2 row_mask:0xf bank_mask:0xf bound_ctrl:1
	v_cvt_i32_f32_e32 v16, v16
	;; [unrolled: 2-line block ×3, first 2 shown]
	v_cvt_i32_f32_e32 v11, v11
	v_cvt_f32_i32_dpp v28, v28 row_bcast:15 row_mask:0xf bank_mask:0xf bound_ctrl:1
	v_cvt_i32_f32_e32 v29, v0
	v_add_f32_e32 v23, v23, v31
	v_cvt_i32_f32_e32 v23, v23
	v_add_f32_e32 v18, v18, v19
	v_cvt_f32_i32_dpp v15, v15 row_shl:1 row_mask:0xf bank_mask:0xf bound_ctrl:1
	v_cvt_i32_f32_e32 v7, v7
	v_add_f32_e32 v18, v18, v20
	v_cvt_f32_i32_dpp v16, v16 row_shl:2 row_mask:0xf bank_mask:0xf bound_ctrl:1
	v_cvt_i32_f32_e32 v12, v12
	v_cvt_i32_f32_e32 v8, v8
	v_add_f32_e32 v20, v18, v21
	v_cvt_f32_i32_dpp v17, v17 row_shl:3 row_mask:0xf bank_mask:0xf bound_ctrl:1
	v_cvt_f32_i32_dpp v11, v11 row_shl:1 row_mask:0xf bank_mask:0xf bound_ctrl:1
	v_cvt_i32_f32_e32 v13, v13
	v_cvt_i32_f32_e32 v9, v9
	v_add_f32_e32 v22, v25, v28
	v_cvt_f32_i32_dpp v28, v29 row_bcast:15 row_mask:0xf bank_mask:0xf bound_ctrl:1
	v_cvt_i32_f32_e32 v18, v20
	v_cvt_f32_i32_dpp v23, v23 row_shr:15 row_mask:0xf bank_mask:0xf bound_ctrl:1
	v_add_f32_e32 v14, v14, v15
	v_cvt_f32_i32_dpp v7, v7 row_shl:1 row_mask:0xf bank_mask:0xf bound_ctrl:1
	v_add_f32_e32 v14, v14, v16
	v_cvt_f32_i32_dpp v12, v12 row_shl:2 row_mask:0xf bank_mask:0xf bound_ctrl:1
	v_cvt_f32_i32_dpp v8, v8 row_shl:2 row_mask:0xf bank_mask:0xf bound_ctrl:1
	v_add_f32_e32 v15, v14, v17
	v_add_f32_e32 v10, v10, v11
	v_cvt_f32_i32_dpp v11, v13 row_shl:3 row_mask:0xf bank_mask:0xf bound_ctrl:1
	v_cvt_f32_i32_dpp v9, v9 row_shl:3 row_mask:0xf bank_mask:0xf bound_ctrl:1
	v_add_f32_e32 v19, v0, v28
	v_cvt_f32_i32_dpp v0, v18 row_shl:4 row_mask:0xf bank_mask:0xf bound_ctrl:1
	v_cvt_i32_f32_e32 v16, v15
	v_cvt_i32_f32_e32 v25, v22
	;; [unrolled: 1-line block ×3, first 2 shown]
	v_add_f32_e32 v6, v6, v7
	v_add_f32_e32 v10, v10, v12
	;; [unrolled: 1-line block ×6, first 2 shown]
	v_cvt_f32_i32_dpp v16, v16 row_shl:4 row_mask:0xf bank_mask:0xf bound_ctrl:1
	v_cvt_i32_f32_e32 v11, v10
	v_cvt_i32_f32_e32 v7, v6
	v_mov_b32_dpp v21, v25 row_bcast:31 row_mask:0xf bank_mask:0xf bound_ctrl:1
	v_cvt_f32_i32_dpp v25, v29 row_bcast:15 row_mask:0xf bank_mask:0xf bound_ctrl:1
	v_cvt_i32_f32_e32 v20, v0
	v_add_f32_e32 v15, v15, v16
	v_cvt_f32_i32_dpp v9, v11 row_shl:4 row_mask:0xf bank_mask:0xf bound_ctrl:1
	v_cvt_f32_i32_dpp v7, v7 row_shl:4 row_mask:0xf bank_mask:0xf bound_ctrl:1
	v_add_f32_e32 v18, v23, v25
	v_cvt_f32_i32_dpp v25, v20 row_shl:8 row_mask:0xf bank_mask:0xf bound_ctrl:1
	v_cvt_i32_f32_e32 v16, v15
	v_add_f32_e32 v9, v10, v9
	v_add_f32_e32 v6, v6, v7
	;; [unrolled: 1-line block ×3, first 2 shown]
	v_cvt_f32_i32_dpp v8, v16 row_shl:8 row_mask:0xf bank_mask:0xf bound_ctrl:1
	v_cvt_i32_f32_e32 v10, v9
	v_cvt_i32_f32_e32 v7, v6
	;; [unrolled: 1-line block ×3, first 2 shown]
	v_add_f32_e32 v8, v15, v8
	v_cvt_f32_i32_dpp v10, v10 row_shl:8 row_mask:0xf bank_mask:0xf bound_ctrl:1
	v_cvt_f32_i32_dpp v7, v7 row_shl:8 row_mask:0xf bank_mask:0xf bound_ctrl:1
	v_cvt_f32_i32_dpp v0, v0 row_shr:15 row_mask:0xf bank_mask:0xf bound_ctrl:1
	v_cvt_i32_f32_e32 v8, v8
	v_add_f32_e32 v9, v9, v10
	v_add_f32_e32 v6, v6, v7
	v_cvt_i32_f32_e32 v11, v0
	v_cvt_f32_i32_dpp v8, v8 row_shr:15 row_mask:0xf bank_mask:0xf bound_ctrl:1
	v_cvt_i32_f32_e32 v9, v9
	v_cvt_i32_f32_e32 v6, v6
	v_cvt_f32_i32_dpp v7, v11 row_bcast:15 row_mask:0xf bank_mask:0xf bound_ctrl:1
	v_cvt_i32_f32_e32 v10, v8
	v_cvt_f32_i32_dpp v9, v9 row_shr:15 row_mask:0xf bank_mask:0xf bound_ctrl:1
	v_cvt_f32_i32_dpp v6, v6 row_shr:15 row_mask:0xf bank_mask:0xf bound_ctrl:1
	v_add_f32_e32 v16, v0, v7
	v_cvt_f32_i32_dpp v7, v10 row_bcast:15 row_mask:0xf bank_mask:0xf bound_ctrl:1
	v_cvt_i32_f32_e32 v0, v9
	v_cvt_i32_f32_e32 v10, v6
	;; [unrolled: 1-line block ×3, first 2 shown]
	v_add_f32_e32 v12, v8, v7
	v_cvt_f32_i32_dpp v0, v0 row_bcast:15 row_mask:0xf bank_mask:0xf bound_ctrl:1
	v_cvt_f32_i32_dpp v7, v10 row_bcast:15 row_mask:0xf bank_mask:0xf bound_ctrl:1
	v_cvt_i32_f32_e32 v28, v19
	v_cvt_i32_f32_e32 v23, v18
	v_add_f32_e32 v10, v9, v0
	v_add_f32_e32 v8, v6, v7
	v_cvt_i32_f32_e32 v11, v16
	v_cvt_i32_f32_e32 v13, v12
	;; [unrolled: 1-line block ×4, first 2 shown]
	v_mov_b32_dpp v24, v24 row_bcast:31 row_mask:0xf bank_mask:0xf bound_ctrl:1
	v_mov_b32_dpp v20, v28 row_bcast:31 row_mask:0xf bank_mask:0xf bound_ctrl:1
	;; [unrolled: 1-line block ×7, first 2 shown]
	s_and_saveexec_b64 s[38:39], s[0:1]
	s_cbranch_execz .LBB244_105
; %bb.31:                               ;   in Loop: Header=BB244_12 Depth=1
	s_andn2_b64 vcc, exec, s[30:31]
	v_mov_b32_e32 v41, 0
	v_add_u32_e32 v0, 2, v82
	v_add_u32_e32 v6, 3, v82
	v_mov_b32_e32 v40, 0
	v_mov_b32_e32 v37, 0
	;; [unrolled: 1-line block ×11, first 2 shown]
	s_cbranch_vccnz .LBB244_33
; %bb.32:                               ;   in Loop: Header=BB244_12 Depth=1
	v_mul_hi_u32 v7, v82, v93
	v_mul_lo_u32 v7, v7, s16
	v_sub_u32_e32 v7, v82, v7
	v_subrev_u32_e32 v15, s16, v7
	v_cmp_le_u32_e32 vcc, s16, v7
	v_mov_b32_e32 v33, v1
	v_mov_b32_e32 v29, v1
	v_cndmask_b32_e32 v7, v7, v15, vcc
	v_subrev_u32_e32 v15, s16, v7
	v_cmp_le_u32_e32 vcc, s16, v7
	v_mov_b32_e32 v47, v1
	v_mov_b32_e32 v51, v1
	v_cndmask_b32_e32 v28, v7, v15, vcc
	v_add_u32_e32 v7, 1, v82
	v_mul_hi_u32 v15, v7, v93
	v_mul_lo_u32 v15, v15, s16
	v_sub_u32_e32 v7, v7, v15
	v_subrev_u32_e32 v15, s16, v7
	v_cmp_le_u32_e32 vcc, s16, v7
	v_add_u32_e32 v32, s49, v28
	v_lshl_add_u64 v[58:59], v[32:33], 1, s[22:23]
	v_cndmask_b32_e32 v7, v7, v15, vcc
	v_subrev_u32_e32 v15, s16, v7
	v_cmp_le_u32_e32 vcc, s16, v7
	v_lshl_add_u64 v[44:45], v[28:29], 1, s[22:23]
	v_mov_b32_e32 v55, v1
	v_cndmask_b32_e32 v46, v7, v15, vcc
	v_mul_hi_u32 v7, v0, v93
	v_mul_lo_u32 v7, v7, s16
	v_sub_u32_e32 v7, v0, v7
	v_subrev_u32_e32 v15, s16, v7
	v_cmp_le_u32_e32 vcc, s16, v7
	v_add_u32_e32 v32, s49, v46
	v_lshl_add_u64 v[60:61], v[32:33], 1, s[22:23]
	v_cndmask_b32_e32 v7, v7, v15, vcc
	v_subrev_u32_e32 v15, s16, v7
	v_cmp_le_u32_e32 vcc, s16, v7
	v_lshl_add_u64 v[48:49], v[46:47], 1, s[22:23]
	v_add_u32_e32 v46, s50, v46
	v_cndmask_b32_e32 v50, v7, v15, vcc
	v_mul_hi_u32 v7, v6, v93
	v_mul_lo_u32 v7, v7, s16
	v_sub_u32_e32 v7, v6, v7
	v_subrev_u32_e32 v15, s16, v7
	v_cmp_le_u32_e32 vcc, s16, v7
	v_add_u32_e32 v32, s49, v50
	v_lshl_add_u64 v[62:63], v[32:33], 1, s[22:23]
	v_cndmask_b32_e32 v7, v7, v15, vcc
	v_subrev_u32_e32 v15, s16, v7
	v_cmp_le_u32_e32 vcc, s16, v7
	v_lshl_add_u64 v[52:53], v[50:51], 1, s[22:23]
	v_lshl_add_u64 v[46:47], v[46:47], 1, s[22:23]
	v_cndmask_b32_e32 v54, v7, v15, vcc
	v_add_u32_e32 v32, s49, v54
	v_lshl_add_u64 v[56:57], v[54:55], 1, s[22:23]
	v_lshl_add_u64 v[64:65], v[32:33], 1, s[22:23]
	global_load_ushort v41, v[44:45], off
	global_load_ushort v40, v[48:49], off
	;; [unrolled: 1-line block ×6, first 2 shown]
                                        ; kill: killed $vgpr56_vgpr57
                                        ; kill: killed $vgpr58_vgpr59
                                        ; kill: killed $vgpr60_vgpr61
                                        ; kill: killed $vgpr48_vgpr49
                                        ; kill: killed $vgpr44_vgpr45
                                        ; kill: killed $vgpr52_vgpr53
	global_load_ushort v31, v[62:63], off
	global_load_ushort v29, v[64:65], off
	v_add_u32_e32 v44, s50, v28
	v_mov_b32_e32 v45, v1
	v_lshl_add_u64 v[44:45], v[44:45], 1, s[22:23]
	v_add_u32_e32 v48, s50, v50
	v_mov_b32_e32 v49, v1
	v_add_u32_e32 v50, s50, v54
	v_lshl_add_u64 v[48:49], v[48:49], 1, s[22:23]
	v_lshl_add_u64 v[50:51], v[50:51], 1, s[22:23]
	global_load_ushort v28, v[44:45], off
	global_load_ushort v25, v[46:47], off
	;; [unrolled: 1-line block ×4, first 2 shown]
.LBB244_33:                             ;   in Loop: Header=BB244_12 Depth=1
	v_cmp_ne_u32_e32 vcc, 0, v2
	s_and_saveexec_b64 s[8:9], vcc
	s_cbranch_execnz .LBB244_45
; %bb.34:                               ;   in Loop: Header=BB244_12 Depth=1
	s_or_b64 exec, exec, s[8:9]
	v_cmp_ne_u32_e64 s[6:7], 0, v3
	s_and_saveexec_b64 s[10:11], s[6:7]
	s_cbranch_execnz .LBB244_50
.LBB244_35:                             ;   in Loop: Header=BB244_12 Depth=1
	s_or_b64 exec, exec, s[10:11]
	v_cmp_ne_u32_e64 s[8:9], 0, v4
	s_and_saveexec_b64 s[12:13], s[8:9]
	s_cbranch_execnz .LBB244_55
.LBB244_36:                             ;   in Loop: Header=BB244_12 Depth=1
	s_or_b64 exec, exec, s[12:13]
	v_cmp_ne_u32_e64 s[10:11], 0, v5
	s_and_saveexec_b64 s[40:41], s[10:11]
	s_cbranch_execnz .LBB244_60
.LBB244_37:                             ;   in Loop: Header=BB244_12 Depth=1
	s_or_b64 exec, exec, s[40:41]
	v_add_u32_e32 v0, s27, v82
	s_and_saveexec_b64 s[40:41], vcc
	s_cbranch_execnz .LBB244_65
.LBB244_38:                             ;   in Loop: Header=BB244_12 Depth=1
	s_or_b64 exec, exec, s[40:41]
	s_and_saveexec_b64 s[40:41], s[6:7]
	s_cbranch_execnz .LBB244_70
.LBB244_39:                             ;   in Loop: Header=BB244_12 Depth=1
	s_or_b64 exec, exec, s[40:41]
	s_and_saveexec_b64 s[40:41], s[8:9]
	s_cbranch_execnz .LBB244_75
.LBB244_40:                             ;   in Loop: Header=BB244_12 Depth=1
	s_or_b64 exec, exec, s[40:41]
	s_and_saveexec_b64 s[40:41], s[10:11]
	s_cbranch_execnz .LBB244_80
.LBB244_41:                             ;   in Loop: Header=BB244_12 Depth=1
	s_or_b64 exec, exec, s[40:41]
	v_add_u32_e32 v0, s27, v0
	s_and_saveexec_b64 s[12:13], vcc
	s_cbranch_execnz .LBB244_85
.LBB244_42:                             ;   in Loop: Header=BB244_12 Depth=1
	s_or_b64 exec, exec, s[12:13]
	s_and_saveexec_b64 s[12:13], s[6:7]
	s_cbranch_execnz .LBB244_90
.LBB244_43:                             ;   in Loop: Header=BB244_12 Depth=1
	s_or_b64 exec, exec, s[12:13]
	s_and_saveexec_b64 s[6:7], s[8:9]
	s_cbranch_execnz .LBB244_95
.LBB244_44:                             ;   in Loop: Header=BB244_12 Depth=1
	s_or_b64 exec, exec, s[6:7]
	s_and_b64 exec, exec, s[10:11]
	s_cbranch_execnz .LBB244_100
	s_branch .LBB244_105
.LBB244_45:                             ;   in Loop: Header=BB244_12 Depth=1
	v_cvt_f32_i32_e32 v39, v39
	s_waitcnt vmcnt(11)
	v_lshlrev_b32_e32 v41, 16, v41
	v_add_f32_e32 v39, v42, v39
	v_add_f32_e32 v41, v39, v41
	v_and_b32_e32 v39, 0x7f800000, v41
	v_cmp_ne_u32_e64 s[6:7], s54, v39
                                        ; implicit-def: $vgpr39
	s_and_saveexec_b64 s[10:11], s[6:7]
	s_xor_b64 s[6:7], exec, s[10:11]
; %bb.46:                               ;   in Loop: Header=BB244_12 Depth=1
	v_bfe_u32 v39, v41, 16, 1
	v_add3_u32 v39, v41, v39, s55
                                        ; implicit-def: $vgpr41
; %bb.47:                               ;   in Loop: Header=BB244_12 Depth=1
	s_andn2_saveexec_b64 s[10:11], s[6:7]
; %bb.48:                               ;   in Loop: Header=BB244_12 Depth=1
	v_or_b32_e32 v39, 0x10000, v41
	v_cmp_eq_u32_sdwa s[6:7], v41, v1 src0_sel:WORD_0 src1_sel:DWORD
	s_nop 1
	v_cndmask_b32_e64 v39, v39, v41, s[6:7]
; %bb.49:                               ;   in Loop: Header=BB244_12 Depth=1
	s_or_b64 exec, exec, s[10:11]
	v_mov_b32_e32 v83, v1
	v_lshl_add_u64 v[42:43], v[82:83], 1, s[14:15]
	global_store_short_d16_hi v[42:43], v39, off
	s_or_b64 exec, exec, s[8:9]
	v_cmp_ne_u32_e64 s[6:7], 0, v3
	s_and_saveexec_b64 s[10:11], s[6:7]
	s_cbranch_execz .LBB244_35
.LBB244_50:                             ;   in Loop: Header=BB244_12 Depth=1
	v_cvt_f32_i32_e32 v36, v36
	v_add_f32_e32 v36, v38, v36
	s_waitcnt vmcnt(10)
	v_lshlrev_b32_e32 v38, 16, v40
	v_add_f32_e32 v38, v36, v38
	v_and_b32_e32 v36, 0x7f800000, v38
	v_cmp_ne_u32_e64 s[8:9], s54, v36
                                        ; implicit-def: $vgpr36
	s_and_saveexec_b64 s[12:13], s[8:9]
	s_xor_b64 s[8:9], exec, s[12:13]
; %bb.51:                               ;   in Loop: Header=BB244_12 Depth=1
	v_bfe_u32 v36, v38, 16, 1
	v_add3_u32 v36, v38, v36, s55
                                        ; implicit-def: $vgpr38
; %bb.52:                               ;   in Loop: Header=BB244_12 Depth=1
	s_andn2_saveexec_b64 s[12:13], s[8:9]
; %bb.53:                               ;   in Loop: Header=BB244_12 Depth=1
	v_or_b32_e32 v36, 0x10000, v38
	v_cmp_eq_u32_sdwa s[8:9], v38, v1 src0_sel:WORD_0 src1_sel:DWORD
	s_nop 1
	v_cndmask_b32_e64 v36, v36, v38, s[8:9]
; %bb.54:                               ;   in Loop: Header=BB244_12 Depth=1
	s_or_b64 exec, exec, s[12:13]
	v_mov_b32_e32 v83, v1
	v_lshl_add_u64 v[38:39], v[82:83], 1, s[34:35]
	global_store_short_d16_hi v[38:39], v36, off
	s_or_b64 exec, exec, s[10:11]
	v_cmp_ne_u32_e64 s[8:9], 0, v4
	s_and_saveexec_b64 s[12:13], s[8:9]
	s_cbranch_execz .LBB244_36
.LBB244_55:                             ;   in Loop: Header=BB244_12 Depth=1
	v_cvt_f32_i32_e32 v35, v35
	v_add_f32_e32 v34, v34, v35
	s_waitcnt vmcnt(9)
	v_lshlrev_b32_e32 v35, 16, v37
	v_add_f32_e32 v35, v34, v35
	v_and_b32_e32 v34, 0x7f800000, v35
	v_cmp_ne_u32_e64 s[10:11], s54, v34
                                        ; implicit-def: $vgpr34
	s_and_saveexec_b64 s[40:41], s[10:11]
	s_xor_b64 s[10:11], exec, s[40:41]
; %bb.56:                               ;   in Loop: Header=BB244_12 Depth=1
	v_bfe_u32 v34, v35, 16, 1
	v_add3_u32 v34, v35, v34, s55
                                        ; implicit-def: $vgpr35
; %bb.57:                               ;   in Loop: Header=BB244_12 Depth=1
	s_andn2_saveexec_b64 s[40:41], s[10:11]
; %bb.58:                               ;   in Loop: Header=BB244_12 Depth=1
	v_or_b32_e32 v34, 0x10000, v35
	v_cmp_eq_u32_sdwa s[10:11], v35, v1 src0_sel:WORD_0 src1_sel:DWORD
	s_nop 1
	v_cndmask_b32_e64 v34, v34, v35, s[10:11]
; %bb.59:                               ;   in Loop: Header=BB244_12 Depth=1
	s_or_b64 exec, exec, s[40:41]
	v_lshl_add_u64 v[36:37], v[0:1], 1, s[14:15]
	global_store_short_d16_hi v[36:37], v34, off
	s_or_b64 exec, exec, s[12:13]
	v_cmp_ne_u32_e64 s[10:11], 0, v5
	s_and_saveexec_b64 s[40:41], s[10:11]
	s_cbranch_execz .LBB244_37
.LBB244_60:                             ;   in Loop: Header=BB244_12 Depth=1
	v_cvt_f32_i32_e32 v0, v27
	s_waitcnt vmcnt(8)
	v_lshlrev_b32_e32 v7, 16, v7
	v_add_f32_e32 v0, v30, v0
	v_add_f32_e32 v7, v0, v7
	v_and_b32_e32 v0, 0x7f800000, v7
	v_cmp_ne_u32_e64 s[12:13], s54, v0
                                        ; implicit-def: $vgpr0
	s_and_saveexec_b64 s[42:43], s[12:13]
	s_xor_b64 s[12:13], exec, s[42:43]
; %bb.61:                               ;   in Loop: Header=BB244_12 Depth=1
	v_bfe_u32 v0, v7, 16, 1
	v_add3_u32 v0, v7, v0, s55
                                        ; implicit-def: $vgpr7
; %bb.62:                               ;   in Loop: Header=BB244_12 Depth=1
	s_andn2_saveexec_b64 s[42:43], s[12:13]
; %bb.63:                               ;   in Loop: Header=BB244_12 Depth=1
	v_or_b32_e32 v0, 0x10000, v7
	v_cmp_eq_u32_sdwa s[12:13], v7, v1 src0_sel:WORD_0 src1_sel:DWORD
	s_nop 1
	v_cndmask_b32_e64 v0, v0, v7, s[12:13]
; %bb.64:                               ;   in Loop: Header=BB244_12 Depth=1
	s_or_b64 exec, exec, s[42:43]
	v_mov_b32_e32 v7, v1
	v_lshl_add_u64 v[6:7], v[6:7], 1, s[14:15]
	global_store_short_d16_hi v[6:7], v0, off
	s_or_b64 exec, exec, s[40:41]
	v_add_u32_e32 v0, s27, v82
	s_and_saveexec_b64 s[40:41], vcc
	s_cbranch_execz .LBB244_38
.LBB244_65:                             ;   in Loop: Header=BB244_12 Depth=1
	v_cvt_f32_i32_e32 v6, v24
	s_waitcnt vmcnt(7)
	v_lshlrev_b32_e32 v7, 16, v33
	v_add_f32_e32 v6, v26, v6
	v_add_f32_e32 v7, v6, v7
	v_and_b32_e32 v6, 0x7f800000, v7
	v_cmp_ne_u32_e64 s[12:13], s54, v6
                                        ; implicit-def: $vgpr6
	s_and_saveexec_b64 s[42:43], s[12:13]
	s_xor_b64 s[12:13], exec, s[42:43]
; %bb.66:                               ;   in Loop: Header=BB244_12 Depth=1
	v_bfe_u32 v6, v7, 16, 1
	v_add3_u32 v6, v7, v6, s55
                                        ; implicit-def: $vgpr7
; %bb.67:                               ;   in Loop: Header=BB244_12 Depth=1
	s_andn2_saveexec_b64 s[42:43], s[12:13]
; %bb.68:                               ;   in Loop: Header=BB244_12 Depth=1
	v_or_b32_e32 v6, 0x10000, v7
	v_cmp_eq_u32_sdwa s[12:13], v7, v1 src0_sel:WORD_0 src1_sel:DWORD
	s_nop 1
	v_cndmask_b32_e64 v6, v6, v7, s[12:13]
; %bb.69:                               ;   in Loop: Header=BB244_12 Depth=1
	s_or_b64 exec, exec, s[42:43]
	v_lshl_add_u64 v[26:27], v[0:1], 1, s[14:15]
	global_store_short_d16_hi v[26:27], v6, off
	s_or_b64 exec, exec, s[40:41]
	s_and_saveexec_b64 s[40:41], s[6:7]
	s_cbranch_execz .LBB244_39
.LBB244_70:                             ;   in Loop: Header=BB244_12 Depth=1
	v_cvt_f32_i32_e32 v6, v21
	s_waitcnt vmcnt(6)
	v_lshlrev_b32_e32 v7, 16, v32
	v_add_f32_e32 v6, v22, v6
	v_add_f32_e32 v7, v6, v7
	v_and_b32_e32 v6, 0x7f800000, v7
	v_cmp_ne_u32_e64 s[12:13], s54, v6
                                        ; implicit-def: $vgpr6
	s_and_saveexec_b64 s[42:43], s[12:13]
	s_xor_b64 s[12:13], exec, s[42:43]
; %bb.71:                               ;   in Loop: Header=BB244_12 Depth=1
	v_bfe_u32 v6, v7, 16, 1
	v_add3_u32 v6, v7, v6, s55
                                        ; implicit-def: $vgpr7
; %bb.72:                               ;   in Loop: Header=BB244_12 Depth=1
	s_andn2_saveexec_b64 s[42:43], s[12:13]
; %bb.73:                               ;   in Loop: Header=BB244_12 Depth=1
	v_or_b32_e32 v6, 0x10000, v7
	v_cmp_eq_u32_sdwa s[12:13], v7, v1 src0_sel:WORD_0 src1_sel:DWORD
	s_nop 1
	v_cndmask_b32_e64 v6, v6, v7, s[12:13]
; %bb.74:                               ;   in Loop: Header=BB244_12 Depth=1
	s_or_b64 exec, exec, s[42:43]
	v_add_u32_e32 v26, 1, v0
	v_mov_b32_e32 v27, v1
	v_lshl_add_u64 v[26:27], v[26:27], 1, s[14:15]
	global_store_short_d16_hi v[26:27], v6, off
	s_or_b64 exec, exec, s[40:41]
	s_and_saveexec_b64 s[40:41], s[8:9]
	s_cbranch_execz .LBB244_40
.LBB244_75:                             ;   in Loop: Header=BB244_12 Depth=1
	v_cvt_f32_i32_e32 v6, v20
	s_waitcnt vmcnt(5)
	v_lshlrev_b32_e32 v7, 16, v31
	v_add_f32_e32 v6, v19, v6
	v_add_f32_e32 v7, v6, v7
	v_and_b32_e32 v6, 0x7f800000, v7
	v_cmp_ne_u32_e64 s[12:13], s54, v6
                                        ; implicit-def: $vgpr6
	s_and_saveexec_b64 s[42:43], s[12:13]
	s_xor_b64 s[12:13], exec, s[42:43]
; %bb.76:                               ;   in Loop: Header=BB244_12 Depth=1
	v_bfe_u32 v6, v7, 16, 1
	v_add3_u32 v6, v7, v6, s55
                                        ; implicit-def: $vgpr7
; %bb.77:                               ;   in Loop: Header=BB244_12 Depth=1
	s_andn2_saveexec_b64 s[42:43], s[12:13]
; %bb.78:                               ;   in Loop: Header=BB244_12 Depth=1
	v_or_b32_e32 v6, 0x10000, v7
	v_cmp_eq_u32_sdwa s[12:13], v7, v1 src0_sel:WORD_0 src1_sel:DWORD
	s_nop 1
	v_cndmask_b32_e64 v6, v6, v7, s[12:13]
; %bb.79:                               ;   in Loop: Header=BB244_12 Depth=1
	s_or_b64 exec, exec, s[42:43]
	v_add_u32_e32 v20, 2, v0
	v_mov_b32_e32 v21, v1
	v_lshl_add_u64 v[20:21], v[20:21], 1, s[14:15]
	global_store_short_d16_hi v[20:21], v6, off
	s_or_b64 exec, exec, s[40:41]
	s_and_saveexec_b64 s[40:41], s[10:11]
	s_cbranch_execz .LBB244_41
.LBB244_80:                             ;   in Loop: Header=BB244_12 Depth=1
	v_cvt_f32_i32_e32 v6, v14
	s_waitcnt vmcnt(4)
	v_lshlrev_b32_e32 v7, 16, v29
	v_add_f32_e32 v6, v18, v6
	v_add_f32_e32 v7, v6, v7
	v_and_b32_e32 v6, 0x7f800000, v7
	v_cmp_ne_u32_e64 s[12:13], s54, v6
                                        ; implicit-def: $vgpr6
	s_and_saveexec_b64 s[42:43], s[12:13]
	s_xor_b64 s[12:13], exec, s[42:43]
; %bb.81:                               ;   in Loop: Header=BB244_12 Depth=1
	v_bfe_u32 v6, v7, 16, 1
	v_add3_u32 v6, v7, v6, s55
                                        ; implicit-def: $vgpr7
; %bb.82:                               ;   in Loop: Header=BB244_12 Depth=1
	s_andn2_saveexec_b64 s[42:43], s[12:13]
; %bb.83:                               ;   in Loop: Header=BB244_12 Depth=1
	v_or_b32_e32 v6, 0x10000, v7
	v_cmp_eq_u32_sdwa s[12:13], v7, v1 src0_sel:WORD_0 src1_sel:DWORD
	s_nop 1
	v_cndmask_b32_e64 v6, v6, v7, s[12:13]
; %bb.84:                               ;   in Loop: Header=BB244_12 Depth=1
	s_or_b64 exec, exec, s[42:43]
	v_add_u32_e32 v18, 3, v0
	v_mov_b32_e32 v19, v1
	v_lshl_add_u64 v[18:19], v[18:19], 1, s[14:15]
	global_store_short_d16_hi v[18:19], v6, off
	s_or_b64 exec, exec, s[40:41]
	v_add_u32_e32 v0, s27, v0
	s_and_saveexec_b64 s[12:13], vcc
	s_cbranch_execz .LBB244_42
.LBB244_85:                             ;   in Loop: Header=BB244_12 Depth=1
	v_cvt_f32_i32_e32 v6, v17
	s_waitcnt vmcnt(3)
	v_lshlrev_b32_e32 v7, 16, v28
	v_add_f32_e32 v6, v16, v6
	v_add_f32_e32 v7, v6, v7
	v_and_b32_e32 v6, 0x7f800000, v7
	v_cmp_ne_u32_e32 vcc, s54, v6
                                        ; implicit-def: $vgpr6
	s_and_saveexec_b64 s[40:41], vcc
	s_xor_b64 s[40:41], exec, s[40:41]
; %bb.86:                               ;   in Loop: Header=BB244_12 Depth=1
	v_bfe_u32 v6, v7, 16, 1
	v_add3_u32 v6, v7, v6, s55
                                        ; implicit-def: $vgpr7
; %bb.87:                               ;   in Loop: Header=BB244_12 Depth=1
	s_andn2_saveexec_b64 s[40:41], s[40:41]
; %bb.88:                               ;   in Loop: Header=BB244_12 Depth=1
	v_or_b32_e32 v6, 0x10000, v7
	v_cmp_eq_u32_sdwa vcc, v7, v1 src0_sel:WORD_0 src1_sel:DWORD
	s_nop 1
	v_cndmask_b32_e32 v6, v6, v7, vcc
; %bb.89:                               ;   in Loop: Header=BB244_12 Depth=1
	s_or_b64 exec, exec, s[40:41]
	v_lshl_add_u64 v[16:17], v[0:1], 1, s[14:15]
	global_store_short_d16_hi v[16:17], v6, off
	s_or_b64 exec, exec, s[12:13]
	s_and_saveexec_b64 s[12:13], s[6:7]
	s_cbranch_execz .LBB244_43
.LBB244_90:                             ;   in Loop: Header=BB244_12 Depth=1
	v_cvt_f32_i32_e32 v6, v13
	s_waitcnt vmcnt(2)
	v_lshlrev_b32_e32 v7, 16, v25
	v_add_f32_e32 v6, v12, v6
	v_add_f32_e32 v7, v6, v7
	v_and_b32_e32 v6, 0x7f800000, v7
	v_cmp_ne_u32_e32 vcc, s54, v6
                                        ; implicit-def: $vgpr6
	s_and_saveexec_b64 s[6:7], vcc
	s_xor_b64 s[6:7], exec, s[6:7]
; %bb.91:                               ;   in Loop: Header=BB244_12 Depth=1
	v_bfe_u32 v6, v7, 16, 1
	v_add3_u32 v6, v7, v6, s55
                                        ; implicit-def: $vgpr7
; %bb.92:                               ;   in Loop: Header=BB244_12 Depth=1
	s_andn2_saveexec_b64 s[6:7], s[6:7]
; %bb.93:                               ;   in Loop: Header=BB244_12 Depth=1
	v_or_b32_e32 v6, 0x10000, v7
	v_cmp_eq_u32_sdwa vcc, v7, v1 src0_sel:WORD_0 src1_sel:DWORD
	s_nop 1
	v_cndmask_b32_e32 v6, v6, v7, vcc
; %bb.94:                               ;   in Loop: Header=BB244_12 Depth=1
	s_or_b64 exec, exec, s[6:7]
	v_add_u32_e32 v12, 1, v0
	v_mov_b32_e32 v13, v1
	v_lshl_add_u64 v[12:13], v[12:13], 1, s[14:15]
	global_store_short_d16_hi v[12:13], v6, off
	s_or_b64 exec, exec, s[12:13]
	s_and_saveexec_b64 s[6:7], s[8:9]
	s_cbranch_execz .LBB244_44
.LBB244_95:                             ;   in Loop: Header=BB244_12 Depth=1
	v_cvt_f32_i32_e32 v6, v11
	s_waitcnt vmcnt(1)
	v_lshlrev_b32_e32 v7, 16, v23
	v_add_f32_e32 v6, v10, v6
	v_add_f32_e32 v7, v6, v7
	v_and_b32_e32 v6, 0x7f800000, v7
	v_cmp_ne_u32_e32 vcc, s54, v6
                                        ; implicit-def: $vgpr6
	s_and_saveexec_b64 s[8:9], vcc
	s_xor_b64 s[8:9], exec, s[8:9]
; %bb.96:                               ;   in Loop: Header=BB244_12 Depth=1
	v_bfe_u32 v6, v7, 16, 1
	v_add3_u32 v6, v7, v6, s55
                                        ; implicit-def: $vgpr7
; %bb.97:                               ;   in Loop: Header=BB244_12 Depth=1
	s_andn2_saveexec_b64 s[8:9], s[8:9]
; %bb.98:                               ;   in Loop: Header=BB244_12 Depth=1
	v_or_b32_e32 v6, 0x10000, v7
	v_cmp_eq_u32_sdwa vcc, v7, v1 src0_sel:WORD_0 src1_sel:DWORD
	s_nop 1
	v_cndmask_b32_e32 v6, v6, v7, vcc
; %bb.99:                               ;   in Loop: Header=BB244_12 Depth=1
	s_or_b64 exec, exec, s[8:9]
	v_add_u32_e32 v10, 2, v0
	v_mov_b32_e32 v11, v1
	v_lshl_add_u64 v[10:11], v[10:11], 1, s[14:15]
	global_store_short_d16_hi v[10:11], v6, off
	s_or_b64 exec, exec, s[6:7]
	s_and_b64 exec, exec, s[10:11]
	s_cbranch_execz .LBB244_105
.LBB244_100:                            ;   in Loop: Header=BB244_12 Depth=1
	v_cvt_f32_i32_e32 v6, v9
	s_waitcnt vmcnt(0)
	v_lshlrev_b32_e32 v7, 16, v15
	v_add_f32_e32 v6, v8, v6
	v_add_f32_e32 v7, v6, v7
	v_and_b32_e32 v6, 0x7f800000, v7
	v_cmp_ne_u32_e32 vcc, s54, v6
                                        ; implicit-def: $vgpr6
	s_and_saveexec_b64 s[6:7], vcc
	s_xor_b64 s[6:7], exec, s[6:7]
; %bb.101:                              ;   in Loop: Header=BB244_12 Depth=1
	v_bfe_u32 v6, v7, 16, 1
	v_add3_u32 v6, v7, v6, s55
                                        ; implicit-def: $vgpr7
; %bb.102:                              ;   in Loop: Header=BB244_12 Depth=1
	s_andn2_saveexec_b64 s[6:7], s[6:7]
; %bb.103:                              ;   in Loop: Header=BB244_12 Depth=1
	v_or_b32_e32 v6, 0x10000, v7
	v_cmp_eq_u32_sdwa vcc, v7, v1 src0_sel:WORD_0 src1_sel:DWORD
	s_nop 1
	v_cndmask_b32_e32 v6, v6, v7, vcc
; %bb.104:                              ;   in Loop: Header=BB244_12 Depth=1
	s_or_b64 exec, exec, s[6:7]
	v_add_u32_e32 v0, 3, v0
	v_lshl_add_u64 v[8:9], v[0:1], 1, s[14:15]
	global_store_short_d16_hi v[8:9], v6, off
.LBB244_105:                            ;   in Loop: Header=BB244_12 Depth=1
	s_or_b64 exec, exec, s[38:39]
	v_add_u32_e32 v82, s48, v82
	v_add_u32_e32 v0, 4, v82
	v_cmp_gt_u32_e32 vcc, s27, v82
	v_cmp_le_u32_e64 s[6:7], s27, v0
	s_and_b64 s[6:7], vcc, s[6:7]
	s_and_saveexec_b64 s[8:9], s[6:7]
	s_cbranch_execz .LBB244_10
; %bb.106:                              ;   in Loop: Header=BB244_12 Depth=1
	v_cmp_ne_u32_e32 vcc, s17, v82
	s_and_saveexec_b64 s[10:11], vcc
	s_cbranch_execz .LBB244_9
; %bb.107:                              ;   in Loop: Header=BB244_12 Depth=1
	v_subrev_u32_e32 v0, s17, v82
	v_cmp_lt_u32_e32 vcc, 1, v0
	s_mov_b64 s[12:13], 0
	s_mov_b64 s[38:39], 0
	v_cndmask_b32_e32 v0, 1, v0, vcc
.LBB244_108:                            ;   Parent Loop BB244_12 Depth=1
                                        ; =>  This Inner Loop Header: Depth=2
	s_cmp_lg_u32 s38, 3
	s_cselect_b64 vcc, -1, 0
	s_cmp_lg_u32 s38, 2
	v_cndmask_b32_e32 v5, 0, v5, vcc
	s_cselect_b64 vcc, -1, 0
	s_cmp_lg_u32 s38, 1
	v_cndmask_b32_e32 v4, 0, v4, vcc
	;; [unrolled: 3-line block ×3, first 2 shown]
	s_cselect_b64 vcc, -1, 0
	s_add_u32 s38, s38, 1
	s_addc_u32 s39, s39, 0
	v_cmp_eq_u32_e64 s[6:7], s38, v0
	s_or_b64 s[12:13], s[6:7], s[12:13]
	v_cndmask_b32_e32 v2, 0, v2, vcc
	s_andn2_b64 exec, exec, s[12:13]
	s_cbranch_execnz .LBB244_108
; %bb.109:                              ;   in Loop: Header=BB244_12 Depth=1
	s_or_b64 exec, exec, s[12:13]
	s_branch .LBB244_9
.LBB244_110:
	s_endpgm
	.section	.rodata,"a",@progbits
	.p2align	6, 0x0
	.amdhsa_kernel _Z16wvSplitK_hf_big_I14__hip_bfloat16Li64ELi4ELi16ELi8ELi1ELi3EEviiiiiiPKT_S3_S3_PS1_ii
		.amdhsa_group_segment_fixed_size 65536
		.amdhsa_private_segment_fixed_size 0
		.amdhsa_kernarg_size 64
		.amdhsa_user_sgpr_count 2
		.amdhsa_user_sgpr_dispatch_ptr 0
		.amdhsa_user_sgpr_queue_ptr 0
		.amdhsa_user_sgpr_kernarg_segment_ptr 1
		.amdhsa_user_sgpr_dispatch_id 0
		.amdhsa_user_sgpr_kernarg_preload_length 0
		.amdhsa_user_sgpr_kernarg_preload_offset 0
		.amdhsa_user_sgpr_private_segment_size 0
		.amdhsa_uses_dynamic_stack 0
		.amdhsa_enable_private_segment 0
		.amdhsa_system_sgpr_workgroup_id_x 1
		.amdhsa_system_sgpr_workgroup_id_y 0
		.amdhsa_system_sgpr_workgroup_id_z 0
		.amdhsa_system_sgpr_workgroup_info 0
		.amdhsa_system_vgpr_workitem_id 1
		.amdhsa_next_free_vgpr 98
		.amdhsa_next_free_sgpr 56
		.amdhsa_accum_offset 100
		.amdhsa_reserve_vcc 1
		.amdhsa_float_round_mode_32 0
		.amdhsa_float_round_mode_16_64 0
		.amdhsa_float_denorm_mode_32 3
		.amdhsa_float_denorm_mode_16_64 3
		.amdhsa_dx10_clamp 1
		.amdhsa_ieee_mode 1
		.amdhsa_fp16_overflow 0
		.amdhsa_tg_split 0
		.amdhsa_exception_fp_ieee_invalid_op 0
		.amdhsa_exception_fp_denorm_src 0
		.amdhsa_exception_fp_ieee_div_zero 0
		.amdhsa_exception_fp_ieee_overflow 0
		.amdhsa_exception_fp_ieee_underflow 0
		.amdhsa_exception_fp_ieee_inexact 0
		.amdhsa_exception_int_div_zero 0
	.end_amdhsa_kernel
	.section	.text._Z16wvSplitK_hf_big_I14__hip_bfloat16Li64ELi4ELi16ELi8ELi1ELi3EEviiiiiiPKT_S3_S3_PS1_ii,"axG",@progbits,_Z16wvSplitK_hf_big_I14__hip_bfloat16Li64ELi4ELi16ELi8ELi1ELi3EEviiiiiiPKT_S3_S3_PS1_ii,comdat
.Lfunc_end244:
	.size	_Z16wvSplitK_hf_big_I14__hip_bfloat16Li64ELi4ELi16ELi8ELi1ELi3EEviiiiiiPKT_S3_S3_PS1_ii, .Lfunc_end244-_Z16wvSplitK_hf_big_I14__hip_bfloat16Li64ELi4ELi16ELi8ELi1ELi3EEviiiiiiPKT_S3_S3_PS1_ii
                                        ; -- End function
	.section	.AMDGPU.csdata,"",@progbits
; Kernel info:
; codeLenInByte = 5848
; NumSgprs: 62
; NumVgprs: 98
; NumAgprs: 0
; TotalNumVgprs: 98
; ScratchSize: 0
; MemoryBound: 0
; FloatMode: 240
; IeeeMode: 1
; LDSByteSize: 65536 bytes/workgroup (compile time only)
; SGPRBlocks: 7
; VGPRBlocks: 12
; NumSGPRsForWavesPerEU: 62
; NumVGPRsForWavesPerEU: 98
; AccumOffset: 100
; Occupancy: 4
; WaveLimiterHint : 0
; COMPUTE_PGM_RSRC2:SCRATCH_EN: 0
; COMPUTE_PGM_RSRC2:USER_SGPR: 2
; COMPUTE_PGM_RSRC2:TRAP_HANDLER: 0
; COMPUTE_PGM_RSRC2:TGID_X_EN: 1
; COMPUTE_PGM_RSRC2:TGID_Y_EN: 0
; COMPUTE_PGM_RSRC2:TGID_Z_EN: 0
; COMPUTE_PGM_RSRC2:TIDIG_COMP_CNT: 1
; COMPUTE_PGM_RSRC3_GFX90A:ACCUM_OFFSET: 24
; COMPUTE_PGM_RSRC3_GFX90A:TG_SPLIT: 0
	.section	.text._Z16wvSplitK_hf_sml_I14__hip_bfloat16Li64ELi4ELi16ELi8ELi2ELi3EEviiiiiiPKT_S3_S3_PS1_ii,"axG",@progbits,_Z16wvSplitK_hf_sml_I14__hip_bfloat16Li64ELi4ELi16ELi8ELi2ELi3EEviiiiiiPKT_S3_S3_PS1_ii,comdat
	.protected	_Z16wvSplitK_hf_sml_I14__hip_bfloat16Li64ELi4ELi16ELi8ELi2ELi3EEviiiiiiPKT_S3_S3_PS1_ii ; -- Begin function _Z16wvSplitK_hf_sml_I14__hip_bfloat16Li64ELi4ELi16ELi8ELi2ELi3EEviiiiiiPKT_S3_S3_PS1_ii
	.globl	_Z16wvSplitK_hf_sml_I14__hip_bfloat16Li64ELi4ELi16ELi8ELi2ELi3EEviiiiiiPKT_S3_S3_PS1_ii
	.p2align	8
	.type	_Z16wvSplitK_hf_sml_I14__hip_bfloat16Li64ELi4ELi16ELi8ELi2ELi3EEviiiiiiPKT_S3_S3_PS1_ii,@function
_Z16wvSplitK_hf_sml_I14__hip_bfloat16Li64ELi4ELi16ELi8ELi2ELi3EEviiiiiiPKT_S3_S3_PS1_ii: ; @_Z16wvSplitK_hf_sml_I14__hip_bfloat16Li64ELi4ELi16ELi8ELi2ELi3EEviiiiiiPKT_S3_S3_PS1_ii
; %bb.0:
	s_load_dwordx4 s[4:7], s[0:1], 0x0
	s_load_dwordx2 s[8:9], s[0:1], 0x10
	s_load_dwordx2 s[10:11], s[0:1], 0x28
	v_and_b32_e32 v2, 0x3ff, v0
	v_bfe_u32 v3, v0, 10, 10
	v_lshlrev_b32_e32 v116, 3, v2
	s_waitcnt lgkmcnt(0)
	s_mul_i32 s3, s6, 3
	v_lshl_add_u32 v4, v3, 9, v116
	s_min_u32 s3, s3, 0x8000
	v_cmp_gt_u32_e32 vcc, s3, v4
	s_and_saveexec_b64 s[12:13], vcc
	s_cbranch_execz .LBB245_3
; %bb.1:
	s_load_dwordx2 s[14:15], s[0:1], 0x20
	v_mov_b32_e32 v7, 0
	v_lshlrev_b32_e32 v6, 10, v3
	v_lshlrev_b32_e32 v8, 4, v2
	v_mov_b32_e32 v9, v7
	v_lshl_add_u64 v[0:1], v[6:7], 0, v[8:9]
	s_waitcnt lgkmcnt(0)
	v_lshl_add_u64 v[0:1], s[14:15], 0, v[0:1]
	v_add_u32_e32 v5, v6, v8
	s_mov_b64 s[14:15], 0
	s_mov_b64 s[16:17], 0x4000
.LBB245_2:                              ; =>This Inner Loop Header: Depth=1
	global_load_dwordx4 v[6:9], v[0:1], off
	v_add_u32_e32 v4, 0x2000, v4
	v_cmp_le_u32_e32 vcc, s3, v4
	v_lshl_add_u64 v[0:1], v[0:1], 0, s[16:17]
	s_or_b64 s[14:15], vcc, s[14:15]
	s_waitcnt vmcnt(0)
	ds_write_b128 v5, v[6:9]
	v_add_u32_e32 v5, 0x4000, v5
	s_andn2_b64 exec, exec, s[14:15]
	s_cbranch_execnz .LBB245_2
.LBB245_3:
	s_or_b64 exec, exec, s[12:13]
	s_load_dwordx2 s[16:17], s[0:1], 0x38
	s_waitcnt lgkmcnt(0)
	s_barrier
	v_cmp_gt_u32_e32 vcc, s16, v3
	s_and_saveexec_b64 s[12:13], vcc
	s_cbranch_execz .LBB245_66
; %bb.4:
	s_mul_i32 s2, s2, s16
	v_add_lshl_u32 v96, s2, v3, 2
	v_cmp_gt_u32_e32 vcc, s7, v96
	s_and_b64 exec, exec, vcc
	s_cbranch_execz .LBB245_66
; %bb.5:
	s_cmp_lg_u32 s4, 0
	s_cselect_b64 s[2:3], -1, 0
	s_add_i32 s24, s4, -8
	s_add_i32 s25, s7, -1
	s_cmp_lg_u64 s[10:11], 0
	s_cselect_b64 s[18:19], -1, 0
	s_abs_i32 s21, s9
	v_cvt_f32_u32_e32 v0, s8
	v_cvt_f32_u32_e32 v1, s21
	s_mul_i32 s20, s16, s17
	s_lshl_b32 s9, s20, 2
	v_rcp_iflag_f32_e32 v0, v0
	v_rcp_iflag_f32_e32 v1, v1
	s_sub_i32 s20, 0, s8
	s_load_dwordx2 s[12:13], s[0:1], 0x18
	s_load_dwordx2 s[14:15], s[0:1], 0x30
	v_mul_f32_e32 v0, 0x4f7ffffe, v0
	v_mul_f32_e32 v1, 0x4f7ffffe, v1
	v_cvt_u32_f32_e32 v0, v0
	v_cvt_u32_f32_e32 v1, v1
	v_cmp_eq_u32_e64 s[0:1], 63, v2
	s_mov_b64 s[16:17], 0
	v_mul_lo_u32 v3, s20, v0
	s_sub_i32 s20, 0, s21
	v_readfirstlane_b32 s22, v1
	s_mul_i32 s20, s20, s22
	s_mul_hi_u32 s20, s22, s20
	s_add_i32 s22, s22, s20
	s_sub_i32 s20, 1, s21
	s_cmp_lt_u32 s21, 2
	s_cselect_b32 s20, s20, 1
	s_sub_i32 s23, s20, s21
	s_cmp_ge_u32 s20, s21
	s_cselect_b32 s26, s23, s20
	s_lshr_b32 s20, s22, 31
	s_mul_i32 s20, s20, s21
	s_sub_i32 s20, 2, s20
	s_sub_i32 s22, s20, s21
	s_cmp_ge_u32 s20, s21
	s_cselect_b32 s20, s22, s20
	s_sub_i32 s22, s20, s21
	v_mul_hi_u32 v3, v0, v3
	s_cmp_ge_u32 s20, s21
	v_add_u32_e32 v117, v0, v3
	s_cselect_b32 s27, s22, s20
	v_cndmask_b32_e64 v0, 0, 1, s[2:3]
	v_mov_b32_e32 v99, 0
	s_mul_i32 s26, s26, s8
	s_mul_i32 s27, s27, s8
	s_lshl_b32 s28, s6, 2
	v_lshlrev_b32_e32 v118, 4, v2
	s_lshl_b32 s6, s6, 1
	v_cmp_ne_u32_e64 s[2:3], 1, v0
	s_mov_b32 s29, 0x7f800000
	s_movk_i32 s30, 0x7fff
	s_branch .LBB245_8
.LBB245_6:                              ;   in Loop: Header=BB245_8 Depth=1
	s_or_b64 exec, exec, s[22:23]
	v_add_u32_e32 v98, 3, v98
	v_lshl_add_u64 v[2:3], v[98:99], 1, s[14:15]
	global_store_short_d16_hi v[2:3], v0, off
.LBB245_7:                              ;   in Loop: Header=BB245_8 Depth=1
	s_or_b64 exec, exec, s[20:21]
	v_add_u32_e32 v96, s9, v96
	v_cmp_le_u32_e32 vcc, s7, v96
	s_or_b64 s[16:17], vcc, s[16:17]
	s_andn2_b64 exec, exec, s[16:17]
	s_cbranch_execz .LBB245_66
.LBB245_8:                              ; =>This Loop Header: Depth=1
                                        ;     Child Loop BB245_12 Depth 2
	s_and_b64 vcc, exec, s[2:3]
	v_mov_b32_e32 v7, v99
	v_mov_b32_e32 v6, v99
	;; [unrolled: 1-line block ×48, first 2 shown]
	s_cbranch_vccnz .LBB245_15
; %bb.9:                                ;   in Loop: Header=BB245_8 Depth=1
	v_min_u32_e32 v0, s25, v96
	v_mul_lo_u32 v98, v0, s5
	v_or_b32_e32 v0, 1, v96
	v_or_b32_e32 v2, 2, v96
	;; [unrolled: 1-line block ×3, first 2 shown]
	v_min_u32_e32 v0, s25, v0
	v_min_u32_e32 v2, s25, v2
	;; [unrolled: 1-line block ×3, first 2 shown]
	v_mul_lo_u32 v0, v0, s5
	v_mov_b32_e32 v1, v99
	v_mul_lo_u32 v2, v2, s5
	v_mov_b32_e32 v3, v99
	;; [unrolled: 2-line block ×3, first 2 shown]
	v_mov_b32_e32 v32, 0
	s_mov_b32 s31, 0
	v_lshlrev_b64 v[100:101], 1, v[98:99]
	v_lshlrev_b64 v[102:103], 1, v[0:1]
	;; [unrolled: 1-line block ×4, first 2 shown]
	v_mov_b32_e32 v97, v118
	v_mov_b32_e32 v33, v32
	;; [unrolled: 1-line block ×48, first 2 shown]
	s_branch .LBB245_12
.LBB245_10:                             ;   in Loop: Header=BB245_12 Depth=2
	s_or_b64 exec, exec, s[22:23]
.LBB245_11:                             ;   in Loop: Header=BB245_12 Depth=2
	s_or_b64 exec, exec, s[20:21]
	s_waitcnt vmcnt(7) lgkmcnt(1)
	v_mfma_f32_4x4x4_16b_bf16 v[44:47], v[92:93], v[68:69], v[44:47]
	s_addk_i32 s31, 0x400
	s_waitcnt vmcnt(6)
	v_mfma_f32_4x4x4_16b_bf16 v[40:43], v[92:93], v[64:65], v[40:43]
	v_add_u32_e32 v97, 0x800, v97
	s_waitcnt vmcnt(5)
	v_mfma_f32_4x4x4_16b_bf16 v[36:39], v[92:93], v[76:77], v[36:39]
	s_cmp_ge_u32 s31, s4
	s_waitcnt vmcnt(4)
	v_mfma_f32_4x4x4_16b_bf16 v[32:35], v[92:93], v[72:73], v[32:35]
	v_mfma_f32_4x4x4_16b_bf16 v[28:31], v[88:89], v[68:69], v[28:31]
	;; [unrolled: 1-line block ×17, first 2 shown]
	s_waitcnt lgkmcnt(0)
	v_mfma_f32_4x4x4_16b_bf16 v[12:15], v[112:113], v[70:71], v[12:15]
	v_mfma_f32_4x4x4_16b_bf16 v[8:11], v[112:113], v[66:67], v[8:11]
	v_mfma_f32_4x4x4_16b_bf16 v[0:3], v[112:113], v[78:79], v[0:3]
	v_mfma_f32_4x4x4_16b_bf16 v[4:7], v[112:113], v[74:75], v[4:7]
	s_waitcnt vmcnt(3)
	v_mfma_f32_4x4x4_16b_bf16 v[44:47], v[84:85], v[56:57], v[44:47]
	s_waitcnt vmcnt(2)
	v_mfma_f32_4x4x4_16b_bf16 v[40:43], v[84:85], v[52:53], v[40:43]
	;; [unrolled: 2-line block ×4, first 2 shown]
	v_mfma_f32_4x4x4_16b_bf16 v[28:31], v[80:81], v[56:57], v[28:31]
	v_mfma_f32_4x4x4_16b_bf16 v[24:27], v[80:81], v[52:53], v[24:27]
	;; [unrolled: 1-line block ×20, first 2 shown]
	s_cbranch_scc1 .LBB245_15
.LBB245_12:                             ;   Parent Loop BB245_8 Depth=1
                                        ; =>  This Inner Loop Header: Depth=2
	v_add_u32_e32 v80, s31, v116
	v_min_u32_e32 v98, s24, v80
	s_waitcnt lgkmcnt(0)
	v_lshl_add_u64 v[48:49], v[98:99], 1, s[12:13]
	v_lshl_add_u64 v[50:51], v[48:49], 0, v[100:101]
	v_add_u32_e32 v119, 0x200, v80
	v_lshl_add_u64 v[52:53], v[48:49], 0, v[102:103]
	global_load_dwordx4 v[68:71], v[50:51], off nt
	global_load_dwordx4 v[64:67], v[52:53], off nt
	v_lshl_add_u64 v[50:51], v[48:49], 0, v[104:105]
	v_lshl_add_u64 v[48:49], v[48:49], 0, v[106:107]
	v_min_u32_e32 v98, s24, v119
	global_load_dwordx4 v[76:79], v[50:51], off nt
	global_load_dwordx4 v[72:75], v[48:49], off nt
	v_lshl_add_u64 v[48:49], v[98:99], 1, s[12:13]
	v_lshl_add_u64 v[50:51], v[48:49], 0, v[100:101]
	;; [unrolled: 1-line block ×3, first 2 shown]
	global_load_dwordx4 v[56:59], v[50:51], off nt
	s_nop 0
	global_load_dwordx4 v[52:55], v[52:53], off nt
	v_lshl_add_u64 v[50:51], v[48:49], 0, v[104:105]
	v_lshl_add_u64 v[48:49], v[48:49], 0, v[106:107]
	global_load_dwordx4 v[60:63], v[50:51], off nt
	s_nop 0
	global_load_dwordx4 v[48:51], v[48:49], off nt
	v_cmp_gt_u32_e32 vcc, s4, v80
	v_mov_b32_e32 v108, 0
	v_mov_b32_e32 v109, 0
	;; [unrolled: 1-line block ×24, first 2 shown]
	s_and_saveexec_b64 s[20:21], vcc
	s_cbranch_execz .LBB245_11
; %bb.13:                               ;   in Loop: Header=BB245_12 Depth=2
	v_add_u32_e32 v98, s6, v97
	v_add_u32_e32 v120, s28, v97
	ds_read_b128 v[88:91], v98
	ds_read2_b32 v[114:115], v120 offset1:1
	ds_read_b128 v[92:95], v97
	ds_read2_b32 v[112:113], v120 offset0:2 offset1:3
	v_cmp_gt_u32_e32 vcc, s4, v119
	v_mov_b32_e32 v85, 0
	v_mov_b32_e32 v84, 0
	;; [unrolled: 1-line block ×12, first 2 shown]
	s_and_saveexec_b64 s[22:23], vcc
	s_cbranch_execz .LBB245_10
; %bb.14:                               ;   in Loop: Header=BB245_12 Depth=2
	v_add_u32_e32 v84, 0x400, v120
	ds_read_b128 v[80:83], v98 offset:1024
	ds_read2_b32 v[110:111], v84 offset1:1
	v_add_u32_e32 v98, 0x408, v120
	ds_read_b128 v[84:87], v97 offset:1024
	ds_read2_b32 v[108:109], v98 offset1:1
	s_branch .LBB245_10
.LBB245_15:                             ;   in Loop: Header=BB245_8 Depth=1
	; sched_barrier mask(0x00000000)
	v_cvt_i32_f32_e32 v41, v41
	v_cvt_i32_f32_e32 v42, v42
	;; [unrolled: 1-line block ×6, first 2 shown]
	v_cvt_f32_i32_dpp v41, v41 row_shl:1 row_mask:0xf bank_mask:0xf bound_ctrl:1
	v_cvt_f32_i32_dpp v42, v42 row_shl:2 row_mask:0xf bank_mask:0xf bound_ctrl:1
	;; [unrolled: 1-line block ×6, first 2 shown]
	v_add_f32_e32 v40, v40, v41
	v_add_f32_e32 v40, v40, v42
	;; [unrolled: 1-line block ×5, first 2 shown]
	v_cvt_i32_f32_e32 v41, v40
	v_add_f32_e32 v44, v44, v47
	v_cvt_i32_f32_e32 v45, v44
	v_cvt_i32_f32_e32 v37, v37
	v_cvt_f32_i32_dpp v41, v41 row_shl:4 row_mask:0xf bank_mask:0xf bound_ctrl:1
	v_cvt_i32_f32_e32 v38, v38
	v_cvt_f32_i32_dpp v45, v45 row_shl:4 row_mask:0xf bank_mask:0xf bound_ctrl:1
	v_cvt_i32_f32_e32 v39, v39
	v_add_f32_e32 v40, v40, v41
	v_cvt_i32_f32_e32 v41, v40
	v_add_f32_e32 v42, v44, v45
	v_cvt_i32_f32_e32 v43, v42
	v_cvt_f32_i32_dpp v37, v37 row_shl:1 row_mask:0xf bank_mask:0xf bound_ctrl:1
	v_cvt_f32_i32_dpp v38, v38 row_shl:2 row_mask:0xf bank_mask:0xf bound_ctrl:1
	;; [unrolled: 1-line block ×5, first 2 shown]
	v_add_f32_e32 v36, v36, v37
	v_add_f32_e32 v36, v36, v38
	;; [unrolled: 1-line block ×4, first 2 shown]
	v_cvt_i32_f32_e32 v40, v40
	v_cvt_i32_f32_e32 v36, v37
	v_add_f32_e32 v42, v42, v43
	v_cvt_i32_f32_e32 v42, v42
	v_cvt_i32_f32_e32 v33, v33
	;; [unrolled: 1-line block ×3, first 2 shown]
	v_cvt_f32_i32_dpp v39, v40 row_shr:15 row_mask:0xf bank_mask:0xf bound_ctrl:1
	v_cvt_f32_i32_dpp v40, v36 row_shl:4 row_mask:0xf bank_mask:0xf bound_ctrl:1
	v_cvt_i32_f32_e32 v35, v35
	v_cvt_f32_i32_dpp v42, v42 row_shr:15 row_mask:0xf bank_mask:0xf bound_ctrl:1
	v_cvt_f32_i32_dpp v33, v33 row_shl:1 row_mask:0xf bank_mask:0xf bound_ctrl:1
	v_cvt_f32_i32_dpp v34, v34 row_shl:2 row_mask:0xf bank_mask:0xf bound_ctrl:1
	v_add_f32_e32 v37, v37, v40
	v_cvt_f32_i32_dpp v35, v35 row_shl:3 row_mask:0xf bank_mask:0xf bound_ctrl:1
	v_cvt_i32_f32_e32 v40, v37
	v_cvt_i32_f32_e32 v41, v42
	v_add_f32_e32 v32, v32, v33
	v_add_f32_e32 v32, v32, v34
	;; [unrolled: 1-line block ×3, first 2 shown]
	v_cvt_i32_f32_e32 v29, v29
	v_cvt_f32_i32_dpp v40, v40 row_shl:8 row_mask:0xf bank_mask:0xf bound_ctrl:1
	v_cvt_i32_f32_e32 v32, v34
	v_cvt_i32_f32_e32 v30, v30
	v_cvt_f32_i32_dpp v38, v41 row_bcast:15 row_mask:0xf bank_mask:0xf bound_ctrl:1
	v_cvt_i32_f32_e32 v41, v39
	v_cvt_i32_f32_e32 v31, v31
	v_cvt_f32_i32_dpp v29, v29 row_shl:1 row_mask:0xf bank_mask:0xf bound_ctrl:1
	v_add_f32_e32 v33, v37, v40
	v_cvt_f32_i32_dpp v40, v32 row_shl:4 row_mask:0xf bank_mask:0xf bound_ctrl:1
	v_cvt_f32_i32_dpp v30, v30 row_shl:2 row_mask:0xf bank_mask:0xf bound_ctrl:1
	v_cvt_f32_i32_dpp v35, v41 row_bcast:15 row_mask:0xf bank_mask:0xf bound_ctrl:1
	v_cvt_i32_f32_e32 v37, v33
	v_cvt_f32_i32_dpp v31, v31 row_shl:3 row_mask:0xf bank_mask:0xf bound_ctrl:1
	v_add_f32_e32 v28, v28, v29
	v_add_f32_e32 v34, v34, v40
	;; [unrolled: 1-line block ×4, first 2 shown]
	v_cvt_f32_i32_dpp v35, v37 row_shr:15 row_mask:0xf bank_mask:0xf bound_ctrl:1
	v_cvt_i32_f32_e32 v37, v34
	v_add_f32_e32 v28, v28, v31
	v_cvt_i32_f32_e32 v29, v28
	v_cvt_i32_f32_e32 v30, v35
	v_cvt_f32_i32_dpp v37, v37 row_shl:8 row_mask:0xf bank_mask:0xf bound_ctrl:1
	v_cvt_i32_f32_e32 v25, v25
	v_cvt_f32_i32_dpp v29, v29 row_shl:4 row_mask:0xf bank_mask:0xf bound_ctrl:1
	v_cvt_i32_f32_e32 v26, v26
	v_add_f32_e32 v31, v34, v37
	v_cvt_i32_f32_e32 v31, v31
	v_cvt_f32_i32_dpp v30, v30 row_bcast:15 row_mask:0xf bank_mask:0xf bound_ctrl:1
	v_add_f32_e32 v37, v28, v29
	v_cvt_i32_f32_e32 v27, v27
	v_cvt_i32_f32_e32 v29, v37
	v_cvt_f32_i32_dpp v25, v25 row_shl:1 row_mask:0xf bank_mask:0xf bound_ctrl:1
	v_add_f32_e32 v36, v42, v38
	v_cvt_f32_i32_dpp v26, v26 row_shl:2 row_mask:0xf bank_mask:0xf bound_ctrl:1
	v_cvt_i32_f32_e32 v38, v36
	v_cvt_f32_i32_dpp v31, v31 row_shr:15 row_mask:0xf bank_mask:0xf bound_ctrl:1
	v_add_f32_e32 v28, v35, v30
	v_cvt_f32_i32_dpp v27, v27 row_shl:3 row_mask:0xf bank_mask:0xf bound_ctrl:1
	v_cvt_i32_f32_e32 v35, v28
	v_cvt_f32_i32_dpp v39, v29 row_shl:8 row_mask:0xf bank_mask:0xf bound_ctrl:1
	v_add_f32_e32 v24, v24, v25
	v_cvt_i32_f32_e32 v21, v21
	v_add_f32_e32 v24, v24, v26
	v_cvt_i32_f32_e32 v22, v22
	v_mov_b32_dpp v33, v38 row_bcast:31 row_mask:0xf bank_mask:0xf bound_ctrl:1
	v_cvt_i32_f32_e32 v34, v32
	v_cvt_i32_f32_e32 v38, v31
	v_add_f32_e32 v25, v24, v27
	v_cvt_i32_f32_e32 v23, v23
	v_mov_b32_dpp v29, v35 row_bcast:31 row_mask:0xf bank_mask:0xf bound_ctrl:1
	v_add_f32_e32 v35, v37, v39
	v_cvt_i32_f32_e32 v26, v25
	v_cvt_i32_f32_e32 v35, v35
	v_cvt_f32_i32_dpp v21, v21 row_shl:1 row_mask:0xf bank_mask:0xf bound_ctrl:1
	v_cvt_f32_i32_dpp v22, v22 row_shl:2 row_mask:0xf bank_mask:0xf bound_ctrl:1
	v_mov_b32_dpp v30, v34 row_bcast:31 row_mask:0xf bank_mask:0xf bound_ctrl:1
	v_cvt_f32_i32_dpp v34, v38 row_bcast:15 row_mask:0xf bank_mask:0xf bound_ctrl:1
	v_cvt_f32_i32_dpp v23, v23 row_shl:3 row_mask:0xf bank_mask:0xf bound_ctrl:1
	v_cvt_f32_i32_dpp v26, v26 row_shl:4 row_mask:0xf bank_mask:0xf bound_ctrl:1
	v_cvt_f32_i32_dpp v35, v35 row_shr:15 row_mask:0xf bank_mask:0xf bound_ctrl:1
	v_add_f32_e32 v20, v20, v21
	v_add_f32_e32 v20, v20, v22
	;; [unrolled: 1-line block ×4, first 2 shown]
	v_cvt_i32_f32_e32 v27, v24
	v_add_f32_e32 v25, v25, v26
	v_cvt_i32_f32_e32 v20, v22
	v_cvt_i32_f32_e32 v31, v35
	;; [unrolled: 1-line block ×3, first 2 shown]
	v_mov_b32_dpp v21, v27 row_bcast:31 row_mask:0xf bank_mask:0xf bound_ctrl:1
	v_cvt_f32_i32_dpp v27, v20 row_shl:4 row_mask:0xf bank_mask:0xf bound_ctrl:1
	v_cvt_f32_i32_dpp v23, v31 row_bcast:15 row_mask:0xf bank_mask:0xf bound_ctrl:1
	v_cvt_f32_i32_dpp v26, v26 row_shl:8 row_mask:0xf bank_mask:0xf bound_ctrl:1
	v_cvt_i32_f32_e32 v17, v17
	v_add_f32_e32 v22, v22, v27
	v_cvt_i32_f32_e32 v18, v18
	v_add_f32_e32 v20, v35, v23
	v_add_f32_e32 v23, v25, v26
	v_cvt_i32_f32_e32 v19, v19
	v_cvt_i32_f32_e32 v25, v22
	v_cvt_f32_i32_dpp v17, v17 row_shl:1 row_mask:0xf bank_mask:0xf bound_ctrl:1
	v_cvt_f32_i32_dpp v18, v18 row_shl:2 row_mask:0xf bank_mask:0xf bound_ctrl:1
	;; [unrolled: 1-line block ×4, first 2 shown]
	v_add_f32_e32 v16, v16, v17
	v_add_f32_e32 v16, v16, v18
	;; [unrolled: 1-line block ×4, first 2 shown]
	v_cvt_i32_f32_e32 v17, v16
	v_cvt_i32_f32_e32 v19, v19
	;; [unrolled: 1-line block ×7, first 2 shown]
	v_cvt_f32_i32_dpp v17, v17 row_shl:4 row_mask:0xf bank_mask:0xf bound_ctrl:1
	v_cvt_i32_f32_e32 v22, v20
	v_cvt_f32_i32_dpp v19, v19 row_shr:15 row_mask:0xf bank_mask:0xf bound_ctrl:1
	v_cvt_f32_i32_dpp v1, v1 row_shl:1 row_mask:0xf bank_mask:0xf bound_ctrl:1
	v_cvt_f32_i32_dpp v13, v13 row_shl:1 row_mask:0xf bank_mask:0xf bound_ctrl:1
	v_cvt_i32_f32_e32 v9, v9
	v_cvt_f32_i32_dpp v2, v2 row_shl:2 row_mask:0xf bank_mask:0xf bound_ctrl:1
	v_cvt_i32_f32_e32 v3, v3
	;; [unrolled: 2-line block ×4, first 2 shown]
	v_add_f32_e32 v25, v16, v17
	v_mov_b32_dpp v17, v22 row_bcast:31 row_mask:0xf bank_mask:0xf bound_ctrl:1
	v_cvt_i32_f32_e32 v22, v19
	v_add_f32_e32 v0, v0, v1
	v_add_f32_e32 v12, v12, v13
	v_cvt_f32_i32_dpp v9, v9 row_shl:1 row_mask:0xf bank_mask:0xf bound_ctrl:1
	v_add_f32_e32 v0, v0, v2
	v_cvt_f32_i32_dpp v1, v3 row_shl:3 row_mask:0xf bank_mask:0xf bound_ctrl:1
	v_cvt_i32_f32_e32 v2, v5
	v_add_f32_e32 v12, v12, v14
	v_cvt_f32_i32_dpp v10, v10 row_shl:2 row_mask:0xf bank_mask:0xf bound_ctrl:1
	v_cvt_i32_f32_e32 v3, v6
	;; [unrolled: 3-line block ×3, first 2 shown]
	v_cvt_f32_i32_dpp v22, v22 row_bcast:15 row_mask:0xf bank_mask:0xf bound_ctrl:1
	v_cvt_i32_f32_e32 v12, v15
	v_add_f32_e32 v8, v8, v9
	v_add_f32_e32 v0, v0, v1
	v_cvt_f32_i32_dpp v1, v2 row_shl:1 row_mask:0xf bank_mask:0xf bound_ctrl:1
	v_add_f32_e32 v8, v8, v10
	v_cvt_f32_i32_dpp v2, v3 row_shl:2 row_mask:0xf bank_mask:0xf bound_ctrl:1
	;; [unrolled: 2-line block ×4, first 2 shown]
	v_cvt_i32_f32_e32 v11, v9
	v_add_f32_e32 v1, v4, v1
	v_add_f32_e32 v1, v1, v2
	;; [unrolled: 1-line block ×4, first 2 shown]
	v_cvt_f32_i32_dpp v11, v11 row_shl:4 row_mask:0xf bank_mask:0xf bound_ctrl:1
	v_cvt_i32_f32_e32 v5, v0
	v_cvt_i32_f32_e32 v2, v1
	;; [unrolled: 1-line block ×4, first 2 shown]
	v_add_f32_e32 v9, v9, v11
	v_cvt_f32_i32_dpp v4, v5 row_shl:4 row_mask:0xf bank_mask:0xf bound_ctrl:1
	v_cvt_f32_i32_dpp v2, v2 row_shl:4 row_mask:0xf bank_mask:0xf bound_ctrl:1
	v_cvt_f32_i32_dpp v18, v23 row_shr:15 row_mask:0xf bank_mask:0xf bound_ctrl:1
	v_cvt_f32_i32_dpp v19, v19 row_shl:8 row_mask:0xf bank_mask:0xf bound_ctrl:1
	v_cvt_i32_f32_e32 v11, v9
	v_add_f32_e32 v0, v0, v4
	v_add_f32_e32 v1, v1, v2
	v_cvt_i32_f32_e32 v23, v18
	v_cvt_i32_f32_e32 v16, v25
	v_add_f32_e32 v15, v15, v19
	v_cvt_f32_i32_dpp v3, v11 row_shl:8 row_mask:0xf bank_mask:0xf bound_ctrl:1
	v_cvt_i32_f32_e32 v4, v0
	v_cvt_i32_f32_e32 v2, v1
	;; [unrolled: 1-line block ×3, first 2 shown]
	v_cvt_f32_i32_dpp v23, v23 row_bcast:15 row_mask:0xf bank_mask:0xf bound_ctrl:1
	v_cvt_f32_i32_dpp v26, v16 row_shl:8 row_mask:0xf bank_mask:0xf bound_ctrl:1
	v_add_f32_e32 v3, v9, v3
	v_cvt_f32_i32_dpp v4, v4 row_shl:8 row_mask:0xf bank_mask:0xf bound_ctrl:1
	v_cvt_f32_i32_dpp v2, v2 row_shl:8 row_mask:0xf bank_mask:0xf bound_ctrl:1
	v_cvt_f32_i32_dpp v5, v15 row_shr:15 row_mask:0xf bank_mask:0xf bound_ctrl:1
	v_cvt_i32_f32_e32 v3, v3
	v_add_f32_e32 v16, v18, v23
	v_add_f32_e32 v23, v25, v26
	;; [unrolled: 1-line block ×4, first 2 shown]
	v_cvt_i32_f32_e32 v23, v23
	v_cvt_i32_f32_e32 v6, v5
	v_cvt_f32_i32_dpp v3, v3 row_shr:15 row_mask:0xf bank_mask:0xf bound_ctrl:1
	v_cvt_i32_f32_e32 v0, v0
	v_cvt_i32_f32_e32 v1, v1
	v_cvt_f32_i32_dpp v23, v23 row_shr:15 row_mask:0xf bank_mask:0xf bound_ctrl:1
	v_cvt_f32_i32_dpp v2, v6 row_bcast:15 row_mask:0xf bank_mask:0xf bound_ctrl:1
	v_cvt_f32_i32_dpp v0, v0 row_shr:15 row_mask:0xf bank_mask:0xf bound_ctrl:1
	v_cvt_i32_f32_e32 v4, v3
	v_cvt_f32_i32_dpp v1, v1 row_shr:15 row_mask:0xf bank_mask:0xf bound_ctrl:1
	v_cvt_i32_f32_e32 v18, v16
	v_cvt_i32_f32_e32 v25, v23
	v_add_f32_e32 v9, v5, v2
	v_cvt_i32_f32_e32 v2, v0
	v_cvt_f32_i32_dpp v4, v4 row_bcast:15 row_mask:0xf bank_mask:0xf bound_ctrl:1
	v_cvt_i32_f32_e32 v5, v1
	v_mov_b32_dpp v14, v18 row_bcast:31 row_mask:0xf bank_mask:0xf bound_ctrl:1
	v_cvt_f32_i32_dpp v18, v25 row_bcast:15 row_mask:0xf bank_mask:0xf bound_ctrl:1
	v_cvt_f32_i32_dpp v2, v2 row_bcast:15 row_mask:0xf bank_mask:0xf bound_ctrl:1
	v_add_f32_e32 v6, v3, v4
	v_cvt_f32_i32_dpp v3, v5 row_bcast:15 row_mask:0xf bank_mask:0xf bound_ctrl:1
	v_add_f32_e32 v12, v23, v18
	v_add_f32_e32 v4, v0, v2
	v_cvt_i32_f32_e32 v22, v13
	v_add_f32_e32 v2, v1, v3
	v_cvt_i32_f32_e32 v18, v12
	v_cvt_i32_f32_e32 v7, v9
	;; [unrolled: 1-line block ×5, first 2 shown]
	v_mov_b32_dpp v10, v22 row_bcast:31 row_mask:0xf bank_mask:0xf bound_ctrl:1
	v_mov_b32_dpp v8, v18 row_bcast:31 row_mask:0xf bank_mask:0xf bound_ctrl:1
	;; [unrolled: 1-line block ×6, first 2 shown]
	s_and_saveexec_b64 s[20:21], s[0:1]
	s_cbranch_execz .LBB245_7
; %bb.16:                               ;   in Loop: Header=BB245_8 Depth=1
	s_andn2_b64 vcc, exec, s[18:19]
	v_mov_b32_e32 v0, 0
	v_mov_b32_e32 v35, 0
	;; [unrolled: 1-line block ×12, first 2 shown]
	s_cbranch_vccnz .LBB245_18
; %bb.17:                               ;   in Loop: Header=BB245_8 Depth=1
	v_mul_hi_u32 v0, v96, v117
	v_mul_lo_u32 v0, v0, s8
	v_sub_u32_e32 v0, v96, v0
	v_subrev_u32_e32 v1, s8, v0
	v_cmp_le_u32_e32 vcc, s8, v0
	v_mov_b32_e32 v23, v99
	v_mov_b32_e32 v41, v99
	v_cndmask_b32_e32 v0, v0, v1, vcc
	v_subrev_u32_e32 v1, s8, v0
	v_cmp_le_u32_e32 vcc, s8, v0
	v_mov_b32_e32 v45, v99
	s_nop 0
	v_cndmask_b32_e32 v98, v0, v1, vcc
	v_or_b32_e32 v0, 1, v96
	v_mul_hi_u32 v1, v0, v117
	v_mul_lo_u32 v1, v1, s8
	v_sub_u32_e32 v0, v0, v1
	v_subrev_u32_e32 v1, s8, v0
	v_cmp_le_u32_e32 vcc, s8, v0
	v_lshl_add_u64 v[18:19], v[98:99], 1, s[10:11]
	s_nop 0
	v_cndmask_b32_e32 v0, v0, v1, vcc
	v_subrev_u32_e32 v1, s8, v0
	v_cmp_le_u32_e32 vcc, s8, v0
	s_nop 1
	v_cndmask_b32_e32 v22, v0, v1, vcc
	v_or_b32_e32 v0, 2, v96
	v_mul_hi_u32 v1, v0, v117
	v_mul_lo_u32 v1, v1, s8
	v_sub_u32_e32 v0, v0, v1
	v_subrev_u32_e32 v1, s8, v0
	v_cmp_le_u32_e32 vcc, s8, v0
	v_lshl_add_u64 v[38:39], v[22:23], 1, s[10:11]
	s_nop 0
	v_cndmask_b32_e32 v0, v0, v1, vcc
	v_subrev_u32_e32 v1, s8, v0
	v_cmp_le_u32_e32 vcc, s8, v0
	;; [unrolled: 13-line block ×3, first 2 shown]
	s_nop 1
	v_cndmask_b32_e32 v44, v0, v1, vcc
	v_add_u32_e32 v0, s26, v98
	v_mov_b32_e32 v1, v99
	v_lshl_add_u64 v[48:49], v[0:1], 1, s[10:11]
	v_add_u32_e32 v0, s26, v22
	v_lshl_add_u64 v[50:51], v[0:1], 1, s[10:11]
	v_add_u32_e32 v0, s26, v40
	;; [unrolled: 2-line block ×3, first 2 shown]
	v_lshl_add_u64 v[46:47], v[44:45], 1, s[10:11]
	v_lshl_add_u64 v[54:55], v[0:1], 1, s[10:11]
	global_load_ushort v0, v[18:19], off
	global_load_ushort v35, v[38:39], off
	;; [unrolled: 1-line block ×8, first 2 shown]
	v_add_u32_e32 v98, s27, v98
	v_lshl_add_u64 v[38:39], v[98:99], 1, s[10:11]
	v_add_u32_e32 v98, s27, v22
	v_lshl_add_u64 v[42:43], v[98:99], 1, s[10:11]
	v_add_u32_e32 v98, s27, v40
	v_lshl_add_u64 v[40:41], v[98:99], 1, s[10:11]
	v_add_u32_e32 v98, s27, v44
	v_lshl_add_u64 v[44:45], v[98:99], 1, s[10:11]
	global_load_ushort v22, v[38:39], off
	global_load_ushort v19, v[42:43], off
	;; [unrolled: 1-line block ×4, first 2 shown]
.LBB245_18:                             ;   in Loop: Header=BB245_8 Depth=1
	v_cvt_f32_i32_e32 v1, v33
	s_waitcnt vmcnt(11)
	v_lshlrev_b32_e32 v0, 16, v0
                                        ; implicit-def: $vgpr33
	v_add_f32_e32 v1, v36, v1
	v_add_f32_e32 v0, v1, v0
	v_and_b32_e32 v1, 0x7f800000, v0
	v_cmp_ne_u32_e32 vcc, s29, v1
	s_and_saveexec_b64 s[22:23], vcc
	s_xor_b64 s[22:23], exec, s[22:23]
; %bb.19:                               ;   in Loop: Header=BB245_8 Depth=1
	v_bfe_u32 v1, v0, 16, 1
	v_add3_u32 v33, v0, v1, s30
                                        ; implicit-def: $vgpr0
; %bb.20:                               ;   in Loop: Header=BB245_8 Depth=1
	s_andn2_saveexec_b64 s[22:23], s[22:23]
; %bb.21:                               ;   in Loop: Header=BB245_8 Depth=1
	v_or_b32_e32 v1, 0x10000, v0
	v_cmp_eq_u32_sdwa vcc, v0, v99 src0_sel:WORD_0 src1_sel:DWORD
	s_nop 1
	v_cndmask_b32_e32 v33, v1, v0, vcc
; %bb.22:                               ;   in Loop: Header=BB245_8 Depth=1
	s_or_b64 exec, exec, s[22:23]
	v_cvt_f32_i32_e32 v30, v30
	v_mov_b32_e32 v97, v99
	s_waitcnt lgkmcnt(0)
	v_lshl_add_u64 v[0:1], v[96:97], 1, s[14:15]
	global_store_short_d16_hi v[0:1], v33, off
	v_add_f32_e32 v30, v32, v30
	s_waitcnt vmcnt(11)
	v_lshlrev_b32_e32 v32, 16, v35
	v_add_f32_e32 v30, v30, v32
	v_and_b32_e32 v32, 0x7f800000, v30
	v_cmp_ne_u32_e32 vcc, s29, v32
                                        ; implicit-def: $vgpr32
	s_and_saveexec_b64 s[22:23], vcc
	s_xor_b64 s[22:23], exec, s[22:23]
; %bb.23:                               ;   in Loop: Header=BB245_8 Depth=1
	v_bfe_u32 v32, v30, 16, 1
	v_add3_u32 v32, v30, v32, s30
                                        ; implicit-def: $vgpr30
; %bb.24:                               ;   in Loop: Header=BB245_8 Depth=1
	s_andn2_saveexec_b64 s[22:23], s[22:23]
; %bb.25:                               ;   in Loop: Header=BB245_8 Depth=1
	v_or_b32_e32 v32, 0x10000, v30
	v_cmp_eq_u32_sdwa vcc, v30, v99 src0_sel:WORD_0 src1_sel:DWORD
	s_nop 1
	v_cndmask_b32_e32 v32, v32, v30, vcc
; %bb.26:                               ;   in Loop: Header=BB245_8 Depth=1
	s_or_b64 exec, exec, s[22:23]
	v_cvt_f32_i32_e32 v29, v29
	global_store_short_d16_hi v[0:1], v32, off offset:2
	v_add_f32_e32 v28, v28, v29
	s_waitcnt vmcnt(11)
	v_lshlrev_b32_e32 v29, 16, v34
	v_add_f32_e32 v28, v28, v29
	v_and_b32_e32 v29, 0x7f800000, v28
	v_cmp_ne_u32_e32 vcc, s29, v29
                                        ; implicit-def: $vgpr29
	s_and_saveexec_b64 s[22:23], vcc
	s_xor_b64 s[22:23], exec, s[22:23]
; %bb.27:                               ;   in Loop: Header=BB245_8 Depth=1
	v_bfe_u32 v29, v28, 16, 1
	v_add3_u32 v29, v28, v29, s30
                                        ; implicit-def: $vgpr28
; %bb.28:                               ;   in Loop: Header=BB245_8 Depth=1
	s_andn2_saveexec_b64 s[22:23], s[22:23]
; %bb.29:                               ;   in Loop: Header=BB245_8 Depth=1
	v_or_b32_e32 v29, 0x10000, v28
	v_cmp_eq_u32_sdwa vcc, v28, v99 src0_sel:WORD_0 src1_sel:DWORD
	s_nop 1
	v_cndmask_b32_e32 v29, v29, v28, vcc
; %bb.30:                               ;   in Loop: Header=BB245_8 Depth=1
	s_or_b64 exec, exec, s[22:23]
	v_cvt_f32_i32_e32 v21, v21
	global_store_short_d16_hi v[0:1], v29, off offset:4
	v_add_f32_e32 v21, v24, v21
	s_waitcnt vmcnt(11)
	v_lshlrev_b32_e32 v24, 16, v31
	v_add_f32_e32 v21, v21, v24
	v_and_b32_e32 v24, 0x7f800000, v21
	v_cmp_ne_u32_e32 vcc, s29, v24
                                        ; implicit-def: $vgpr24
	s_and_saveexec_b64 s[22:23], vcc
	s_xor_b64 s[22:23], exec, s[22:23]
; %bb.31:                               ;   in Loop: Header=BB245_8 Depth=1
	v_bfe_u32 v24, v21, 16, 1
	v_add3_u32 v24, v21, v24, s30
                                        ; implicit-def: $vgpr21
; %bb.32:                               ;   in Loop: Header=BB245_8 Depth=1
	s_andn2_saveexec_b64 s[22:23], s[22:23]
; %bb.33:                               ;   in Loop: Header=BB245_8 Depth=1
	v_or_b32_e32 v24, 0x10000, v21
	v_cmp_eq_u32_sdwa vcc, v21, v99 src0_sel:WORD_0 src1_sel:DWORD
	s_nop 1
	v_cndmask_b32_e32 v24, v24, v21, vcc
; %bb.34:                               ;   in Loop: Header=BB245_8 Depth=1
	s_or_b64 exec, exec, s[22:23]
	v_cvt_f32_i32_e32 v17, v17
	global_store_short_d16_hi v[0:1], v24, off offset:6
	s_waitcnt vmcnt(11)
	v_lshlrev_b32_e32 v1, 16, v27
	v_add_f32_e32 v0, v20, v17
	v_add_f32_e32 v1, v0, v1
	v_and_b32_e32 v0, 0x7f800000, v1
	v_cmp_ne_u32_e32 vcc, s29, v0
                                        ; implicit-def: $vgpr0
	s_and_saveexec_b64 s[22:23], vcc
	s_xor_b64 s[22:23], exec, s[22:23]
; %bb.35:                               ;   in Loop: Header=BB245_8 Depth=1
	v_bfe_u32 v0, v1, 16, 1
	v_add3_u32 v0, v1, v0, s30
                                        ; implicit-def: $vgpr1
; %bb.36:                               ;   in Loop: Header=BB245_8 Depth=1
	s_andn2_saveexec_b64 s[22:23], s[22:23]
; %bb.37:                               ;   in Loop: Header=BB245_8 Depth=1
	v_or_b32_e32 v0, 0x10000, v1
	v_cmp_eq_u32_sdwa vcc, v1, v99 src0_sel:WORD_0 src1_sel:DWORD
	s_nop 1
	v_cndmask_b32_e32 v0, v0, v1, vcc
; %bb.38:                               ;   in Loop: Header=BB245_8 Depth=1
	s_or_b64 exec, exec, s[22:23]
	v_cvt_f32_i32_e32 v1, v14
	v_add_u32_e32 v98, s7, v96
	v_lshl_add_u64 v[20:21], v[98:99], 1, s[14:15]
	global_store_short_d16_hi v[20:21], v0, off
	v_add_f32_e32 v0, v16, v1
	s_waitcnt vmcnt(11)
	v_lshlrev_b32_e32 v1, 16, v26
	v_add_f32_e32 v1, v0, v1
	v_and_b32_e32 v0, 0x7f800000, v1
	v_cmp_ne_u32_e32 vcc, s29, v0
                                        ; implicit-def: $vgpr0
	s_and_saveexec_b64 s[22:23], vcc
	s_xor_b64 s[22:23], exec, s[22:23]
; %bb.39:                               ;   in Loop: Header=BB245_8 Depth=1
	v_bfe_u32 v0, v1, 16, 1
	v_add3_u32 v0, v1, v0, s30
                                        ; implicit-def: $vgpr1
; %bb.40:                               ;   in Loop: Header=BB245_8 Depth=1
	s_andn2_saveexec_b64 s[22:23], s[22:23]
; %bb.41:                               ;   in Loop: Header=BB245_8 Depth=1
	v_or_b32_e32 v0, 0x10000, v1
	v_cmp_eq_u32_sdwa vcc, v1, v99 src0_sel:WORD_0 src1_sel:DWORD
	s_nop 1
	v_cndmask_b32_e32 v0, v0, v1, vcc
; %bb.42:                               ;   in Loop: Header=BB245_8 Depth=1
	s_or_b64 exec, exec, s[22:23]
	v_cvt_f32_i32_e32 v1, v10
	v_add_u32_e32 v16, 1, v98
	v_mov_b32_e32 v17, v99
	v_lshl_add_u64 v[16:17], v[16:17], 1, s[14:15]
	v_add_f32_e32 v1, v13, v1
	global_store_short_d16_hi v[16:17], v0, off
	s_waitcnt vmcnt(11)
	v_lshlrev_b32_e32 v0, 16, v25
	v_add_f32_e32 v1, v1, v0
	v_and_b32_e32 v0, 0x7f800000, v1
	v_cmp_ne_u32_e32 vcc, s29, v0
                                        ; implicit-def: $vgpr0
	s_and_saveexec_b64 s[22:23], vcc
	s_xor_b64 s[22:23], exec, s[22:23]
; %bb.43:                               ;   in Loop: Header=BB245_8 Depth=1
	v_bfe_u32 v0, v1, 16, 1
	v_add3_u32 v0, v1, v0, s30
                                        ; implicit-def: $vgpr1
; %bb.44:                               ;   in Loop: Header=BB245_8 Depth=1
	s_andn2_saveexec_b64 s[22:23], s[22:23]
; %bb.45:                               ;   in Loop: Header=BB245_8 Depth=1
	v_or_b32_e32 v0, 0x10000, v1
	v_cmp_eq_u32_sdwa vcc, v1, v99 src0_sel:WORD_0 src1_sel:DWORD
	s_nop 1
	v_cndmask_b32_e32 v0, v0, v1, vcc
; %bb.46:                               ;   in Loop: Header=BB245_8 Depth=1
	s_or_b64 exec, exec, s[22:23]
	v_cvt_f32_i32_e32 v1, v8
	v_add_u32_e32 v16, 2, v98
	v_mov_b32_e32 v17, v99
	v_lshl_add_u64 v[16:17], v[16:17], 1, s[14:15]
	v_add_f32_e32 v1, v12, v1
	global_store_short_d16_hi v[16:17], v0, off
	;; [unrolled: 27-line block ×3, first 2 shown]
	s_waitcnt vmcnt(11)
	v_lshlrev_b32_e32 v0, 16, v22
	v_add_f32_e32 v0, v1, v0
	v_and_b32_e32 v1, 0x7f800000, v0
	v_cmp_ne_u32_e32 vcc, s29, v1
                                        ; implicit-def: $vgpr8
	s_and_saveexec_b64 s[22:23], vcc
	s_xor_b64 s[22:23], exec, s[22:23]
; %bb.51:                               ;   in Loop: Header=BB245_8 Depth=1
	v_bfe_u32 v1, v0, 16, 1
	v_add3_u32 v8, v0, v1, s30
                                        ; implicit-def: $vgpr0
; %bb.52:                               ;   in Loop: Header=BB245_8 Depth=1
	s_andn2_saveexec_b64 s[22:23], s[22:23]
; %bb.53:                               ;   in Loop: Header=BB245_8 Depth=1
	v_or_b32_e32 v1, 0x10000, v0
	v_cmp_eq_u32_sdwa vcc, v0, v99 src0_sel:WORD_0 src1_sel:DWORD
	s_nop 1
	v_cndmask_b32_e32 v8, v1, v0, vcc
; %bb.54:                               ;   in Loop: Header=BB245_8 Depth=1
	s_or_b64 exec, exec, s[22:23]
	v_cvt_f32_i32_e32 v7, v7
	v_add_u32_e32 v98, s7, v98
	v_lshl_add_u64 v[0:1], v[98:99], 1, s[14:15]
	global_store_short_d16_hi v[0:1], v8, off
	v_add_f32_e32 v6, v6, v7
	s_waitcnt vmcnt(11)
	v_lshlrev_b32_e32 v7, 16, v19
	v_add_f32_e32 v6, v6, v7
	v_and_b32_e32 v7, 0x7f800000, v6
	v_cmp_ne_u32_e32 vcc, s29, v7
                                        ; implicit-def: $vgpr7
	s_and_saveexec_b64 s[22:23], vcc
	s_xor_b64 s[22:23], exec, s[22:23]
; %bb.55:                               ;   in Loop: Header=BB245_8 Depth=1
	v_bfe_u32 v7, v6, 16, 1
	v_add3_u32 v7, v6, v7, s30
                                        ; implicit-def: $vgpr6
; %bb.56:                               ;   in Loop: Header=BB245_8 Depth=1
	s_andn2_saveexec_b64 s[22:23], s[22:23]
; %bb.57:                               ;   in Loop: Header=BB245_8 Depth=1
	v_or_b32_e32 v7, 0x10000, v6
	v_cmp_eq_u32_sdwa vcc, v6, v99 src0_sel:WORD_0 src1_sel:DWORD
	s_nop 1
	v_cndmask_b32_e32 v7, v7, v6, vcc
; %bb.58:                               ;   in Loop: Header=BB245_8 Depth=1
	s_or_b64 exec, exec, s[22:23]
	v_cvt_f32_i32_e32 v5, v5
	global_store_short_d16_hi v[0:1], v7, off offset:2
	s_waitcnt vmcnt(11)
	v_lshlrev_b32_e32 v1, 16, v18
	v_add_f32_e32 v0, v4, v5
	v_add_f32_e32 v1, v0, v1
	v_and_b32_e32 v0, 0x7f800000, v1
	v_cmp_ne_u32_e32 vcc, s29, v0
                                        ; implicit-def: $vgpr0
	s_and_saveexec_b64 s[22:23], vcc
	s_xor_b64 s[22:23], exec, s[22:23]
; %bb.59:                               ;   in Loop: Header=BB245_8 Depth=1
	v_bfe_u32 v0, v1, 16, 1
	v_add3_u32 v0, v1, v0, s30
                                        ; implicit-def: $vgpr1
; %bb.60:                               ;   in Loop: Header=BB245_8 Depth=1
	s_andn2_saveexec_b64 s[22:23], s[22:23]
; %bb.61:                               ;   in Loop: Header=BB245_8 Depth=1
	v_or_b32_e32 v0, 0x10000, v1
	v_cmp_eq_u32_sdwa vcc, v1, v99 src0_sel:WORD_0 src1_sel:DWORD
	s_nop 1
	v_cndmask_b32_e32 v0, v0, v1, vcc
; %bb.62:                               ;   in Loop: Header=BB245_8 Depth=1
	s_or_b64 exec, exec, s[22:23]
	v_cvt_f32_i32_e32 v1, v3
	v_add_u32_e32 v4, 2, v98
	v_mov_b32_e32 v5, v99
	v_lshl_add_u64 v[4:5], v[4:5], 1, s[14:15]
	v_add_f32_e32 v1, v2, v1
	global_store_short_d16_hi v[4:5], v0, off
	s_waitcnt vmcnt(11)
	v_lshlrev_b32_e32 v0, 16, v15
	v_add_f32_e32 v1, v1, v0
	v_and_b32_e32 v0, 0x7f800000, v1
	v_cmp_ne_u32_e32 vcc, s29, v0
                                        ; implicit-def: $vgpr0
	s_and_saveexec_b64 s[22:23], vcc
	s_xor_b64 s[22:23], exec, s[22:23]
; %bb.63:                               ;   in Loop: Header=BB245_8 Depth=1
	v_bfe_u32 v0, v1, 16, 1
	v_add3_u32 v0, v1, v0, s30
                                        ; implicit-def: $vgpr1
; %bb.64:                               ;   in Loop: Header=BB245_8 Depth=1
	s_andn2_saveexec_b64 s[22:23], s[22:23]
	s_cbranch_execz .LBB245_6
; %bb.65:                               ;   in Loop: Header=BB245_8 Depth=1
	v_or_b32_e32 v0, 0x10000, v1
	v_cmp_eq_u32_sdwa vcc, v1, v99 src0_sel:WORD_0 src1_sel:DWORD
	s_nop 1
	v_cndmask_b32_e32 v0, v0, v1, vcc
	s_branch .LBB245_6
.LBB245_66:
	s_endpgm
	.section	.rodata,"a",@progbits
	.p2align	6, 0x0
	.amdhsa_kernel _Z16wvSplitK_hf_sml_I14__hip_bfloat16Li64ELi4ELi16ELi8ELi2ELi3EEviiiiiiPKT_S3_S3_PS1_ii
		.amdhsa_group_segment_fixed_size 65536
		.amdhsa_private_segment_fixed_size 0
		.amdhsa_kernarg_size 64
		.amdhsa_user_sgpr_count 2
		.amdhsa_user_sgpr_dispatch_ptr 0
		.amdhsa_user_sgpr_queue_ptr 0
		.amdhsa_user_sgpr_kernarg_segment_ptr 1
		.amdhsa_user_sgpr_dispatch_id 0
		.amdhsa_user_sgpr_kernarg_preload_length 0
		.amdhsa_user_sgpr_kernarg_preload_offset 0
		.amdhsa_user_sgpr_private_segment_size 0
		.amdhsa_uses_dynamic_stack 0
		.amdhsa_enable_private_segment 0
		.amdhsa_system_sgpr_workgroup_id_x 1
		.amdhsa_system_sgpr_workgroup_id_y 0
		.amdhsa_system_sgpr_workgroup_id_z 0
		.amdhsa_system_sgpr_workgroup_info 0
		.amdhsa_system_vgpr_workitem_id 1
		.amdhsa_next_free_vgpr 121
		.amdhsa_next_free_sgpr 32
		.amdhsa_accum_offset 124
		.amdhsa_reserve_vcc 1
		.amdhsa_float_round_mode_32 0
		.amdhsa_float_round_mode_16_64 0
		.amdhsa_float_denorm_mode_32 3
		.amdhsa_float_denorm_mode_16_64 3
		.amdhsa_dx10_clamp 1
		.amdhsa_ieee_mode 1
		.amdhsa_fp16_overflow 0
		.amdhsa_tg_split 0
		.amdhsa_exception_fp_ieee_invalid_op 0
		.amdhsa_exception_fp_denorm_src 0
		.amdhsa_exception_fp_ieee_div_zero 0
		.amdhsa_exception_fp_ieee_overflow 0
		.amdhsa_exception_fp_ieee_underflow 0
		.amdhsa_exception_fp_ieee_inexact 0
		.amdhsa_exception_int_div_zero 0
	.end_amdhsa_kernel
	.section	.text._Z16wvSplitK_hf_sml_I14__hip_bfloat16Li64ELi4ELi16ELi8ELi2ELi3EEviiiiiiPKT_S3_S3_PS1_ii,"axG",@progbits,_Z16wvSplitK_hf_sml_I14__hip_bfloat16Li64ELi4ELi16ELi8ELi2ELi3EEviiiiiiPKT_S3_S3_PS1_ii,comdat
.Lfunc_end245:
	.size	_Z16wvSplitK_hf_sml_I14__hip_bfloat16Li64ELi4ELi16ELi8ELi2ELi3EEviiiiiiPKT_S3_S3_PS1_ii, .Lfunc_end245-_Z16wvSplitK_hf_sml_I14__hip_bfloat16Li64ELi4ELi16ELi8ELi2ELi3EEviiiiiiPKT_S3_S3_PS1_ii
                                        ; -- End function
	.section	.AMDGPU.csdata,"",@progbits
; Kernel info:
; codeLenInByte = 5176
; NumSgprs: 38
; NumVgprs: 121
; NumAgprs: 0
; TotalNumVgprs: 121
; ScratchSize: 0
; MemoryBound: 0
; FloatMode: 240
; IeeeMode: 1
; LDSByteSize: 65536 bytes/workgroup (compile time only)
; SGPRBlocks: 4
; VGPRBlocks: 15
; NumSGPRsForWavesPerEU: 38
; NumVGPRsForWavesPerEU: 121
; AccumOffset: 124
; Occupancy: 4
; WaveLimiterHint : 0
; COMPUTE_PGM_RSRC2:SCRATCH_EN: 0
; COMPUTE_PGM_RSRC2:USER_SGPR: 2
; COMPUTE_PGM_RSRC2:TRAP_HANDLER: 0
; COMPUTE_PGM_RSRC2:TGID_X_EN: 1
; COMPUTE_PGM_RSRC2:TGID_Y_EN: 0
; COMPUTE_PGM_RSRC2:TGID_Z_EN: 0
; COMPUTE_PGM_RSRC2:TIDIG_COMP_CNT: 1
; COMPUTE_PGM_RSRC3_GFX90A:ACCUM_OFFSET: 30
; COMPUTE_PGM_RSRC3_GFX90A:TG_SPLIT: 0
	.section	.text._Z12wvSplitK_hf_I14__hip_bfloat16Li64ELi4ELi16ELi8ELi2ELi3EEviiiiiiPKT_S3_S3_PS1_ii,"axG",@progbits,_Z12wvSplitK_hf_I14__hip_bfloat16Li64ELi4ELi16ELi8ELi2ELi3EEviiiiiiPKT_S3_S3_PS1_ii,comdat
	.protected	_Z12wvSplitK_hf_I14__hip_bfloat16Li64ELi4ELi16ELi8ELi2ELi3EEviiiiiiPKT_S3_S3_PS1_ii ; -- Begin function _Z12wvSplitK_hf_I14__hip_bfloat16Li64ELi4ELi16ELi8ELi2ELi3EEviiiiiiPKT_S3_S3_PS1_ii
	.globl	_Z12wvSplitK_hf_I14__hip_bfloat16Li64ELi4ELi16ELi8ELi2ELi3EEviiiiiiPKT_S3_S3_PS1_ii
	.p2align	8
	.type	_Z12wvSplitK_hf_I14__hip_bfloat16Li64ELi4ELi16ELi8ELi2ELi3EEviiiiiiPKT_S3_S3_PS1_ii,@function
_Z12wvSplitK_hf_I14__hip_bfloat16Li64ELi4ELi16ELi8ELi2ELi3EEviiiiiiPKT_S3_S3_PS1_ii: ; @_Z12wvSplitK_hf_I14__hip_bfloat16Li64ELi4ELi16ELi8ELi2ELi3EEviiiiiiPKT_S3_S3_PS1_ii
; %bb.0:
	s_load_dwordx2 s[8:9], s[0:1], 0x38
	s_load_dwordx4 s[12:15], s[0:1], 0x0
	s_load_dwordx2 s[20:21], s[0:1], 0x10
	v_bfe_u32 v7, v0, 10, 10
	s_mov_b32 s4, 1
	s_waitcnt lgkmcnt(0)
	s_mul_i32 s2, s2, s8
	v_add_lshl_u32 v110, s2, v7, 2
	v_add_u32_e32 v1, 4, v110
	s_mov_b32 s5, s4
	v_cmp_gt_u32_e32 vcc, s15, v110
	v_cmp_le_u32_e64 s[2:3], s15, v1
	s_mov_b32 s6, s4
	s_mov_b32 s7, s4
	v_mov_b64_e32 v[2:3], s[4:5]
	s_and_b64 s[10:11], vcc, s[2:3]
	v_mov_b64_e32 v[4:5], s[6:7]
	s_and_saveexec_b64 s[2:3], s[10:11]
	s_cbranch_execz .LBB246_6
; %bb.1:
	s_add_i32 s22, s15, -4
	v_mov_b64_e32 v[2:3], s[4:5]
	v_cmp_ne_u32_e32 vcc, s22, v110
	v_mov_b64_e32 v[4:5], s[6:7]
	s_and_saveexec_b64 s[10:11], vcc
	s_cbranch_execz .LBB246_5
; %bb.2:
	v_subrev_u32_e32 v1, s22, v110
	v_cmp_lt_u32_e32 vcc, 1, v1
	s_mov_b64 s[16:17], 0
	s_mov_b64 s[18:19], 0
	v_cndmask_b32_e32 v6, 1, v1, vcc
	s_mov_b32 s5, s4
	s_mov_b32 s6, s4
	;; [unrolled: 1-line block ×3, first 2 shown]
.LBB246_3:                              ; =>This Inner Loop Header: Depth=1
	s_cmp_lg_u32 s18, 3
	s_cselect_b32 s7, s7, 0
	s_cmp_lg_u32 s18, 2
	s_cselect_b32 s6, s6, 0
	;; [unrolled: 2-line block ×4, first 2 shown]
	s_add_u32 s18, s18, 1
	s_addc_u32 s19, s19, 0
	v_cmp_eq_u32_e32 vcc, s18, v6
	v_mov_b64_e32 v[2:3], s[4:5]
	s_or_b64 s[16:17], vcc, s[16:17]
	v_mov_b64_e32 v[4:5], s[6:7]
	s_andn2_b64 exec, exec, s[16:17]
	s_cbranch_execnz .LBB246_3
; %bb.4:
	s_or_b64 exec, exec, s[16:17]
	v_mov_b32_e32 v110, s22
.LBB246_5:
	s_or_b64 exec, exec, s[10:11]
.LBB246_6:
	s_or_b64 exec, exec, s[2:3]
	s_load_dwordx4 s[16:19], s[0:1], 0x20
	v_and_b32_e32 v6, 0x3ff, v0
	v_lshlrev_b32_e32 v114, 3, v6
	s_mul_i32 s2, s14, 3
	v_lshl_add_u32 v8, v7, 9, v114
	s_min_u32 s10, s2, 0x8000
	v_cmp_gt_u32_e32 vcc, s10, v8
	s_and_saveexec_b64 s[2:3], vcc
	s_cbranch_execz .LBB246_9
; %bb.7:
	v_mov_b32_e32 v11, 0
	v_lshlrev_b32_e32 v10, 10, v7
	v_lshlrev_b32_e32 v12, 4, v6
	v_mov_b32_e32 v13, v11
	v_lshl_add_u64 v[0:1], v[10:11], 0, v[12:13]
	s_waitcnt lgkmcnt(0)
	v_lshl_add_u64 v[0:1], s[16:17], 0, v[0:1]
	v_add_u32_e32 v9, v10, v12
	s_mov_b64 s[4:5], 0
	s_mov_b64 s[6:7], 0x4000
.LBB246_8:                              ; =>This Inner Loop Header: Depth=1
	global_load_dwordx4 v[10:13], v[0:1], off
	v_add_u32_e32 v8, 0x2000, v8
	v_cmp_le_u32_e32 vcc, s10, v8
	v_lshl_add_u64 v[0:1], v[0:1], 0, s[6:7]
	s_or_b64 s[4:5], vcc, s[4:5]
	s_waitcnt vmcnt(0)
	ds_write_b128 v9, v[10:13]
	v_add_u32_e32 v9, 0x4000, v9
	s_andn2_b64 exec, exec, s[4:5]
	s_cbranch_execnz .LBB246_8
.LBB246_9:
	s_or_b64 exec, exec, s[2:3]
	v_cmp_gt_u32_e32 vcc, s8, v7
	v_cmp_gt_u32_e64 s[2:3], s15, v110
	s_and_b64 s[2:3], vcc, s[2:3]
	s_waitcnt lgkmcnt(0)
	s_barrier
	s_and_saveexec_b64 s[4:5], s[2:3]
	s_cbranch_execz .LBB246_125
; %bb.10:
	s_cmp_lg_u32 s12, 0
	s_cselect_b64 s[2:3], -1, 0
	s_add_i32 s33, s12, -8
	s_add_i32 s40, s15, -1
	s_mul_i32 s4, s8, s9
	s_cmp_lg_u64 s[18:19], 0
	s_cselect_b64 s[28:29], -1, 0
	s_lshl_b32 s41, s4, 2
	s_abs_i32 s4, s21
	v_cvt_f32_u32_e32 v0, s20
	v_cvt_f32_u32_e32 v1, s4
	s_sub_i32 s5, 0, s20
	s_add_i32 s21, s15, -4
	v_rcp_iflag_f32_e32 v0, v0
	v_rcp_iflag_f32_e32 v1, v1
	s_load_dwordx2 s[22:23], s[0:1], 0x18
	s_load_dwordx2 s[24:25], s[0:1], 0x30
	v_cmp_eq_u32_e64 s[0:1], 63, v6
	v_mul_f32_e32 v0, 0x4f7ffffe, v0
	v_mul_f32_e32 v1, 0x4f7ffffe, v1
	v_cvt_u32_f32_e32 v0, v0
	v_cvt_u32_f32_e32 v1, v1
	s_mov_b64 s[26:27], 0
	v_mov_b32_e32 v113, 0
	v_mul_lo_u32 v7, s5, v0
	s_sub_i32 s5, 0, s4
	v_readfirstlane_b32 s6, v1
	s_mul_i32 s5, s5, s6
	s_mul_hi_u32 s5, s6, s5
	s_add_i32 s6, s6, s5
	s_sub_i32 s5, 1, s4
	s_cmp_lt_u32 s4, 2
	s_cselect_b32 s5, s5, 1
	s_sub_i32 s7, s5, s4
	s_cmp_ge_u32 s5, s4
	s_cselect_b32 s42, s7, s5
	s_lshr_b32 s5, s6, 31
	s_mul_i32 s5, s5, s4
	s_sub_i32 s5, 2, s5
	s_sub_i32 s6, s5, s4
	s_cmp_ge_u32 s5, s4
	s_cselect_b32 s5, s6, s5
	v_mul_hi_u32 v7, v0, v7
	s_sub_i32 s6, s5, s4
	v_add_u32_e32 v117, v0, v7
	s_cmp_ge_u32 s5, s4
	v_lshlrev_b32_e32 v0, 4, v6
	s_cselect_b32 s43, s6, s5
	scratch_store_dword off, v0, off        ; 4-byte Folded Spill
	s_lshl_b32 s44, s14, 1
	v_cndmask_b32_e64 v0, 0, 1, s[2:3]
	s_mul_i32 s42, s42, s20
	s_mul_i32 s43, s43, s20
	s_lshl_b32 s45, s14, 2
	v_add_u32_e32 v115, s44, v114
	v_add_u32_e32 v116, s14, v114
	v_cmp_ne_u32_e64 s[2:3], 1, v0
	s_movk_i32 s14, 0x7fff
	s_mov_b32 s46, 0x7f800000
	s_mov_b32 s30, 0
	s_branch .LBB246_13
.LBB246_11:                             ;   in Loop: Header=BB246_13 Depth=1
	s_or_b64 exec, exec, s[8:9]
	v_mov_b32_e32 v110, s21
.LBB246_12:                             ;   in Loop: Header=BB246_13 Depth=1
	s_or_b64 exec, exec, s[6:7]
	v_cmp_le_u32_e32 vcc, s15, v110
	s_or_b64 s[26:27], vcc, s[26:27]
	s_andn2_b64 exec, exec, s[26:27]
	s_cbranch_execz .LBB246_125
.LBB246_13:                             ; =>This Loop Header: Depth=1
                                        ;     Child Loop BB246_18 Depth 2
                                        ;     Child Loop BB246_123 Depth 2
	s_and_b64 vcc, exec, s[2:3]
	v_add_u32_e32 v66, 1, v110
	v_add_u32_e32 v64, 2, v110
	;; [unrolled: 1-line block ×3, first 2 shown]
	s_waitcnt vmcnt(1)
	v_mov_b32_e32 v13, v113
	v_mov_b32_e32 v12, v113
	;; [unrolled: 1-line block ×3, first 2 shown]
	s_waitcnt vmcnt(0)
	v_mov_b32_e32 v10, v113
	v_mov_b32_e32 v9, v113
	;; [unrolled: 1-line block ×45, first 2 shown]
	s_cbranch_vccnz .LBB246_45
; %bb.14:                               ;   in Loop: Header=BB246_13 Depth=1
	scratch_load_dword v111, off, off       ; 4-byte Folded Reload
	v_min_u32_e32 v0, s40, v110
	v_mul_lo_u32 v112, v0, s13
	v_min_u32_e32 v0, s40, v66
	v_min_u32_e32 v6, s40, v64
	;; [unrolled: 1-line block ×3, first 2 shown]
	v_mul_lo_u32 v0, v0, s13
	v_mov_b32_e32 v1, v113
	v_mul_lo_u32 v6, v6, s13
	v_mov_b32_e32 v7, v113
	;; [unrolled: 2-line block ×3, first 2 shown]
	v_mov_b32_e32 v38, 0
	s_mov_b32 s4, 0
	v_lshlrev_b64 v[118:119], 1, v[112:113]
	v_lshlrev_b64 v[120:121], 1, v[0:1]
	;; [unrolled: 1-line block ×4, first 2 shown]
	s_mov_b32 s34, 0
	v_mov_b32_e32 v39, v38
	v_mov_b32_e32 v40, v38
	;; [unrolled: 1-line block ×47, first 2 shown]
	s_branch .LBB246_18
.LBB246_15:                             ;   in Loop: Header=BB246_18 Depth=2
	s_or_b64 exec, exec, s[10:11]
.LBB246_16:                             ;   in Loop: Header=BB246_18 Depth=2
	s_or_b64 exec, exec, s[8:9]
.LBB246_17:                             ;   in Loop: Header=BB246_18 Depth=2
	s_or_b64 exec, exec, s[6:7]
	s_waitcnt vmcnt(0) lgkmcnt(0)
	v_mfma_f32_4x4x4_16b_bf16 v[50:53], v[86:87], v[62:63], v[50:53]
	s_addk_i32 s34, 0x400
	v_mfma_f32_4x4x4_16b_bf16 v[46:49], v[86:87], v[58:59], v[46:49]
	v_add_u32_e32 v111, 0x800, v111
	v_mfma_f32_4x4x4_16b_bf16 v[42:45], v[86:87], v[70:71], v[42:45]
	s_cmp_ge_u32 s34, s12
	v_mfma_f32_4x4x4_16b_bf16 v[38:41], v[86:87], v[66:67], v[38:41]
	v_mfma_f32_4x4x4_16b_bf16 v[34:37], v[90:91], v[62:63], v[34:37]
	v_mfma_f32_4x4x4_16b_bf16 v[30:33], v[90:91], v[58:59], v[30:33]
	v_mfma_f32_4x4x4_16b_bf16 v[26:29], v[90:91], v[70:71], v[26:29]
	v_mfma_f32_4x4x4_16b_bf16 v[22:25], v[90:91], v[66:67], v[22:25]
	v_mfma_f32_4x4x4_16b_bf16 v[18:21], v[94:95], v[62:63], v[18:21]
	v_mfma_f32_4x4x4_16b_bf16 v[14:17], v[94:95], v[58:59], v[14:17]
	v_mfma_f32_4x4x4_16b_bf16 v[6:9], v[94:95], v[70:71], v[6:9]
	v_mfma_f32_4x4x4_16b_bf16 v[10:13], v[94:95], v[66:67], v[10:13]
	v_mfma_f32_4x4x4_16b_bf16 v[50:53], v[88:89], v[64:65], v[50:53]
	v_mfma_f32_4x4x4_16b_bf16 v[46:49], v[88:89], v[60:61], v[46:49]
	v_mfma_f32_4x4x4_16b_bf16 v[42:45], v[88:89], v[72:73], v[42:45]
	v_mfma_f32_4x4x4_16b_bf16 v[38:41], v[88:89], v[68:69], v[38:41]
	v_mfma_f32_4x4x4_16b_bf16 v[34:37], v[92:93], v[64:65], v[34:37]
	v_mfma_f32_4x4x4_16b_bf16 v[30:33], v[92:93], v[60:61], v[30:33]
	v_mfma_f32_4x4x4_16b_bf16 v[26:29], v[92:93], v[72:73], v[26:29]
	v_mfma_f32_4x4x4_16b_bf16 v[22:25], v[92:93], v[68:69], v[22:25]
	v_mfma_f32_4x4x4_16b_bf16 v[18:21], v[96:97], v[64:65], v[18:21]
	v_mfma_f32_4x4x4_16b_bf16 v[14:17], v[96:97], v[60:61], v[14:17]
	v_mfma_f32_4x4x4_16b_bf16 v[6:9], v[96:97], v[72:73], v[6:9]
	v_mfma_f32_4x4x4_16b_bf16 v[10:13], v[96:97], v[68:69], v[10:13]
	v_mfma_f32_4x4x4_16b_bf16 v[50:53], v[98:99], v[78:79], v[50:53]
	v_mfma_f32_4x4x4_16b_bf16 v[46:49], v[98:99], v[74:75], v[46:49]
	v_mfma_f32_4x4x4_16b_bf16 v[42:45], v[98:99], v[82:83], v[42:45]
	v_mfma_f32_4x4x4_16b_bf16 v[38:41], v[98:99], v[54:55], v[38:41]
	v_mfma_f32_4x4x4_16b_bf16 v[34:37], v[106:107], v[78:79], v[34:37]
	v_mfma_f32_4x4x4_16b_bf16 v[30:33], v[106:107], v[74:75], v[30:33]
	v_mfma_f32_4x4x4_16b_bf16 v[26:29], v[106:107], v[82:83], v[26:29]
	v_mfma_f32_4x4x4_16b_bf16 v[22:25], v[106:107], v[54:55], v[22:25]
	v_mfma_f32_4x4x4_16b_bf16 v[18:21], v[102:103], v[78:79], v[18:21]
	v_mfma_f32_4x4x4_16b_bf16 v[14:17], v[102:103], v[74:75], v[14:17]
	v_mfma_f32_4x4x4_16b_bf16 v[6:9], v[102:103], v[82:83], v[6:9]
	v_mfma_f32_4x4x4_16b_bf16 v[10:13], v[102:103], v[54:55], v[10:13]
	v_mfma_f32_4x4x4_16b_bf16 v[50:53], v[100:101], v[80:81], v[50:53]
	v_mfma_f32_4x4x4_16b_bf16 v[46:49], v[100:101], v[76:77], v[46:49]
	v_mfma_f32_4x4x4_16b_bf16 v[42:45], v[100:101], v[84:85], v[42:45]
	v_mfma_f32_4x4x4_16b_bf16 v[38:41], v[100:101], v[56:57], v[38:41]
	v_mfma_f32_4x4x4_16b_bf16 v[34:37], v[108:109], v[80:81], v[34:37]
	v_mfma_f32_4x4x4_16b_bf16 v[30:33], v[108:109], v[76:77], v[30:33]
	v_mfma_f32_4x4x4_16b_bf16 v[26:29], v[108:109], v[84:85], v[26:29]
	v_mfma_f32_4x4x4_16b_bf16 v[22:25], v[108:109], v[56:57], v[22:25]
	v_mfma_f32_4x4x4_16b_bf16 v[18:21], v[104:105], v[80:81], v[18:21]
	v_mfma_f32_4x4x4_16b_bf16 v[14:17], v[104:105], v[76:77], v[14:17]
	v_mfma_f32_4x4x4_16b_bf16 v[6:9], v[104:105], v[84:85], v[6:9]
	v_mfma_f32_4x4x4_16b_bf16 v[10:13], v[104:105], v[56:57], v[10:13]
	s_cbranch_scc1 .LBB246_44
.LBB246_18:                             ;   Parent Loop BB246_13 Depth=1
                                        ; =>  This Inner Loop Header: Depth=2
	v_add_u32_e32 v0, s34, v114
	v_min_u32_e32 v112, s33, v0
	s_waitcnt lgkmcnt(0)
	v_lshl_add_u64 v[54:55], v[112:113], 1, s[22:23]
	v_lshl_add_u64 v[56:57], v[54:55], 0, v[118:119]
	;; [unrolled: 1-line block ×3, first 2 shown]
	v_add_u32_e32 v126, 0x200, v0
	global_load_dwordx4 v[62:65], v[56:57], off nt
	s_nop 0
	global_load_dwordx4 v[58:61], v[58:59], off nt
	v_lshl_add_u64 v[56:57], v[54:55], 0, v[122:123]
	v_lshl_add_u64 v[54:55], v[54:55], 0, v[124:125]
	v_min_u32_e32 v112, s33, v126
	global_load_dwordx4 v[70:73], v[56:57], off nt
	global_load_dwordx4 v[66:69], v[54:55], off nt
	v_lshl_add_u64 v[54:55], v[112:113], 1, s[22:23]
	v_lshl_add_u64 v[56:57], v[54:55], 0, v[118:119]
	;; [unrolled: 1-line block ×3, first 2 shown]
	global_load_dwordx4 v[78:81], v[56:57], off nt
	s_nop 0
	global_load_dwordx4 v[74:77], v[74:75], off nt
	v_lshl_add_u64 v[56:57], v[54:55], 0, v[122:123]
	v_lshl_add_u64 v[54:55], v[54:55], 0, v[124:125]
	global_load_dwordx4 v[82:85], v[56:57], off nt
	s_nop 0
	global_load_dwordx4 v[54:57], v[54:55], off nt
	s_mov_b32 s5, s4
	v_cmp_gt_u32_e32 vcc, s12, v0
	v_mov_b64_e32 v[86:87], s[4:5]
	v_mov_b32_e32 v103, 0
	v_mov_b32_e32 v102, 0
	;; [unrolled: 1-line block ×4, first 2 shown]
	v_mov_b64_e32 v[88:89], s[4:5]
	v_mov_b64_e32 v[98:99], s[4:5]
	;; [unrolled: 1-line block ×9, first 2 shown]
	s_and_saveexec_b64 s[6:7], vcc
	s_cbranch_execz .LBB246_17
; %bb.19:                               ;   in Loop: Header=BB246_18 Depth=2
	v_cmp_lt_u32_e32 vcc, s14, v0
                                        ; implicit-def: $vgpr86_vgpr87
	s_and_saveexec_b64 s[8:9], vcc
	s_xor_b64 s[8:9], exec, s[8:9]
	s_cbranch_execz .LBB246_21
; %bb.20:                               ;   in Loop: Header=BB246_18 Depth=2
	v_mov_b32_e32 v1, v113
	v_lshl_add_u64 v[0:1], v[0:1], 1, s[16:17]
	global_load_dwordx4 v[86:89], v[0:1], off
.LBB246_21:                             ;   in Loop: Header=BB246_18 Depth=2
	s_andn2_saveexec_b64 s[8:9], s[8:9]
	s_cbranch_execz .LBB246_23
; %bb.22:                               ;   in Loop: Header=BB246_18 Depth=2
	s_waitcnt vmcnt(0)
	ds_read_b128 v[86:89], v111
.LBB246_23:                             ;   in Loop: Header=BB246_18 Depth=2
	s_or_b64 exec, exec, s[8:9]
	v_add_u32_e32 v112, s34, v116
	v_cmp_lt_u32_e32 vcc, s14, v112
                                        ; implicit-def: $vgpr90_vgpr91
	s_and_saveexec_b64 s[8:9], vcc
	s_xor_b64 s[8:9], exec, s[8:9]
	s_cbranch_execz .LBB246_25
; %bb.24:                               ;   in Loop: Header=BB246_18 Depth=2
	v_lshl_add_u64 v[0:1], v[112:113], 1, s[16:17]
	global_load_dwordx4 v[90:93], v[0:1], off
.LBB246_25:                             ;   in Loop: Header=BB246_18 Depth=2
	s_andn2_saveexec_b64 s[8:9], s[8:9]
	s_cbranch_execz .LBB246_27
; %bb.26:                               ;   in Loop: Header=BB246_18 Depth=2
	s_waitcnt vmcnt(8)
	v_add_u32_e32 v0, s44, v111
	s_waitcnt vmcnt(0)
	ds_read_b128 v[90:93], v0
.LBB246_27:                             ;   in Loop: Header=BB246_18 Depth=2
	s_or_b64 exec, exec, s[8:9]
	v_add_u32_e32 v0, s34, v115
	v_cmp_lt_u32_e32 vcc, s14, v0
                                        ; implicit-def: $vgpr94_vgpr95
	s_and_saveexec_b64 s[8:9], vcc
	s_xor_b64 s[8:9], exec, s[8:9]
	s_cbranch_execz .LBB246_29
; %bb.28:                               ;   in Loop: Header=BB246_18 Depth=2
	v_mov_b32_e32 v1, v113
	v_lshl_add_u64 v[94:95], v[0:1], 1, s[16:17]
	global_load_dwordx4 v[94:97], v[94:95], off
.LBB246_29:                             ;   in Loop: Header=BB246_18 Depth=2
	s_andn2_saveexec_b64 s[8:9], s[8:9]
	s_cbranch_execz .LBB246_31
; %bb.30:                               ;   in Loop: Header=BB246_18 Depth=2
	s_waitcnt vmcnt(8)
	v_add_u32_e32 v1, s45, v111
	s_waitcnt vmcnt(0)
	ds_read2_b32 v[94:95], v1 offset1:1
	ds_read2_b32 v[96:97], v1 offset0:2 offset1:3
.LBB246_31:                             ;   in Loop: Header=BB246_18 Depth=2
	s_or_b64 exec, exec, s[8:9]
	s_mov_b32 s31, s30
	v_cmp_gt_u32_e32 vcc, s12, v126
	v_mov_b32_e32 v103, 0
	v_mov_b64_e32 v[98:99], s[30:31]
	v_mov_b32_e32 v102, 0
	v_mov_b32_e32 v105, 0
	v_mov_b32_e32 v104, 0
	v_mov_b64_e32 v[100:101], s[30:31]
	v_mov_b64_e32 v[106:107], s[30:31]
	;; [unrolled: 1-line block ×3, first 2 shown]
	s_and_saveexec_b64 s[8:9], vcc
	s_cbranch_execz .LBB246_16
; %bb.32:                               ;   in Loop: Header=BB246_18 Depth=2
	v_cmp_lt_u32_e32 vcc, s14, v126
                                        ; implicit-def: $vgpr98_vgpr99
	s_and_saveexec_b64 s[10:11], vcc
	s_xor_b64 s[10:11], exec, s[10:11]
	s_cbranch_execz .LBB246_34
; %bb.33:                               ;   in Loop: Header=BB246_18 Depth=2
	v_mov_b32_e32 v127, v113
	v_lshl_add_u64 v[98:99], v[126:127], 1, s[16:17]
	global_load_dwordx4 v[98:101], v[98:99], off
.LBB246_34:                             ;   in Loop: Header=BB246_18 Depth=2
	s_andn2_saveexec_b64 s[10:11], s[10:11]
	s_cbranch_execz .LBB246_36
; %bb.35:                               ;   in Loop: Header=BB246_18 Depth=2
	s_waitcnt vmcnt(0)
	ds_read_b128 v[98:101], v111 offset:1024
.LBB246_36:                             ;   in Loop: Header=BB246_18 Depth=2
	s_or_b64 exec, exec, s[10:11]
	v_add_u32_e32 v112, 0x200, v112
	v_cmp_lt_u32_e32 vcc, s14, v112
                                        ; implicit-def: $vgpr106_vgpr107
	s_and_saveexec_b64 s[10:11], vcc
	s_xor_b64 s[10:11], exec, s[10:11]
	s_cbranch_execz .LBB246_38
; %bb.37:                               ;   in Loop: Header=BB246_18 Depth=2
	v_lshl_add_u64 v[102:103], v[112:113], 1, s[16:17]
	global_load_dwordx4 v[106:109], v[102:103], off
.LBB246_38:                             ;   in Loop: Header=BB246_18 Depth=2
	s_andn2_saveexec_b64 s[10:11], s[10:11]
	s_cbranch_execz .LBB246_40
; %bb.39:                               ;   in Loop: Header=BB246_18 Depth=2
	s_waitcnt vmcnt(8)
	v_add_u32_e32 v1, s44, v111
	s_waitcnt vmcnt(0)
	ds_read_b128 v[106:109], v1 offset:1024
.LBB246_40:                             ;   in Loop: Header=BB246_18 Depth=2
	s_or_b64 exec, exec, s[10:11]
	v_add_u32_e32 v112, 0x200, v0
	v_cmp_lt_u32_e32 vcc, s14, v112
                                        ; implicit-def: $vgpr103
	s_and_saveexec_b64 s[10:11], vcc
	s_xor_b64 s[10:11], exec, s[10:11]
	s_cbranch_execz .LBB246_42
; %bb.41:                               ;   in Loop: Header=BB246_18 Depth=2
	v_lshl_add_u64 v[0:1], v[112:113], 1, s[16:17]
	global_load_dwordx4 v[102:105], v[0:1], off
.LBB246_42:                             ;   in Loop: Header=BB246_18 Depth=2
	s_andn2_saveexec_b64 s[10:11], s[10:11]
	s_cbranch_execz .LBB246_15
; %bb.43:                               ;   in Loop: Header=BB246_18 Depth=2
	s_waitcnt vmcnt(8)
	v_add_u32_e32 v0, s45, v111
	v_add_u32_e32 v1, 0x400, v0
	;; [unrolled: 1-line block ×3, first 2 shown]
	s_waitcnt vmcnt(0)
	ds_read2_b32 v[102:103], v1 offset1:1
	ds_read2_b32 v[104:105], v0 offset1:1
	s_branch .LBB246_15
.LBB246_44:                             ;   in Loop: Header=BB246_13 Depth=1
	v_add_u32_e32 v62, 3, v110
	v_add_u32_e32 v64, 2, v110
	;; [unrolled: 1-line block ×3, first 2 shown]
.LBB246_45:                             ;   in Loop: Header=BB246_13 Depth=1
	v_cvt_i32_f32_e32 v0, v51
	v_cvt_i32_f32_e32 v1, v52
	;; [unrolled: 1-line block ×4, first 2 shown]
	v_cvt_f32_i32_dpp v0, v0 row_shl:1 row_mask:0xf bank_mask:0xf bound_ctrl:1
	v_cvt_f32_i32_dpp v1, v1 row_shl:2 row_mask:0xf bank_mask:0xf bound_ctrl:1
	;; [unrolled: 1-line block ×3, first 2 shown]
	v_cvt_i32_f32_e32 v48, v48
	v_add_f32_e32 v0, v50, v0
	v_add_f32_e32 v0, v0, v1
	;; [unrolled: 1-line block ×3, first 2 shown]
	v_cvt_i32_f32_e32 v1, v49
	v_cvt_i32_f32_e32 v49, v0
	v_cvt_f32_i32_dpp v47, v47 row_shl:1 row_mask:0xf bank_mask:0xf bound_ctrl:1
	v_cvt_f32_i32_dpp v48, v48 row_shl:2 row_mask:0xf bank_mask:0xf bound_ctrl:1
	;; [unrolled: 1-line block ×4, first 2 shown]
	v_add_f32_e32 v46, v46, v47
	v_add_f32_e32 v46, v46, v48
	;; [unrolled: 1-line block ×3, first 2 shown]
	v_cvt_i32_f32_e32 v46, v1
	v_add_f32_e32 v0, v0, v49
	v_cvt_i32_f32_e32 v47, v0
	v_cvt_i32_f32_e32 v43, v43
	v_cvt_f32_i32_dpp v46, v46 row_shl:4 row_mask:0xf bank_mask:0xf bound_ctrl:1
	v_cvt_i32_f32_e32 v44, v44
	v_cvt_f32_i32_dpp v47, v47 row_shl:8 row_mask:0xf bank_mask:0xf bound_ctrl:1
	v_cvt_i32_f32_e32 v45, v45
	v_add_f32_e32 v1, v1, v46
	v_cvt_i32_f32_e32 v46, v1
	v_add_f32_e32 v0, v0, v47
	v_cvt_i32_f32_e32 v0, v0
	v_cvt_f32_i32_dpp v43, v43 row_shl:1 row_mask:0xf bank_mask:0xf bound_ctrl:1
	v_cvt_f32_i32_dpp v44, v44 row_shl:2 row_mask:0xf bank_mask:0xf bound_ctrl:1
	;; [unrolled: 1-line block ×4, first 2 shown]
	v_cvt_f32_i32_dpp v0, v0 row_shr:15 row_mask:0xf bank_mask:0xf bound_ctrl:1
	v_add_f32_e32 v42, v42, v43
	v_add_f32_e32 v42, v42, v44
	v_cvt_i32_f32_e32 v39, v39
	v_add_f32_e32 v43, v42, v45
	v_cvt_i32_f32_e32 v40, v40
	;; [unrolled: 2-line block ×3, first 2 shown]
	v_cvt_i32_f32_e32 v41, v41
	v_cvt_i32_f32_e32 v46, v0
	;; [unrolled: 1-line block ×3, first 2 shown]
	v_cvt_f32_i32_dpp v39, v39 row_shl:1 row_mask:0xf bank_mask:0xf bound_ctrl:1
	v_cvt_f32_i32_dpp v40, v40 row_shl:2 row_mask:0xf bank_mask:0xf bound_ctrl:1
	;; [unrolled: 1-line block ×4, first 2 shown]
	v_cvt_f32_i32_dpp v44, v46 row_bcast:15 row_mask:0xf bank_mask:0xf bound_ctrl:1
	v_cvt_f32_i32_dpp v1, v1 row_shr:15 row_mask:0xf bank_mask:0xf bound_ctrl:1
	v_add_f32_e32 v38, v38, v39
	v_add_f32_e32 v38, v38, v40
	;; [unrolled: 1-line block ×4, first 2 shown]
	v_cvt_i32_f32_e32 v35, v35
	v_add_f32_e32 v42, v0, v44
	v_cvt_i32_f32_e32 v44, v1
	v_cvt_i32_f32_e32 v45, v43
	;; [unrolled: 1-line block ×5, first 2 shown]
	v_cvt_f32_i32_dpp v35, v35 row_shl:1 row_mask:0xf bank_mask:0xf bound_ctrl:1
	v_cvt_f32_i32_dpp v45, v45 row_shl:8 row_mask:0xf bank_mask:0xf bound_ctrl:1
	v_cvt_f32_i32_dpp v41, v44 row_bcast:15 row_mask:0xf bank_mask:0xf bound_ctrl:1
	v_cvt_f32_i32_dpp v44, v38 row_shl:4 row_mask:0xf bank_mask:0xf bound_ctrl:1
	v_cvt_f32_i32_dpp v36, v36 row_shl:2 row_mask:0xf bank_mask:0xf bound_ctrl:1
	;; [unrolled: 1-line block ×3, first 2 shown]
	v_add_f32_e32 v34, v34, v35
	v_add_f32_e32 v39, v43, v45
	;; [unrolled: 1-line block ×5, first 2 shown]
	v_cvt_i32_f32_e32 v0, v42
	v_cvt_i32_f32_e32 v43, v39
	v_cvt_i32_f32_e32 v40, v1
	v_add_f32_e32 v34, v34, v37
	v_cvt_i32_f32_e32 v35, v34
	v_mov_b32_dpp v39, v0 row_bcast:31 row_mask:0xf bank_mask:0xf bound_ctrl:1
	v_cvt_f32_i32_dpp v0, v43 row_shr:15 row_mask:0xf bank_mask:0xf bound_ctrl:1
	v_cvt_f32_i32_dpp v40, v40 row_shl:8 row_mask:0xf bank_mask:0xf bound_ctrl:1
	v_cvt_f32_i32_dpp v35, v35 row_shl:4 row_mask:0xf bank_mask:0xf bound_ctrl:1
	v_cvt_i32_f32_e32 v31, v31
	v_cvt_i32_f32_e32 v36, v0
	v_add_f32_e32 v1, v1, v40
	v_cvt_i32_f32_e32 v32, v32
	v_cvt_i32_f32_e32 v1, v1
	v_add_f32_e32 v40, v34, v35
	v_cvt_i32_f32_e32 v33, v33
	v_cvt_i32_f32_e32 v35, v40
	v_cvt_f32_i32_dpp v31, v31 row_shl:1 row_mask:0xf bank_mask:0xf bound_ctrl:1
	v_cvt_f32_i32_dpp v36, v36 row_bcast:15 row_mask:0xf bank_mask:0xf bound_ctrl:1
	v_cvt_f32_i32_dpp v32, v32 row_shl:2 row_mask:0xf bank_mask:0xf bound_ctrl:1
	v_cvt_f32_i32_dpp v1, v1 row_shr:15 row_mask:0xf bank_mask:0xf bound_ctrl:1
	v_cvt_f32_i32_dpp v33, v33 row_shl:3 row_mask:0xf bank_mask:0xf bound_ctrl:1
	v_cvt_i32_f32_e32 v37, v38
	v_cvt_f32_i32_dpp v43, v35 row_shl:8 row_mask:0xf bank_mask:0xf bound_ctrl:1
	v_add_f32_e32 v30, v30, v31
	v_cvt_i32_f32_e32 v27, v27
	v_add_f32_e32 v34, v0, v36
	v_add_f32_e32 v30, v30, v32
	v_cvt_i32_f32_e32 v28, v28
	v_cvt_i32_f32_e32 v0, v34
	;; [unrolled: 1-line block ×3, first 2 shown]
	v_add_f32_e32 v31, v30, v33
	v_cvt_i32_f32_e32 v29, v29
	v_mov_b32_dpp v36, v37 row_bcast:31 row_mask:0xf bank_mask:0xf bound_ctrl:1
	v_add_f32_e32 v37, v40, v43
	v_cvt_i32_f32_e32 v32, v31
	v_cvt_i32_f32_e32 v37, v37
	v_cvt_f32_i32_dpp v27, v27 row_shl:1 row_mask:0xf bank_mask:0xf bound_ctrl:1
	v_cvt_f32_i32_dpp v28, v28 row_shl:2 row_mask:0xf bank_mask:0xf bound_ctrl:1
	v_mov_b32_dpp v35, v0 row_bcast:31 row_mask:0xf bank_mask:0xf bound_ctrl:1
	v_cvt_f32_i32_dpp v0, v41 row_bcast:15 row_mask:0xf bank_mask:0xf bound_ctrl:1
	v_cvt_f32_i32_dpp v29, v29 row_shl:3 row_mask:0xf bank_mask:0xf bound_ctrl:1
	v_cvt_f32_i32_dpp v32, v32 row_shl:4 row_mask:0xf bank_mask:0xf bound_ctrl:1
	v_cvt_f32_i32_dpp v37, v37 row_shr:15 row_mask:0xf bank_mask:0xf bound_ctrl:1
	v_add_f32_e32 v26, v26, v27
	v_add_f32_e32 v26, v26, v28
	v_cvt_i32_f32_e32 v23, v23
	v_add_f32_e32 v30, v1, v0
	v_add_f32_e32 v28, v26, v29
	v_cvt_i32_f32_e32 v24, v24
	v_cvt_i32_f32_e32 v0, v30
	v_add_f32_e32 v31, v31, v32
	v_cvt_i32_f32_e32 v26, v28
	v_cvt_i32_f32_e32 v25, v25
	;; [unrolled: 1-line block ×4, first 2 shown]
	v_cvt_f32_i32_dpp v23, v23 row_shl:1 row_mask:0xf bank_mask:0xf bound_ctrl:1
	v_cvt_f32_i32_dpp v24, v24 row_shl:2 row_mask:0xf bank_mask:0xf bound_ctrl:1
	v_mov_b32_dpp v27, v0 row_bcast:31 row_mask:0xf bank_mask:0xf bound_ctrl:1
	v_cvt_f32_i32_dpp v0, v26 row_shl:4 row_mask:0xf bank_mask:0xf bound_ctrl:1
	v_cvt_f32_i32_dpp v25, v25 row_shl:3 row_mask:0xf bank_mask:0xf bound_ctrl:1
	v_cvt_f32_i32_dpp v1, v1 row_bcast:15 row_mask:0xf bank_mask:0xf bound_ctrl:1
	v_cvt_f32_i32_dpp v29, v32 row_shl:8 row_mask:0xf bank_mask:0xf bound_ctrl:1
	v_add_f32_e32 v22, v22, v23
	v_add_f32_e32 v22, v22, v24
	;; [unrolled: 1-line block ×6, first 2 shown]
	v_cvt_i32_f32_e32 v28, v0
	v_cvt_i32_f32_e32 v23, v22
	;; [unrolled: 1-line block ×4, first 2 shown]
	v_cvt_f32_i32_dpp v28, v28 row_shl:8 row_mask:0xf bank_mask:0xf bound_ctrl:1
	v_cvt_f32_i32_dpp v23, v23 row_shl:4 row_mask:0xf bank_mask:0xf bound_ctrl:1
	v_cvt_f32_i32_dpp v1, v1 row_shr:15 row_mask:0xf bank_mask:0xf bound_ctrl:1
	v_cvt_i32_f32_e32 v20, v20
	v_add_f32_e32 v0, v0, v28
	v_add_f32_e32 v28, v22, v23
	v_cvt_i32_f32_e32 v25, v1
	v_cvt_i32_f32_e32 v22, v28
	;; [unrolled: 1-line block ×4, first 2 shown]
	v_cvt_f32_i32_dpp v25, v25 row_bcast:15 row_mask:0xf bank_mask:0xf bound_ctrl:1
	v_cvt_f32_i32_dpp v29, v22 row_shl:8 row_mask:0xf bank_mask:0xf bound_ctrl:1
	v_cvt_i32_f32_e32 v24, v26
	v_cvt_f32_i32_dpp v0, v0 row_shr:15 row_mask:0xf bank_mask:0xf bound_ctrl:1
	v_add_f32_e32 v22, v1, v25
	v_add_f32_e32 v25, v28, v29
	v_cvt_i32_f32_e32 v25, v25
	v_cvt_f32_i32_dpp v19, v19 row_shl:1 row_mask:0xf bank_mask:0xf bound_ctrl:1
	v_cvt_i32_f32_e32 v7, v7
	v_cvt_f32_i32_dpp v20, v20 row_shl:2 row_mask:0xf bank_mask:0xf bound_ctrl:1
	v_cvt_f32_i32_dpp v25, v25 row_shr:15 row_mask:0xf bank_mask:0xf bound_ctrl:1
	v_cvt_i32_f32_e32 v15, v15
	v_cvt_i32_f32_e32 v8, v8
	v_cvt_f32_i32_dpp v21, v21 row_shl:3 row_mask:0xf bank_mask:0xf bound_ctrl:1
	v_cvt_i32_f32_e32 v16, v16
	v_mov_b32_dpp v23, v24 row_bcast:31 row_mask:0xf bank_mask:0xf bound_ctrl:1
	v_cvt_i32_f32_e32 v24, v0
	v_cvt_i32_f32_e32 v1, v22
	;; [unrolled: 1-line block ×4, first 2 shown]
	v_add_f32_e32 v18, v18, v19
	v_cvt_f32_i32_dpp v7, v7 row_shl:1 row_mask:0xf bank_mask:0xf bound_ctrl:1
	v_add_f32_e32 v18, v18, v20
	v_cvt_f32_i32_dpp v15, v15 row_shl:1 row_mask:0xf bank_mask:0xf bound_ctrl:1
	v_cvt_f32_i32_dpp v8, v8 row_shl:2 row_mask:0xf bank_mask:0xf bound_ctrl:1
	v_cvt_i32_f32_e32 v9, v9
	v_add_f32_e32 v21, v18, v21
	v_cvt_f32_i32_dpp v16, v16 row_shl:2 row_mask:0xf bank_mask:0xf bound_ctrl:1
	v_cvt_f32_i32_dpp v24, v24 row_bcast:15 row_mask:0xf bank_mask:0xf bound_ctrl:1
	v_cvt_i32_f32_e32 v18, v21
	v_mov_b32_dpp v20, v1 row_bcast:31 row_mask:0xf bank_mask:0xf bound_ctrl:1
	v_cvt_f32_i32_dpp v1, v28 row_bcast:15 row_mask:0xf bank_mask:0xf bound_ctrl:1
	v_cvt_f32_i32_dpp v17, v17 row_shl:3 row_mask:0xf bank_mask:0xf bound_ctrl:1
	v_add_f32_e32 v6, v6, v7
	v_add_f32_e32 v14, v14, v15
	;; [unrolled: 1-line block ×3, first 2 shown]
	v_cvt_f32_i32_dpp v7, v9 row_shl:3 row_mask:0xf bank_mask:0xf bound_ctrl:1
	v_cvt_i32_f32_e32 v8, v11
	v_add_f32_e32 v14, v14, v16
	v_cvt_i32_f32_e32 v9, v12
	v_add_f32_e32 v19, v0, v24
	v_cvt_f32_i32_dpp v0, v18 row_shl:4 row_mask:0xf bank_mask:0xf bound_ctrl:1
	v_add_f32_e32 v18, v25, v1
	v_add_f32_e32 v16, v14, v17
	v_cvt_i32_f32_e32 v11, v13
	v_cvt_i32_f32_e32 v1, v18
	;; [unrolled: 1-line block ×3, first 2 shown]
	v_add_f32_e32 v6, v6, v7
	v_cvt_f32_i32_dpp v7, v8 row_shl:1 row_mask:0xf bank_mask:0xf bound_ctrl:1
	v_cvt_f32_i32_dpp v8, v9 row_shl:2 row_mask:0xf bank_mask:0xf bound_ctrl:1
	;; [unrolled: 1-line block ×3, first 2 shown]
	v_mov_b32_dpp v14, v1 row_bcast:31 row_mask:0xf bank_mask:0xf bound_ctrl:1
	v_cvt_f32_i32_dpp v1, v17 row_shl:4 row_mask:0xf bank_mask:0xf bound_ctrl:1
	v_add_f32_e32 v7, v10, v7
	v_add_f32_e32 v7, v7, v8
	v_add_f32_e32 v7, v7, v9
	v_add_f32_e32 v0, v21, v0
	v_add_f32_e32 v1, v16, v1
	v_cvt_i32_f32_e32 v11, v6
	v_cvt_i32_f32_e32 v8, v7
	;; [unrolled: 1-line block ×4, first 2 shown]
	v_cvt_f32_i32_dpp v10, v11 row_shl:4 row_mask:0xf bank_mask:0xf bound_ctrl:1
	v_cvt_f32_i32_dpp v8, v8 row_shl:4 row_mask:0xf bank_mask:0xf bound_ctrl:1
	;; [unrolled: 1-line block ×4, first 2 shown]
	v_add_f32_e32 v6, v6, v10
	v_add_f32_e32 v7, v7, v8
	v_add_f32_e32 v0, v0, v21
	v_add_f32_e32 v1, v1, v9
	v_cvt_i32_f32_e32 v9, v6
	v_cvt_i32_f32_e32 v8, v7
	;; [unrolled: 1-line block ×4, first 2 shown]
	v_cvt_f32_i32_dpp v9, v9 row_shl:8 row_mask:0xf bank_mask:0xf bound_ctrl:1
	v_cvt_f32_i32_dpp v8, v8 row_shl:8 row_mask:0xf bank_mask:0xf bound_ctrl:1
	v_cvt_f32_i32_dpp v0, v0 row_shr:15 row_mask:0xf bank_mask:0xf bound_ctrl:1
	v_cvt_f32_i32_dpp v1, v1 row_shr:15 row_mask:0xf bank_mask:0xf bound_ctrl:1
	v_add_f32_e32 v6, v6, v9
	v_add_f32_e32 v7, v7, v8
	v_cvt_i32_f32_e32 v10, v0
	v_cvt_i32_f32_e32 v6, v6
	;; [unrolled: 1-line block ×4, first 2 shown]
	v_cvt_f32_i32_dpp v8, v10 row_bcast:15 row_mask:0xf bank_mask:0xf bound_ctrl:1
	v_cvt_f32_i32_dpp v6, v6 row_shr:15 row_mask:0xf bank_mask:0xf bound_ctrl:1
	v_cvt_f32_i32_dpp v7, v7 row_shr:15 row_mask:0xf bank_mask:0xf bound_ctrl:1
	v_cvt_i32_f32_e32 v24, v19
	v_add_f32_e32 v11, v0, v8
	v_cvt_i32_f32_e32 v0, v6
	v_cvt_f32_i32_dpp v8, v9 row_bcast:15 row_mask:0xf bank_mask:0xf bound_ctrl:1
	v_cvt_i32_f32_e32 v9, v7
	v_cvt_i32_f32_e32 v10, v11
	v_cvt_f32_i32_dpp v0, v0 row_bcast:15 row_mask:0xf bank_mask:0xf bound_ctrl:1
	v_add_f32_e32 v8, v1, v8
	v_cvt_f32_i32_dpp v1, v9 row_bcast:15 row_mask:0xf bank_mask:0xf bound_ctrl:1
	v_cvt_i32_f32_e32 v9, v8
	v_add_f32_e32 v6, v6, v0
	v_cvt_i32_f32_e32 v13, v6
	v_add_f32_e32 v0, v7, v1
	v_cvt_i32_f32_e32 v1, v0
	v_mov_b32_dpp v15, v24 row_bcast:31 row_mask:0xf bank_mask:0xf bound_ctrl:1
	v_mov_b32_dpp v12, v10 row_bcast:31 row_mask:0xf bank_mask:0xf bound_ctrl:1
	;; [unrolled: 1-line block ×5, first 2 shown]
	s_and_saveexec_b64 s[34:35], s[0:1]
	s_cbranch_execz .LBB246_120
; %bb.46:                               ;   in Loop: Header=BB246_13 Depth=1
	s_andn2_b64 vcc, exec, s[28:29]
	v_mov_b32_e32 v33, 0
	v_mov_b32_e32 v32, 0
	;; [unrolled: 1-line block ×12, first 2 shown]
	s_cbranch_vccnz .LBB246_48
; %bb.47:                               ;   in Loop: Header=BB246_13 Depth=1
	v_mul_hi_u32 v10, v110, v117
	v_mul_lo_u32 v10, v10, s20
	v_sub_u32_e32 v10, v110, v10
	v_subrev_u32_e32 v13, s20, v10
	v_cmp_le_u32_e32 vcc, s20, v10
	v_mov_b32_e32 v25, v113
	v_mov_b32_e32 v41, v113
	v_cndmask_b32_e32 v10, v10, v13, vcc
	v_subrev_u32_e32 v13, s20, v10
	v_cmp_le_u32_e32 vcc, s20, v10
	v_mov_b32_e32 v47, v113
	v_mov_b32_e32 v51, v113
	v_cndmask_b32_e32 v112, v10, v13, vcc
	v_mul_hi_u32 v10, v66, v117
	v_mul_lo_u32 v10, v10, s20
	v_sub_u32_e32 v10, v66, v10
	v_subrev_u32_e32 v13, s20, v10
	v_cmp_le_u32_e32 vcc, s20, v10
	v_add_u32_e32 v24, s42, v112
	v_lshl_add_u64 v[54:55], v[24:25], 1, s[18:19]
	v_cndmask_b32_e32 v10, v10, v13, vcc
	v_subrev_u32_e32 v13, s20, v10
	v_cmp_le_u32_e32 vcc, s20, v10
	v_lshl_add_u64 v[16:17], v[112:113], 1, s[18:19]
	v_add_u32_e32 v112, s43, v112
	v_cndmask_b32_e32 v40, v10, v13, vcc
	v_mul_hi_u32 v10, v64, v117
	v_mul_lo_u32 v10, v10, s20
	v_sub_u32_e32 v10, v64, v10
	v_subrev_u32_e32 v13, s20, v10
	v_cmp_le_u32_e32 vcc, s20, v10
	v_add_u32_e32 v24, s42, v40
	v_lshl_add_u64 v[56:57], v[24:25], 1, s[18:19]
	v_cndmask_b32_e32 v10, v10, v13, vcc
	v_subrev_u32_e32 v13, s20, v10
	v_cmp_le_u32_e32 vcc, s20, v10
	v_lshl_add_u64 v[44:45], v[40:41], 1, s[18:19]
	s_nop 0
	v_cndmask_b32_e32 v46, v10, v13, vcc
	v_mul_hi_u32 v10, v62, v117
	v_mul_lo_u32 v10, v10, s20
	v_sub_u32_e32 v10, v62, v10
	v_subrev_u32_e32 v13, s20, v10
	v_cmp_le_u32_e32 vcc, s20, v10
	v_add_u32_e32 v24, s42, v46
	v_lshl_add_u64 v[58:59], v[24:25], 1, s[18:19]
	v_cndmask_b32_e32 v10, v10, v13, vcc
	v_subrev_u32_e32 v13, s20, v10
	v_cmp_le_u32_e32 vcc, s20, v10
	v_lshl_add_u64 v[48:49], v[46:47], 1, s[18:19]
	s_nop 0
	v_cndmask_b32_e32 v50, v10, v13, vcc
	v_add_u32_e32 v24, s42, v50
	v_lshl_add_u64 v[52:53], v[50:51], 1, s[18:19]
	v_lshl_add_u64 v[60:61], v[24:25], 1, s[18:19]
	global_load_ushort v33, v[16:17], off
	global_load_ushort v32, v[44:45], off
	;; [unrolled: 1-line block ×6, first 2 shown]
                                        ; kill: killed $vgpr54_vgpr55
                                        ; kill: killed $vgpr56_vgpr57
                                        ; kill: killed $vgpr44_vgpr45
                                        ; kill: killed $vgpr16_vgpr17
                                        ; kill: killed $vgpr48_vgpr49
                                        ; kill: killed $vgpr52_vgpr53
	global_load_ushort v24, v[58:59], off
	global_load_ushort v21, v[60:61], off
	v_lshl_add_u64 v[44:45], v[112:113], 1, s[18:19]
	v_add_u32_e32 v112, s43, v40
	v_lshl_add_u64 v[40:41], v[112:113], 1, s[18:19]
	v_add_u32_e32 v112, s43, v46
	;; [unrolled: 2-line block ×3, first 2 shown]
	v_lshl_add_u64 v[48:49], v[112:113], 1, s[18:19]
	global_load_ushort v17, v[44:45], off
	global_load_ushort v16, v[40:41], off
	;; [unrolled: 1-line block ×4, first 2 shown]
.LBB246_48:                             ;   in Loop: Header=BB246_13 Depth=1
	v_cmp_ne_u32_e32 vcc, 0, v2
	s_and_saveexec_b64 s[6:7], vcc
	s_cbranch_execnz .LBB246_60
; %bb.49:                               ;   in Loop: Header=BB246_13 Depth=1
	s_or_b64 exec, exec, s[6:7]
	v_cmp_ne_u32_e64 s[4:5], 0, v3
	s_and_saveexec_b64 s[8:9], s[4:5]
	s_cbranch_execnz .LBB246_65
.LBB246_50:                             ;   in Loop: Header=BB246_13 Depth=1
	s_or_b64 exec, exec, s[8:9]
	v_cmp_ne_u32_e64 s[6:7], 0, v4
	s_and_saveexec_b64 s[10:11], s[6:7]
	s_cbranch_execnz .LBB246_70
.LBB246_51:                             ;   in Loop: Header=BB246_13 Depth=1
	s_or_b64 exec, exec, s[10:11]
	v_cmp_ne_u32_e64 s[8:9], 0, v5
	s_and_saveexec_b64 s[36:37], s[8:9]
	s_cbranch_execnz .LBB246_75
.LBB246_52:                             ;   in Loop: Header=BB246_13 Depth=1
	s_or_b64 exec, exec, s[36:37]
	v_add_u32_e32 v112, s15, v110
	s_and_saveexec_b64 s[36:37], vcc
	s_cbranch_execnz .LBB246_80
.LBB246_53:                             ;   in Loop: Header=BB246_13 Depth=1
	s_or_b64 exec, exec, s[36:37]
	s_and_saveexec_b64 s[36:37], s[4:5]
	s_cbranch_execnz .LBB246_85
.LBB246_54:                             ;   in Loop: Header=BB246_13 Depth=1
	s_or_b64 exec, exec, s[36:37]
	s_and_saveexec_b64 s[36:37], s[6:7]
	s_cbranch_execnz .LBB246_90
.LBB246_55:                             ;   in Loop: Header=BB246_13 Depth=1
	s_or_b64 exec, exec, s[36:37]
	s_and_saveexec_b64 s[36:37], s[8:9]
	s_cbranch_execnz .LBB246_95
.LBB246_56:                             ;   in Loop: Header=BB246_13 Depth=1
	s_or_b64 exec, exec, s[36:37]
	v_add_u32_e32 v112, s15, v112
	s_and_saveexec_b64 s[10:11], vcc
	s_cbranch_execnz .LBB246_100
.LBB246_57:                             ;   in Loop: Header=BB246_13 Depth=1
	s_or_b64 exec, exec, s[10:11]
	s_and_saveexec_b64 s[10:11], s[4:5]
	s_cbranch_execnz .LBB246_105
.LBB246_58:                             ;   in Loop: Header=BB246_13 Depth=1
	s_or_b64 exec, exec, s[10:11]
	s_and_saveexec_b64 s[4:5], s[6:7]
	s_cbranch_execnz .LBB246_110
.LBB246_59:                             ;   in Loop: Header=BB246_13 Depth=1
	s_or_b64 exec, exec, s[4:5]
	s_and_b64 exec, exec, s[8:9]
	s_cbranch_execnz .LBB246_115
	s_branch .LBB246_120
.LBB246_60:                             ;   in Loop: Header=BB246_13 Depth=1
	v_cvt_f32_i32_e32 v37, v39
	s_waitcnt vmcnt(11)
	v_lshlrev_b32_e32 v33, 16, v33
	v_add_f32_e32 v37, v42, v37
	v_add_f32_e32 v37, v37, v33
	v_and_b32_e32 v33, 0x7f800000, v37
	v_cmp_ne_u32_e64 s[4:5], s46, v33
                                        ; implicit-def: $vgpr33
	s_and_saveexec_b64 s[8:9], s[4:5]
	s_xor_b64 s[4:5], exec, s[8:9]
; %bb.61:                               ;   in Loop: Header=BB246_13 Depth=1
	v_bfe_u32 v33, v37, 16, 1
	v_add3_u32 v33, v37, v33, s14
                                        ; implicit-def: $vgpr37
; %bb.62:                               ;   in Loop: Header=BB246_13 Depth=1
	s_andn2_saveexec_b64 s[8:9], s[4:5]
; %bb.63:                               ;   in Loop: Header=BB246_13 Depth=1
	v_or_b32_e32 v33, 0x10000, v37
	v_cmp_eq_u32_sdwa s[4:5], v37, v113 src0_sel:WORD_0 src1_sel:DWORD
	s_nop 1
	v_cndmask_b32_e64 v33, v33, v37, s[4:5]
; %bb.64:                               ;   in Loop: Header=BB246_13 Depth=1
	s_or_b64 exec, exec, s[8:9]
	v_mov_b32_e32 v111, v113
	s_waitcnt lgkmcnt(0)
	v_lshl_add_u64 v[40:41], v[110:111], 1, s[24:25]
	global_store_short_d16_hi v[40:41], v33, off
	s_or_b64 exec, exec, s[6:7]
	v_cmp_ne_u32_e64 s[4:5], 0, v3
	s_and_saveexec_b64 s[8:9], s[4:5]
	s_cbranch_execz .LBB246_50
.LBB246_65:                             ;   in Loop: Header=BB246_13 Depth=1
	s_waitcnt vmcnt(11)
	v_cvt_f32_i32_e32 v33, v36
	s_waitcnt vmcnt(10)
	v_lshlrev_b32_e32 v32, 16, v32
	v_add_f32_e32 v33, v38, v33
	v_add_f32_e32 v33, v33, v32
	v_and_b32_e32 v32, 0x7f800000, v33
	v_cmp_ne_u32_e64 s[6:7], s46, v32
                                        ; implicit-def: $vgpr32
	s_and_saveexec_b64 s[10:11], s[6:7]
	s_xor_b64 s[6:7], exec, s[10:11]
; %bb.66:                               ;   in Loop: Header=BB246_13 Depth=1
	v_bfe_u32 v32, v33, 16, 1
	v_add3_u32 v32, v33, v32, s14
                                        ; implicit-def: $vgpr33
; %bb.67:                               ;   in Loop: Header=BB246_13 Depth=1
	s_andn2_saveexec_b64 s[10:11], s[6:7]
; %bb.68:                               ;   in Loop: Header=BB246_13 Depth=1
	v_or_b32_e32 v32, 0x10000, v33
	v_cmp_eq_u32_sdwa s[6:7], v33, v113 src0_sel:WORD_0 src1_sel:DWORD
	s_nop 1
	v_cndmask_b32_e64 v32, v32, v33, s[6:7]
; %bb.69:                               ;   in Loop: Header=BB246_13 Depth=1
	s_or_b64 exec, exec, s[10:11]
	v_mov_b32_e32 v67, v113
	s_waitcnt lgkmcnt(0)
	v_lshl_add_u64 v[36:37], v[66:67], 1, s[24:25]
	global_store_short_d16_hi v[36:37], v32, off
	s_or_b64 exec, exec, s[8:9]
	v_cmp_ne_u32_e64 s[6:7], 0, v4
	s_and_saveexec_b64 s[10:11], s[6:7]
	s_cbranch_execz .LBB246_51
.LBB246_70:                             ;   in Loop: Header=BB246_13 Depth=1
	s_waitcnt vmcnt(10)
	v_cvt_f32_i32_e32 v32, v35
	s_waitcnt vmcnt(9)
	v_lshlrev_b32_e32 v31, 16, v31
	v_add_f32_e32 v32, v34, v32
	v_add_f32_e32 v32, v32, v31
	v_and_b32_e32 v31, 0x7f800000, v32
	v_cmp_ne_u32_e64 s[8:9], s46, v31
                                        ; implicit-def: $vgpr31
	s_and_saveexec_b64 s[36:37], s[8:9]
	s_xor_b64 s[8:9], exec, s[36:37]
; %bb.71:                               ;   in Loop: Header=BB246_13 Depth=1
	v_bfe_u32 v31, v32, 16, 1
	v_add3_u32 v31, v32, v31, s14
                                        ; implicit-def: $vgpr32
; %bb.72:                               ;   in Loop: Header=BB246_13 Depth=1
	s_andn2_saveexec_b64 s[36:37], s[8:9]
; %bb.73:                               ;   in Loop: Header=BB246_13 Depth=1
	v_or_b32_e32 v31, 0x10000, v32
	v_cmp_eq_u32_sdwa s[8:9], v32, v113 src0_sel:WORD_0 src1_sel:DWORD
	s_nop 1
	v_cndmask_b32_e64 v31, v31, v32, s[8:9]
; %bb.74:                               ;   in Loop: Header=BB246_13 Depth=1
	s_or_b64 exec, exec, s[36:37]
	v_mov_b32_e32 v65, v113
	s_waitcnt lgkmcnt(0)
	v_lshl_add_u64 v[32:33], v[64:65], 1, s[24:25]
	global_store_short_d16_hi v[32:33], v31, off
	s_or_b64 exec, exec, s[10:11]
	v_cmp_ne_u32_e64 s[8:9], 0, v5
	s_and_saveexec_b64 s[36:37], s[8:9]
	s_cbranch_execz .LBB246_52
.LBB246_75:                             ;   in Loop: Header=BB246_13 Depth=1
	v_cvt_f32_i32_e32 v27, v27
	s_waitcnt vmcnt(8)
	v_lshlrev_b32_e32 v29, 16, v29
	v_add_f32_e32 v27, v30, v27
	v_add_f32_e32 v29, v27, v29
	v_and_b32_e32 v27, 0x7f800000, v29
	v_cmp_ne_u32_e64 s[10:11], s46, v27
                                        ; implicit-def: $vgpr27
	s_and_saveexec_b64 s[38:39], s[10:11]
	s_xor_b64 s[10:11], exec, s[38:39]
; %bb.76:                               ;   in Loop: Header=BB246_13 Depth=1
	v_bfe_u32 v27, v29, 16, 1
	v_add3_u32 v27, v29, v27, s14
                                        ; implicit-def: $vgpr29
; %bb.77:                               ;   in Loop: Header=BB246_13 Depth=1
	s_andn2_saveexec_b64 s[38:39], s[10:11]
; %bb.78:                               ;   in Loop: Header=BB246_13 Depth=1
	v_or_b32_e32 v27, 0x10000, v29
	v_cmp_eq_u32_sdwa s[10:11], v29, v113 src0_sel:WORD_0 src1_sel:DWORD
	s_nop 1
	v_cndmask_b32_e64 v27, v27, v29, s[10:11]
; %bb.79:                               ;   in Loop: Header=BB246_13 Depth=1
	s_or_b64 exec, exec, s[38:39]
	v_mov_b32_e32 v63, v113
	s_waitcnt lgkmcnt(0)
	v_lshl_add_u64 v[30:31], v[62:63], 1, s[24:25]
	global_store_short_d16_hi v[30:31], v27, off
	s_or_b64 exec, exec, s[36:37]
	v_add_u32_e32 v112, s15, v110
	s_and_saveexec_b64 s[36:37], vcc
	s_cbranch_execz .LBB246_53
.LBB246_80:                             ;   in Loop: Header=BB246_13 Depth=1
	v_cvt_f32_i32_e32 v23, v23
	v_add_f32_e32 v23, v26, v23
	s_waitcnt vmcnt(7)
	v_lshlrev_b32_e32 v26, 16, v28
	v_add_f32_e32 v26, v23, v26
	v_and_b32_e32 v23, 0x7f800000, v26
	v_cmp_ne_u32_e64 s[10:11], s46, v23
                                        ; implicit-def: $vgpr23
	s_and_saveexec_b64 s[38:39], s[10:11]
	s_xor_b64 s[10:11], exec, s[38:39]
; %bb.81:                               ;   in Loop: Header=BB246_13 Depth=1
	v_bfe_u32 v23, v26, 16, 1
	v_add3_u32 v23, v26, v23, s14
                                        ; implicit-def: $vgpr26
; %bb.82:                               ;   in Loop: Header=BB246_13 Depth=1
	s_andn2_saveexec_b64 s[38:39], s[10:11]
; %bb.83:                               ;   in Loop: Header=BB246_13 Depth=1
	v_or_b32_e32 v23, 0x10000, v26
	v_cmp_eq_u32_sdwa s[10:11], v26, v113 src0_sel:WORD_0 src1_sel:DWORD
	s_nop 1
	v_cndmask_b32_e64 v23, v23, v26, s[10:11]
; %bb.84:                               ;   in Loop: Header=BB246_13 Depth=1
	s_or_b64 exec, exec, s[38:39]
	s_waitcnt lgkmcnt(0)
	v_lshl_add_u64 v[26:27], v[112:113], 1, s[24:25]
	global_store_short_d16_hi v[26:27], v23, off
	s_or_b64 exec, exec, s[36:37]
	s_and_saveexec_b64 s[36:37], s[4:5]
	s_cbranch_execz .LBB246_54
.LBB246_85:                             ;   in Loop: Header=BB246_13 Depth=1
	v_cvt_f32_i32_e32 v20, v20
	v_add_f32_e32 v20, v22, v20
	s_waitcnt vmcnt(6)
	v_lshlrev_b32_e32 v22, 16, v25
	v_add_f32_e32 v22, v20, v22
	v_and_b32_e32 v20, 0x7f800000, v22
	v_cmp_ne_u32_e64 s[10:11], s46, v20
                                        ; implicit-def: $vgpr20
	s_and_saveexec_b64 s[38:39], s[10:11]
	s_xor_b64 s[10:11], exec, s[38:39]
; %bb.86:                               ;   in Loop: Header=BB246_13 Depth=1
	v_bfe_u32 v20, v22, 16, 1
	v_add3_u32 v20, v22, v20, s14
                                        ; implicit-def: $vgpr22
; %bb.87:                               ;   in Loop: Header=BB246_13 Depth=1
	s_andn2_saveexec_b64 s[38:39], s[10:11]
; %bb.88:                               ;   in Loop: Header=BB246_13 Depth=1
	v_or_b32_e32 v20, 0x10000, v22
	v_cmp_eq_u32_sdwa s[10:11], v22, v113 src0_sel:WORD_0 src1_sel:DWORD
	s_nop 1
	v_cndmask_b32_e64 v20, v20, v22, s[10:11]
; %bb.89:                               ;   in Loop: Header=BB246_13 Depth=1
	s_or_b64 exec, exec, s[38:39]
	v_add_u32_e32 v22, 1, v112
	v_mov_b32_e32 v23, v113
	s_waitcnt lgkmcnt(0)
	v_lshl_add_u64 v[22:23], v[22:23], 1, s[24:25]
	global_store_short_d16_hi v[22:23], v20, off
	s_or_b64 exec, exec, s[36:37]
	s_and_saveexec_b64 s[36:37], s[6:7]
	s_cbranch_execz .LBB246_55
.LBB246_90:                             ;   in Loop: Header=BB246_13 Depth=1
	v_cvt_f32_i32_e32 v15, v15
	v_add_f32_e32 v15, v19, v15
	s_waitcnt vmcnt(5)
	v_lshlrev_b32_e32 v19, 16, v24
	v_add_f32_e32 v19, v15, v19
	v_and_b32_e32 v15, 0x7f800000, v19
	v_cmp_ne_u32_e64 s[10:11], s46, v15
                                        ; implicit-def: $vgpr15
	s_and_saveexec_b64 s[38:39], s[10:11]
	s_xor_b64 s[10:11], exec, s[38:39]
; %bb.91:                               ;   in Loop: Header=BB246_13 Depth=1
	v_bfe_u32 v15, v19, 16, 1
	v_add3_u32 v15, v19, v15, s14
                                        ; implicit-def: $vgpr19
; %bb.92:                               ;   in Loop: Header=BB246_13 Depth=1
	s_andn2_saveexec_b64 s[38:39], s[10:11]
; %bb.93:                               ;   in Loop: Header=BB246_13 Depth=1
	v_or_b32_e32 v15, 0x10000, v19
	v_cmp_eq_u32_sdwa s[10:11], v19, v113 src0_sel:WORD_0 src1_sel:DWORD
	s_nop 1
	v_cndmask_b32_e64 v15, v15, v19, s[10:11]
; %bb.94:                               ;   in Loop: Header=BB246_13 Depth=1
	s_or_b64 exec, exec, s[38:39]
	v_add_u32_e32 v22, 2, v112
	v_mov_b32_e32 v23, v113
	s_waitcnt lgkmcnt(0)
	v_lshl_add_u64 v[22:23], v[22:23], 1, s[24:25]
	global_store_short_d16_hi v[22:23], v15, off
	s_or_b64 exec, exec, s[36:37]
	s_and_saveexec_b64 s[36:37], s[8:9]
	s_cbranch_execz .LBB246_56
.LBB246_95:                             ;   in Loop: Header=BB246_13 Depth=1
	v_cvt_f32_i32_e32 v14, v14
	s_waitcnt vmcnt(4)
	v_lshlrev_b32_e32 v15, 16, v21
	v_add_f32_e32 v14, v18, v14
	v_add_f32_e32 v15, v14, v15
	v_and_b32_e32 v14, 0x7f800000, v15
	v_cmp_ne_u32_e64 s[10:11], s46, v14
                                        ; implicit-def: $vgpr14
	s_and_saveexec_b64 s[38:39], s[10:11]
	s_xor_b64 s[10:11], exec, s[38:39]
; %bb.96:                               ;   in Loop: Header=BB246_13 Depth=1
	v_bfe_u32 v14, v15, 16, 1
	v_add3_u32 v14, v15, v14, s14
                                        ; implicit-def: $vgpr15
; %bb.97:                               ;   in Loop: Header=BB246_13 Depth=1
	s_andn2_saveexec_b64 s[38:39], s[10:11]
; %bb.98:                               ;   in Loop: Header=BB246_13 Depth=1
	v_or_b32_e32 v14, 0x10000, v15
	v_cmp_eq_u32_sdwa s[10:11], v15, v113 src0_sel:WORD_0 src1_sel:DWORD
	s_nop 1
	v_cndmask_b32_e64 v14, v14, v15, s[10:11]
; %bb.99:                               ;   in Loop: Header=BB246_13 Depth=1
	s_or_b64 exec, exec, s[38:39]
	v_add_u32_e32 v18, 3, v112
	v_mov_b32_e32 v19, v113
	s_waitcnt lgkmcnt(0)
	v_lshl_add_u64 v[18:19], v[18:19], 1, s[24:25]
	global_store_short_d16_hi v[18:19], v14, off
	s_or_b64 exec, exec, s[36:37]
	v_add_u32_e32 v112, s15, v112
	s_and_saveexec_b64 s[10:11], vcc
	s_cbranch_execz .LBB246_57
.LBB246_100:                            ;   in Loop: Header=BB246_13 Depth=1
	v_cvt_f32_i32_e32 v12, v12
	v_add_f32_e32 v11, v11, v12
	s_waitcnt vmcnt(3)
	v_lshlrev_b32_e32 v12, 16, v17
	v_add_f32_e32 v12, v11, v12
	v_and_b32_e32 v11, 0x7f800000, v12
	v_cmp_ne_u32_e32 vcc, s46, v11
                                        ; implicit-def: $vgpr11
	s_and_saveexec_b64 s[36:37], vcc
	s_xor_b64 s[36:37], exec, s[36:37]
; %bb.101:                              ;   in Loop: Header=BB246_13 Depth=1
	v_bfe_u32 v11, v12, 16, 1
	v_add3_u32 v11, v12, v11, s14
                                        ; implicit-def: $vgpr12
; %bb.102:                              ;   in Loop: Header=BB246_13 Depth=1
	s_andn2_saveexec_b64 s[36:37], s[36:37]
; %bb.103:                              ;   in Loop: Header=BB246_13 Depth=1
	v_or_b32_e32 v11, 0x10000, v12
	v_cmp_eq_u32_sdwa vcc, v12, v113 src0_sel:WORD_0 src1_sel:DWORD
	s_nop 1
	v_cndmask_b32_e32 v11, v11, v12, vcc
; %bb.104:                              ;   in Loop: Header=BB246_13 Depth=1
	s_or_b64 exec, exec, s[36:37]
	s_waitcnt lgkmcnt(0)
	v_lshl_add_u64 v[14:15], v[112:113], 1, s[24:25]
	global_store_short_d16_hi v[14:15], v11, off
	s_or_b64 exec, exec, s[10:11]
	s_and_saveexec_b64 s[10:11], s[4:5]
	s_cbranch_execz .LBB246_58
.LBB246_105:                            ;   in Loop: Header=BB246_13 Depth=1
	v_cvt_f32_i32_e32 v9, v9
	v_add_f32_e32 v8, v8, v9
	s_waitcnt vmcnt(2)
	v_lshlrev_b32_e32 v9, 16, v16
	v_add_f32_e32 v9, v8, v9
	v_and_b32_e32 v8, 0x7f800000, v9
	v_cmp_ne_u32_e32 vcc, s46, v8
                                        ; implicit-def: $vgpr8
	s_and_saveexec_b64 s[4:5], vcc
	s_xor_b64 s[4:5], exec, s[4:5]
; %bb.106:                              ;   in Loop: Header=BB246_13 Depth=1
	v_bfe_u32 v8, v9, 16, 1
	v_add3_u32 v8, v9, v8, s14
                                        ; implicit-def: $vgpr9
; %bb.107:                              ;   in Loop: Header=BB246_13 Depth=1
	s_andn2_saveexec_b64 s[4:5], s[4:5]
; %bb.108:                              ;   in Loop: Header=BB246_13 Depth=1
	v_or_b32_e32 v8, 0x10000, v9
	v_cmp_eq_u32_sdwa vcc, v9, v113 src0_sel:WORD_0 src1_sel:DWORD
	s_nop 1
	v_cndmask_b32_e32 v8, v8, v9, vcc
; %bb.109:                              ;   in Loop: Header=BB246_13 Depth=1
	s_or_b64 exec, exec, s[4:5]
	v_add_u32_e32 v14, 1, v112
	v_mov_b32_e32 v15, v113
	s_waitcnt lgkmcnt(0)
	v_lshl_add_u64 v[14:15], v[14:15], 1, s[24:25]
	global_store_short_d16_hi v[14:15], v8, off
	s_or_b64 exec, exec, s[10:11]
	s_and_saveexec_b64 s[4:5], s[6:7]
	s_cbranch_execz .LBB246_59
.LBB246_110:                            ;   in Loop: Header=BB246_13 Depth=1
	v_cvt_f32_i32_e32 v7, v7
	v_add_f32_e32 v6, v6, v7
	s_waitcnt vmcnt(1)
	v_lshlrev_b32_e32 v7, 16, v13
	v_add_f32_e32 v7, v6, v7
	v_and_b32_e32 v6, 0x7f800000, v7
	v_cmp_ne_u32_e32 vcc, s46, v6
                                        ; implicit-def: $vgpr6
	s_and_saveexec_b64 s[6:7], vcc
	s_xor_b64 s[6:7], exec, s[6:7]
; %bb.111:                              ;   in Loop: Header=BB246_13 Depth=1
	v_bfe_u32 v6, v7, 16, 1
	v_add3_u32 v6, v7, v6, s14
                                        ; implicit-def: $vgpr7
; %bb.112:                              ;   in Loop: Header=BB246_13 Depth=1
	s_andn2_saveexec_b64 s[6:7], s[6:7]
; %bb.113:                              ;   in Loop: Header=BB246_13 Depth=1
	v_or_b32_e32 v6, 0x10000, v7
	v_cmp_eq_u32_sdwa vcc, v7, v113 src0_sel:WORD_0 src1_sel:DWORD
	s_nop 1
	v_cndmask_b32_e32 v6, v6, v7, vcc
; %bb.114:                              ;   in Loop: Header=BB246_13 Depth=1
	s_or_b64 exec, exec, s[6:7]
	v_add_u32_e32 v8, 2, v112
	v_mov_b32_e32 v9, v113
	s_waitcnt lgkmcnt(0)
	v_lshl_add_u64 v[8:9], v[8:9], 1, s[24:25]
	global_store_short_d16_hi v[8:9], v6, off
	s_or_b64 exec, exec, s[4:5]
	s_and_b64 exec, exec, s[8:9]
	s_cbranch_execz .LBB246_120
.LBB246_115:                            ;   in Loop: Header=BB246_13 Depth=1
	v_cvt_f32_i32_e32 v1, v1
	v_add_f32_e32 v0, v0, v1
	s_waitcnt vmcnt(0)
	v_lshlrev_b32_e32 v1, 16, v10
	v_add_f32_e32 v1, v0, v1
	v_and_b32_e32 v0, 0x7f800000, v1
	v_cmp_ne_u32_e32 vcc, s46, v0
                                        ; implicit-def: $vgpr0
	s_and_saveexec_b64 s[4:5], vcc
	s_xor_b64 s[4:5], exec, s[4:5]
; %bb.116:                              ;   in Loop: Header=BB246_13 Depth=1
	v_bfe_u32 v0, v1, 16, 1
	v_add3_u32 v0, v1, v0, s14
                                        ; implicit-def: $vgpr1
; %bb.117:                              ;   in Loop: Header=BB246_13 Depth=1
	s_andn2_saveexec_b64 s[4:5], s[4:5]
; %bb.118:                              ;   in Loop: Header=BB246_13 Depth=1
	v_or_b32_e32 v0, 0x10000, v1
	v_cmp_eq_u32_sdwa vcc, v1, v113 src0_sel:WORD_0 src1_sel:DWORD
	s_nop 1
	v_cndmask_b32_e32 v0, v0, v1, vcc
; %bb.119:                              ;   in Loop: Header=BB246_13 Depth=1
	s_or_b64 exec, exec, s[4:5]
	v_add_u32_e32 v112, 3, v112
	s_waitcnt lgkmcnt(0)
	v_lshl_add_u64 v[6:7], v[112:113], 1, s[24:25]
	global_store_short_d16_hi v[6:7], v0, off
.LBB246_120:                            ;   in Loop: Header=BB246_13 Depth=1
	s_or_b64 exec, exec, s[34:35]
	v_add_u32_e32 v110, s41, v110
	v_add_u32_e32 v0, 4, v110
	v_cmp_gt_u32_e32 vcc, s15, v110
	v_cmp_le_u32_e64 s[4:5], s15, v0
	s_and_b64 s[4:5], vcc, s[4:5]
	s_and_saveexec_b64 s[6:7], s[4:5]
	s_cbranch_execz .LBB246_12
; %bb.121:                              ;   in Loop: Header=BB246_13 Depth=1
	v_cmp_ne_u32_e32 vcc, s21, v110
	s_and_saveexec_b64 s[8:9], vcc
	s_cbranch_execz .LBB246_11
; %bb.122:                              ;   in Loop: Header=BB246_13 Depth=1
	v_subrev_u32_e32 v0, s21, v110
	v_cmp_lt_u32_e32 vcc, 1, v0
	s_mov_b64 s[10:11], 0
	s_mov_b64 s[34:35], 0
	v_cndmask_b32_e32 v0, 1, v0, vcc
.LBB246_123:                            ;   Parent Loop BB246_13 Depth=1
                                        ; =>  This Inner Loop Header: Depth=2
	s_cmp_lg_u32 s34, 3
	s_cselect_b64 vcc, -1, 0
	s_cmp_lg_u32 s34, 2
	v_cndmask_b32_e32 v5, 0, v5, vcc
	s_cselect_b64 vcc, -1, 0
	s_cmp_lg_u32 s34, 1
	v_cndmask_b32_e32 v4, 0, v4, vcc
	;; [unrolled: 3-line block ×3, first 2 shown]
	s_cselect_b64 vcc, -1, 0
	s_add_u32 s34, s34, 1
	s_addc_u32 s35, s35, 0
	v_cmp_eq_u32_e64 s[4:5], s34, v0
	s_or_b64 s[10:11], s[4:5], s[10:11]
	v_cndmask_b32_e32 v2, 0, v2, vcc
	s_andn2_b64 exec, exec, s[10:11]
	s_cbranch_execnz .LBB246_123
; %bb.124:                              ;   in Loop: Header=BB246_13 Depth=1
	s_or_b64 exec, exec, s[10:11]
	s_branch .LBB246_11
.LBB246_125:
	s_endpgm
	.section	.rodata,"a",@progbits
	.p2align	6, 0x0
	.amdhsa_kernel _Z12wvSplitK_hf_I14__hip_bfloat16Li64ELi4ELi16ELi8ELi2ELi3EEviiiiiiPKT_S3_S3_PS1_ii
		.amdhsa_group_segment_fixed_size 65536
		.amdhsa_private_segment_fixed_size 8
		.amdhsa_kernarg_size 64
		.amdhsa_user_sgpr_count 2
		.amdhsa_user_sgpr_dispatch_ptr 0
		.amdhsa_user_sgpr_queue_ptr 0
		.amdhsa_user_sgpr_kernarg_segment_ptr 1
		.amdhsa_user_sgpr_dispatch_id 0
		.amdhsa_user_sgpr_kernarg_preload_length 0
		.amdhsa_user_sgpr_kernarg_preload_offset 0
		.amdhsa_user_sgpr_private_segment_size 0
		.amdhsa_uses_dynamic_stack 0
		.amdhsa_enable_private_segment 1
		.amdhsa_system_sgpr_workgroup_id_x 1
		.amdhsa_system_sgpr_workgroup_id_y 0
		.amdhsa_system_sgpr_workgroup_id_z 0
		.amdhsa_system_sgpr_workgroup_info 0
		.amdhsa_system_vgpr_workitem_id 1
		.amdhsa_next_free_vgpr 128
		.amdhsa_next_free_sgpr 47
		.amdhsa_accum_offset 128
		.amdhsa_reserve_vcc 1
		.amdhsa_float_round_mode_32 0
		.amdhsa_float_round_mode_16_64 0
		.amdhsa_float_denorm_mode_32 3
		.amdhsa_float_denorm_mode_16_64 3
		.amdhsa_dx10_clamp 1
		.amdhsa_ieee_mode 1
		.amdhsa_fp16_overflow 0
		.amdhsa_tg_split 0
		.amdhsa_exception_fp_ieee_invalid_op 0
		.amdhsa_exception_fp_denorm_src 0
		.amdhsa_exception_fp_ieee_div_zero 0
		.amdhsa_exception_fp_ieee_overflow 0
		.amdhsa_exception_fp_ieee_underflow 0
		.amdhsa_exception_fp_ieee_inexact 0
		.amdhsa_exception_int_div_zero 0
	.end_amdhsa_kernel
	.section	.text._Z12wvSplitK_hf_I14__hip_bfloat16Li64ELi4ELi16ELi8ELi2ELi3EEviiiiiiPKT_S3_S3_PS1_ii,"axG",@progbits,_Z12wvSplitK_hf_I14__hip_bfloat16Li64ELi4ELi16ELi8ELi2ELi3EEviiiiiiPKT_S3_S3_PS1_ii,comdat
.Lfunc_end246:
	.size	_Z12wvSplitK_hf_I14__hip_bfloat16Li64ELi4ELi16ELi8ELi2ELi3EEviiiiiiPKT_S3_S3_PS1_ii, .Lfunc_end246-_Z12wvSplitK_hf_I14__hip_bfloat16Li64ELi4ELi16ELi8ELi2ELi3EEviiiiiiPKT_S3_S3_PS1_ii
                                        ; -- End function
	.section	.AMDGPU.csdata,"",@progbits
; Kernel info:
; codeLenInByte = 6300
; NumSgprs: 53
; NumVgprs: 128
; NumAgprs: 0
; TotalNumVgprs: 128
; ScratchSize: 8
; MemoryBound: 1
; FloatMode: 240
; IeeeMode: 1
; LDSByteSize: 65536 bytes/workgroup (compile time only)
; SGPRBlocks: 6
; VGPRBlocks: 15
; NumSGPRsForWavesPerEU: 53
; NumVGPRsForWavesPerEU: 128
; AccumOffset: 128
; Occupancy: 4
; WaveLimiterHint : 0
; COMPUTE_PGM_RSRC2:SCRATCH_EN: 1
; COMPUTE_PGM_RSRC2:USER_SGPR: 2
; COMPUTE_PGM_RSRC2:TRAP_HANDLER: 0
; COMPUTE_PGM_RSRC2:TGID_X_EN: 1
; COMPUTE_PGM_RSRC2:TGID_Y_EN: 0
; COMPUTE_PGM_RSRC2:TGID_Z_EN: 0
; COMPUTE_PGM_RSRC2:TIDIG_COMP_CNT: 1
; COMPUTE_PGM_RSRC3_GFX90A:ACCUM_OFFSET: 31
; COMPUTE_PGM_RSRC3_GFX90A:TG_SPLIT: 0
	.section	.text._Z16wvSplitK_hf_big_I14__hip_bfloat16Li64ELi4ELi16ELi8ELi2ELi3EEviiiiiiPKT_S3_S3_PS1_ii,"axG",@progbits,_Z16wvSplitK_hf_big_I14__hip_bfloat16Li64ELi4ELi16ELi8ELi2ELi3EEviiiiiiPKT_S3_S3_PS1_ii,comdat
	.protected	_Z16wvSplitK_hf_big_I14__hip_bfloat16Li64ELi4ELi16ELi8ELi2ELi3EEviiiiiiPKT_S3_S3_PS1_ii ; -- Begin function _Z16wvSplitK_hf_big_I14__hip_bfloat16Li64ELi4ELi16ELi8ELi2ELi3EEviiiiiiPKT_S3_S3_PS1_ii
	.globl	_Z16wvSplitK_hf_big_I14__hip_bfloat16Li64ELi4ELi16ELi8ELi2ELi3EEviiiiiiPKT_S3_S3_PS1_ii
	.p2align	8
	.type	_Z16wvSplitK_hf_big_I14__hip_bfloat16Li64ELi4ELi16ELi8ELi2ELi3EEviiiiiiPKT_S3_S3_PS1_ii,@function
_Z16wvSplitK_hf_big_I14__hip_bfloat16Li64ELi4ELi16ELi8ELi2ELi3EEviiiiiiPKT_S3_S3_PS1_ii: ; @_Z16wvSplitK_hf_big_I14__hip_bfloat16Li64ELi4ELi16ELi8ELi2ELi3EEviiiiiiPKT_S3_S3_PS1_ii
; %bb.0:
	s_load_dwordx2 s[8:9], s[0:1], 0x38
	v_bfe_u32 v7, v0, 10, 10
	s_waitcnt lgkmcnt(0)
	v_cmp_gt_u32_e32 vcc, s8, v7
	s_and_saveexec_b64 s[4:5], vcc
	s_cbranch_execz .LBB247_112
; %bb.1:
	s_load_dwordx4 s[24:27], s[0:1], 0x0
	s_mul_i32 s2, s2, s8
	v_add_lshl_u32 v110, s2, v7, 2
	s_mov_b32 s4, 1
	v_add_u32_e32 v1, 4, v110
	s_mov_b32 s5, s4
	s_waitcnt lgkmcnt(0)
	v_cmp_gt_u32_e32 vcc, s27, v110
	v_cmp_le_u32_e64 s[2:3], s27, v1
	s_mov_b32 s6, s4
	s_mov_b32 s7, s4
	v_mov_b64_e32 v[2:3], s[4:5]
	s_and_b64 s[10:11], vcc, s[2:3]
	v_mov_b64_e32 v[4:5], s[6:7]
	s_and_saveexec_b64 s[2:3], s[10:11]
	s_cbranch_execz .LBB247_7
; %bb.2:
	s_add_i32 s16, s27, -4
	v_mov_b64_e32 v[2:3], s[4:5]
	v_cmp_ne_u32_e32 vcc, s16, v110
	v_mov_b64_e32 v[4:5], s[6:7]
	s_and_saveexec_b64 s[10:11], vcc
	s_cbranch_execz .LBB247_6
; %bb.3:
	v_subrev_u32_e32 v1, s16, v110
	v_cmp_lt_u32_e32 vcc, 1, v1
	s_mov_b64 s[12:13], 0
	s_mov_b64 s[14:15], 0
	v_cndmask_b32_e32 v6, 1, v1, vcc
	s_mov_b32 s5, s4
	s_mov_b32 s6, s4
	;; [unrolled: 1-line block ×3, first 2 shown]
.LBB247_4:                              ; =>This Inner Loop Header: Depth=1
	s_cmp_lg_u32 s14, 3
	s_cselect_b32 s7, s7, 0
	s_cmp_lg_u32 s14, 2
	s_cselect_b32 s6, s6, 0
	;; [unrolled: 2-line block ×4, first 2 shown]
	s_add_u32 s14, s14, 1
	s_addc_u32 s15, s15, 0
	v_cmp_eq_u32_e32 vcc, s14, v6
	v_mov_b64_e32 v[2:3], s[4:5]
	s_or_b64 s[12:13], vcc, s[12:13]
	v_mov_b64_e32 v[4:5], s[6:7]
	s_andn2_b64 exec, exec, s[12:13]
	s_cbranch_execnz .LBB247_4
; %bb.5:
	s_or_b64 exec, exec, s[12:13]
	v_mov_b32_e32 v110, s16
.LBB247_6:
	s_or_b64 exec, exec, s[10:11]
.LBB247_7:
	s_or_b64 exec, exec, s[2:3]
	s_lshl_b32 s2, s8, 2
	s_abs_i32 s3, s2
	v_cvt_f32_u32_e32 v1, s3
	s_sub_i32 s6, 0, s3
	s_abs_i32 s5, s27
	s_ashr_i32 s4, s27, 31
	v_rcp_iflag_f32_e32 v1, v1
	s_nop 0
	v_mul_f32_e32 v1, 0x4f7ffffe, v1
	v_cvt_u32_f32_e32 v1, v1
	s_nop 0
	v_readfirstlane_b32 s7, v1
	s_mul_i32 s6, s6, s7
	s_mul_hi_u32 s6, s7, s6
	s_add_i32 s7, s7, s6
	s_mul_hi_u32 s6, s5, s7
	s_mul_i32 s6, s6, s3
	s_sub_i32 s5, s5, s6
	s_sub_i32 s6, s5, s3
	s_cmp_ge_u32 s5, s3
	s_cselect_b32 s5, s6, s5
	s_sub_i32 s6, s5, s3
	s_cmp_ge_u32 s5, s3
	s_cselect_b32 s3, s6, s5
	s_xor_b32 s3, s3, s4
	s_sub_i32 s3, s3, s4
	s_add_i32 s2, s2, s27
	s_sub_i32 s2, s2, s3
	s_cmp_eq_u32 s3, 0
	s_cselect_b32 s33, s27, s2
	v_cmp_gt_u32_e32 vcc, s33, v110
	s_and_b64 exec, exec, vcc
	s_cbranch_execz .LBB247_112
; %bb.8:
	s_load_dwordx8 s[16:23], s[0:1], 0x10
	s_min_u32 s44, s26, 0x2800
	s_cmp_lg_u32 s24, 0
	s_load_dwordx2 s[14:15], s[0:1], 0x30
	s_cselect_b64 s[2:3], -1, 0
	s_cmp_lg_u32 s26, 0
	s_mul_i32 s0, s9, s8
	s_cselect_b64 s[4:5], -1, 0
	s_lshl_b32 s45, s8, 9
	s_add_i32 s46, s24, -8
	s_add_i32 s47, s27, -1
	s_lshl_b32 s48, s0, 2
	s_waitcnt lgkmcnt(0)
	s_cmp_lg_u64 s[22:23], 0
	s_cselect_b64 s[30:31], -1, 0
	s_abs_i32 s6, s17
	v_cvt_f32_u32_e32 v1, s16
	v_cvt_f32_u32_e32 v6, s6
	s_sub_i32 s7, 0, s16
	s_add_i32 s17, s27, -4
	v_rcp_iflag_f32_e32 v1, v1
	v_rcp_iflag_f32_e32 v6, v6
	v_and_b32_e32 v0, 0x3ff, v0
	v_lshlrev_b32_e32 v120, 3, v0
	v_mul_f32_e32 v1, 0x4f7ffffe, v1
	v_mul_f32_e32 v6, 0x4f7ffffe, v6
	v_cvt_u32_f32_e32 v1, v1
	v_cvt_u32_f32_e32 v6, v6
	v_cmp_eq_u32_e64 s[0:1], 63, v0
	v_lshlrev_b32_e32 v0, 4, v0
	v_mul_lo_u32 v8, s7, v1
	s_sub_i32 s7, 0, s6
	v_readfirstlane_b32 s9, v6
	s_mul_i32 s7, s7, s9
	s_mul_hi_u32 s7, s9, s7
	s_add_i32 s9, s9, s7
	s_sub_i32 s7, 1, s6
	s_cmp_lt_u32 s6, 2
	s_cselect_b32 s7, s7, 1
	s_sub_i32 s10, s7, s6
	s_cmp_ge_u32 s7, s6
	s_cselect_b32 s49, s10, s7
	s_lshr_b32 s7, s9, 31
	s_mul_i32 s7, s7, s6
	s_sub_i32 s7, 2, s7
	s_sub_i32 s9, s7, s6
	s_cmp_ge_u32 s7, s6
	s_cselect_b32 s7, s9, s7
	s_sub_i32 s9, s7, s6
	s_cmp_ge_u32 s7, s6
	v_lshl_add_u32 v122, v7, 10, v0
	v_cndmask_b32_e64 v0, 0, 1, s[2:3]
	v_mul_hi_u32 v8, v1, v8
	s_cselect_b32 s50, s9, s7
	s_add_u32 s34, s14, 2
	v_lshl_add_u32 v123, v7, 9, v120
	v_cmp_ne_u32_e64 s[2:3], 1, v0
	v_cndmask_b32_e64 v0, 0, 1, s[4:5]
	s_mov_b64 s[28:29], 0
	v_add_u32_e32 v121, v1, v8
	v_mov_b32_e32 v1, 0
	s_mul_i32 s49, s49, s16
	s_mul_i32 s50, s50, s16
	s_addc_u32 s35, s15, 0
	s_lshl_b32 s51, s44, 2
	s_lshl_b32 s52, s8, 10
	;; [unrolled: 1-line block ×3, first 2 shown]
	v_lshl_add_u32 v124, s26, 1, v123
	v_add_u32_e32 v125, s26, v123
	s_mov_b32 s54, 0x7f800000
	s_movk_i32 s55, 0x7fff
	v_cmp_ne_u32_e64 s[4:5], 1, v0
	s_branch .LBB247_12
.LBB247_9:                              ;   in Loop: Header=BB247_12 Depth=1
	s_or_b64 exec, exec, s[10:11]
	v_mov_b32_e32 v110, s17
.LBB247_10:                             ;   in Loop: Header=BB247_12 Depth=1
	s_or_b64 exec, exec, s[8:9]
.LBB247_11:                             ;   in Loop: Header=BB247_12 Depth=1
	s_or_b64 exec, exec, s[36:37]
	v_cmp_le_u32_e32 vcc, s33, v110
	s_or_b64 s[28:29], vcc, s[28:29]
	s_andn2_b64 exec, exec, s[28:29]
	s_cbranch_execz .LBB247_112
.LBB247_12:                             ; =>This Loop Header: Depth=1
                                        ;     Child Loop BB247_17 Depth 2
                                        ;       Child Loop BB247_22 Depth 3
                                        ;     Child Loop BB247_110 Depth 2
	s_and_b64 vcc, exec, s[2:3]
	v_mov_b32_e32 v9, v1
	v_mov_b32_e32 v8, v1
	s_waitcnt vmcnt(8)
	v_mov_b32_e32 v7, v1
	v_mov_b32_e32 v6, v1
	v_mov_b32_e32 v13, v1
	v_mov_b32_e32 v12, v1
	v_mov_b32_e32 v11, v1
	v_mov_b32_e32 v10, v1
	v_mov_b32_e32 v17, v1
	v_mov_b32_e32 v16, v1
	s_waitcnt vmcnt(0)
	v_mov_b32_e32 v15, v1
	v_mov_b32_e32 v14, v1
	v_mov_b32_e32 v21, v1
	v_mov_b32_e32 v20, v1
	v_mov_b32_e32 v19, v1
	v_mov_b32_e32 v18, v1
	v_mov_b32_e32 v25, v1
	v_mov_b32_e32 v24, v1
	v_mov_b32_e32 v23, v1
	v_mov_b32_e32 v22, v1
	v_mov_b32_e32 v29, v1
	v_mov_b32_e32 v28, v1
	v_mov_b32_e32 v27, v1
	v_mov_b32_e32 v26, v1
	v_mov_b32_e32 v33, v1
	v_mov_b32_e32 v32, v1
	v_mov_b32_e32 v31, v1
	v_mov_b32_e32 v30, v1
	v_mov_b32_e32 v37, v1
	v_mov_b32_e32 v36, v1
	v_mov_b32_e32 v35, v1
	v_mov_b32_e32 v34, v1
	v_mov_b32_e32 v53, v1
	v_mov_b32_e32 v52, v1
	v_mov_b32_e32 v51, v1
	v_mov_b32_e32 v50, v1
	v_mov_b32_e32 v49, v1
	v_mov_b32_e32 v48, v1
	v_mov_b32_e32 v47, v1
	v_mov_b32_e32 v46, v1
	v_mov_b32_e32 v45, v1
	v_mov_b32_e32 v44, v1
	v_mov_b32_e32 v43, v1
	v_mov_b32_e32 v42, v1
	v_mov_b32_e32 v41, v1
	v_mov_b32_e32 v40, v1
	v_mov_b32_e32 v39, v1
	v_mov_b32_e32 v38, v1
	s_cbranch_vccnz .LBB247_29
; %bb.13:                               ;   in Loop: Header=BB247_12 Depth=1
	v_add_u32_e32 v6, 1, v110
	v_add_u32_e32 v8, 2, v110
	;; [unrolled: 1-line block ×3, first 2 shown]
	v_min_u32_e32 v0, s47, v110
	v_min_u32_e32 v6, s47, v6
	;; [unrolled: 1-line block ×4, first 2 shown]
	v_mul_lo_u32 v0, v0, s25
	v_mul_lo_u32 v6, v6, s25
	v_mov_b32_e32 v7, v1
	v_mul_lo_u32 v8, v8, s25
	v_mov_b32_e32 v9, v1
	;; [unrolled: 2-line block ×3, first 2 shown]
	v_mov_b32_e32 v38, 0
	v_cmp_gt_u32_e64 s[6:7], s27, v110
	s_mov_b32 s36, 0
	v_lshlrev_b64 v[112:113], 1, v[0:1]
	v_lshlrev_b64 v[114:115], 1, v[6:7]
	;; [unrolled: 1-line block ×4, first 2 shown]
	s_mov_b32 s37, 0
	v_mov_b32_e32 v39, v38
	v_mov_b32_e32 v40, v38
	;; [unrolled: 1-line block ×47, first 2 shown]
	s_branch .LBB247_17
.LBB247_14:                             ;   in Loop: Header=BB247_17 Depth=2
	s_or_b64 exec, exec, s[12:13]
.LBB247_15:                             ;   in Loop: Header=BB247_17 Depth=2
	s_or_b64 exec, exec, s[10:11]
	s_waitcnt vmcnt(7) lgkmcnt(2)
	v_mfma_f32_4x4x4_16b_bf16 v[50:53], v[106:107], v[82:83], v[50:53]
	s_waitcnt vmcnt(6)
	v_mfma_f32_4x4x4_16b_bf16 v[46:49], v[106:107], v[74:75], v[46:49]
	s_waitcnt vmcnt(5)
	;; [unrolled: 2-line block ×3, first 2 shown]
	v_mfma_f32_4x4x4_16b_bf16 v[38:41], v[106:107], v[86:87], v[38:41]
	s_waitcnt lgkmcnt(1)
	v_mfma_f32_4x4x4_16b_bf16 v[34:37], v[102:103], v[82:83], v[34:37]
	v_mfma_f32_4x4x4_16b_bf16 v[30:33], v[102:103], v[74:75], v[30:33]
	;; [unrolled: 1-line block ×4, first 2 shown]
	s_waitcnt lgkmcnt(0)
	v_mfma_f32_4x4x4_16b_bf16 v[18:21], v[98:99], v[82:83], v[18:21]
	v_mfma_f32_4x4x4_16b_bf16 v[14:17], v[98:99], v[74:75], v[14:17]
	;; [unrolled: 1-line block ×16, first 2 shown]
	s_waitcnt vmcnt(3)
	v_mfma_f32_4x4x4_16b_bf16 v[50:53], v[94:95], v[58:59], v[50:53]
	s_waitcnt vmcnt(2)
	v_mfma_f32_4x4x4_16b_bf16 v[46:49], v[94:95], v[54:55], v[46:49]
	s_waitcnt vmcnt(1)
	v_mfma_f32_4x4x4_16b_bf16 v[42:45], v[94:95], v[66:67], v[42:45]
	s_waitcnt vmcnt(0)
	v_mfma_f32_4x4x4_16b_bf16 v[38:41], v[94:95], v[62:63], v[38:41]
	v_mfma_f32_4x4x4_16b_bf16 v[34:37], v[78:79], v[58:59], v[34:37]
	v_mfma_f32_4x4x4_16b_bf16 v[30:33], v[78:79], v[54:55], v[30:33]
	v_mfma_f32_4x4x4_16b_bf16 v[26:29], v[78:79], v[66:67], v[26:29]
	v_mfma_f32_4x4x4_16b_bf16 v[22:25], v[78:79], v[62:63], v[22:25]
	v_mfma_f32_4x4x4_16b_bf16 v[18:21], v[70:71], v[58:59], v[18:21]
	v_mfma_f32_4x4x4_16b_bf16 v[14:17], v[70:71], v[54:55], v[14:17]
	v_mfma_f32_4x4x4_16b_bf16 v[10:13], v[70:71], v[66:67], v[10:13]
	v_mfma_f32_4x4x4_16b_bf16 v[6:9], v[70:71], v[62:63], v[6:9]
	v_mfma_f32_4x4x4_16b_bf16 v[50:53], v[96:97], v[60:61], v[50:53]
	v_mfma_f32_4x4x4_16b_bf16 v[46:49], v[96:97], v[56:57], v[46:49]
	v_mfma_f32_4x4x4_16b_bf16 v[42:45], v[96:97], v[68:69], v[42:45]
	v_mfma_f32_4x4x4_16b_bf16 v[38:41], v[96:97], v[64:65], v[38:41]
	v_mfma_f32_4x4x4_16b_bf16 v[34:37], v[80:81], v[60:61], v[34:37]
	v_mfma_f32_4x4x4_16b_bf16 v[30:33], v[80:81], v[56:57], v[30:33]
	v_mfma_f32_4x4x4_16b_bf16 v[26:29], v[80:81], v[68:69], v[26:29]
	v_mfma_f32_4x4x4_16b_bf16 v[22:25], v[80:81], v[64:65], v[22:25]
	v_mfma_f32_4x4x4_16b_bf16 v[18:21], v[72:73], v[60:61], v[18:21]
	v_mfma_f32_4x4x4_16b_bf16 v[14:17], v[72:73], v[56:57], v[14:17]
	v_mfma_f32_4x4x4_16b_bf16 v[10:13], v[72:73], v[68:69], v[10:13]
	v_mfma_f32_4x4x4_16b_bf16 v[6:9], v[72:73], v[64:65], v[6:9]
.LBB247_16:                             ;   in Loop: Header=BB247_17 Depth=2
	s_or_b64 exec, exec, s[8:9]
	s_addk_i32 s37, 0x400
	s_cmp_ge_u32 s37, s24
	s_cbranch_scc1 .LBB247_29
.LBB247_17:                             ;   Parent Loop BB247_12 Depth=1
                                        ; =>  This Loop Header: Depth=2
                                        ;       Child Loop BB247_22 Depth 3
	s_cmp_eq_u32 s37, 0
	s_cselect_b64 s[8:9], -1, 0
	s_add_i32 s10, s36, s44
	s_cmp_eq_u32 s37, s10
	s_cselect_b64 s[12:13], -1, 0
	s_or_b64 s[12:13], s[8:9], s[12:13]
	s_andn2_b64 vcc, exec, s[12:13]
	s_cbranch_vccz .LBB247_19
; %bb.18:                               ;   in Loop: Header=BB247_17 Depth=2
	s_and_saveexec_b64 s[8:9], s[6:7]
	s_cbranch_execz .LBB247_16
	s_branch .LBB247_26
.LBB247_19:                             ;   in Loop: Header=BB247_17 Depth=2
	s_and_b64 s[8:9], s[8:9], exec
	s_cselect_b32 s36, s36, s10
	s_and_b64 vcc, exec, s[4:5]
	s_barrier
	s_cbranch_vccnz .LBB247_25
; %bb.20:                               ;   in Loop: Header=BB247_17 Depth=2
	v_add_u32_e32 v54, s36, v124
	v_add_u32_e32 v55, s36, v125
	;; [unrolled: 1-line block ×3, first 2 shown]
	s_mov_b32 s38, 0
	s_mov_b64 s[10:11], 0
	v_mov_b32_e32 v57, v122
                                        ; implicit-def: $sgpr12_sgpr13
	s_branch .LBB247_22
.LBB247_21:                             ;   in Loop: Header=BB247_22 Depth=3
	s_or_b64 exec, exec, s[8:9]
	s_and_b64 s[8:9], exec, s[12:13]
	s_or_b64 s[10:11], s[8:9], s[10:11]
	s_andn2_b64 exec, exec, s[10:11]
	s_cbranch_execz .LBB247_24
.LBB247_22:                             ;   Parent Loop BB247_12 Depth=1
                                        ;     Parent Loop BB247_17 Depth=2
                                        ; =>    This Inner Loop Header: Depth=3
	v_add_u32_e32 v58, s38, v123
	v_add_u32_e32 v0, s38, v56
	v_cmp_gt_u32_e32 vcc, s26, v0
	v_cmp_gt_u32_e64 s[8:9], s44, v58
	s_and_b64 s[40:41], s[8:9], vcc
	s_or_b64 s[12:13], s[12:13], exec
	s_and_saveexec_b64 s[8:9], s[40:41]
	s_cbranch_execz .LBB247_21
; %bb.23:                               ;   in Loop: Header=BB247_22 Depth=3
	v_lshl_add_u64 v[58:59], v[0:1], 1, s[20:21]
	v_add_u32_e32 v0, s38, v55
	v_lshl_add_u64 v[62:63], v[0:1], 1, s[20:21]
	v_add_u32_e32 v0, s38, v54
	global_load_dwordx4 v[58:61], v[58:59], off
	s_nop 0
	global_load_dwordx4 v[62:65], v[62:63], off
	v_lshl_add_u64 v[66:67], v[0:1], 1, s[20:21]
	global_load_dwordx4 v[66:69], v[66:67], off
	s_add_i32 s38, s38, s45
	s_cmp_ge_u32 s38, s44
	s_cselect_b64 s[40:41], -1, 0
	s_andn2_b64 s[12:13], s[12:13], exec
	s_and_b64 s[40:41], s[40:41], exec
	v_add_u32_e32 v0, s53, v57
	v_add_u32_e32 v70, s51, v57
	s_or_b64 s[12:13], s[12:13], s[40:41]
	s_waitcnt vmcnt(2)
	ds_write_b128 v57, v[58:61]
	v_add_u32_e32 v57, s52, v57
	s_waitcnt vmcnt(1)
	ds_write2_b64 v0, v[62:63], v[64:65] offset1:1
	s_waitcnt vmcnt(0)
	ds_write2_b32 v70, v66, v67 offset1:1
	ds_write2_b32 v70, v68, v69 offset0:2 offset1:3
	s_branch .LBB247_21
.LBB247_24:                             ;   in Loop: Header=BB247_17 Depth=2
	s_or_b64 exec, exec, s[10:11]
.LBB247_25:                             ;   in Loop: Header=BB247_17 Depth=2
	s_waitcnt lgkmcnt(0)
	s_barrier
	s_and_saveexec_b64 s[8:9], s[6:7]
	s_cbranch_execz .LBB247_16
.LBB247_26:                             ;   in Loop: Header=BB247_17 Depth=2
	v_add_u32_e32 v111, s37, v120
	v_min_u32_e32 v0, s46, v111
	v_lshl_add_u64 v[54:55], v[0:1], 1, s[18:19]
	v_add_u32_e32 v126, 0x200, v111
	v_lshl_add_u64 v[56:57], v[54:55], 0, v[112:113]
	v_min_u32_e32 v0, s46, v126
	v_lshl_add_u64 v[58:59], v[54:55], 0, v[114:115]
	global_load_dwordx4 v[82:85], v[56:57], off nt
	global_load_dwordx4 v[74:77], v[58:59], off nt
	v_lshl_add_u64 v[56:57], v[54:55], 0, v[116:117]
	v_lshl_add_u64 v[54:55], v[54:55], 0, v[118:119]
	v_lshl_add_u64 v[62:63], v[0:1], 1, s[18:19]
	global_load_dwordx4 v[90:93], v[56:57], off nt
	global_load_dwordx4 v[86:89], v[54:55], off nt
	v_lshl_add_u64 v[54:55], v[62:63], 0, v[112:113]
	v_lshl_add_u64 v[56:57], v[62:63], 0, v[114:115]
	;; [unrolled: 1-line block ×4, first 2 shown]
	global_load_dwordx4 v[58:61], v[54:55], off nt
	s_nop 0
	global_load_dwordx4 v[54:57], v[56:57], off nt
	s_nop 0
	;; [unrolled: 2-line block ×3, first 2 shown]
	global_load_dwordx4 v[62:65], v[62:63], off nt
	v_cmp_gt_u32_e32 vcc, s24, v111
	v_mov_b32_e32 v72, 0
	v_mov_b32_e32 v73, 0
	;; [unrolled: 1-line block ×24, first 2 shown]
	s_and_saveexec_b64 s[10:11], vcc
	s_cbranch_execz .LBB247_15
; %bb.27:                               ;   in Loop: Header=BB247_17 Depth=2
	v_subrev_u32_e32 v0, s36, v111
	v_lshlrev_b32_e32 v127, 1, v0
	v_add_u32_e32 v111, s53, v127
	v_add_u32_e32 v0, s53, v111
	ds_read_b128 v[106:109], v127
	ds_read_b128 v[102:105], v111
	;; [unrolled: 1-line block ×3, first 2 shown]
	v_cmp_gt_u32_e32 vcc, s24, v126
	v_mov_b32_e32 v95, 0
	v_mov_b32_e32 v94, 0
	;; [unrolled: 1-line block ×12, first 2 shown]
	s_and_saveexec_b64 s[12:13], vcc
	s_cbranch_execz .LBB247_14
; %bb.28:                               ;   in Loop: Header=BB247_17 Depth=2
	ds_read_b128 v[94:97], v127 offset:1024
	ds_read_b128 v[78:81], v111 offset:1024
	;; [unrolled: 1-line block ×3, first 2 shown]
	s_branch .LBB247_14
.LBB247_29:                             ;   in Loop: Header=BB247_12 Depth=1
	v_cmp_le_u32_e32 vcc, s27, v110
	s_and_saveexec_b64 s[6:7], vcc
	s_xor_b64 s[6:7], exec, s[6:7]
; %bb.30:                               ;   in Loop: Header=BB247_12 Depth=1
	v_add_u32_e32 v110, s48, v110
                                        ; implicit-def: $vgpr9
                                        ; implicit-def: $vgpr13
                                        ; implicit-def: $vgpr17
                                        ; implicit-def: $vgpr21
                                        ; implicit-def: $vgpr25
                                        ; implicit-def: $vgpr29
                                        ; implicit-def: $vgpr33
                                        ; implicit-def: $vgpr37
                                        ; implicit-def: $vgpr53
                                        ; implicit-def: $vgpr49
                                        ; implicit-def: $vgpr45
                                        ; implicit-def: $vgpr41
; %bb.31:                               ;   in Loop: Header=BB247_12 Depth=1
	s_andn2_saveexec_b64 s[36:37], s[6:7]
	s_cbranch_execz .LBB247_11
; %bb.32:                               ;   in Loop: Header=BB247_12 Depth=1
	v_cvt_i32_f32_e32 v0, v51
	v_cvt_i32_f32_e32 v51, v52
	;; [unrolled: 1-line block ×4, first 2 shown]
	v_cvt_f32_i32_dpp v0, v0 row_shl:1 row_mask:0xf bank_mask:0xf bound_ctrl:1
	v_cvt_f32_i32_dpp v51, v51 row_shl:2 row_mask:0xf bank_mask:0xf bound_ctrl:1
	;; [unrolled: 1-line block ×3, first 2 shown]
	v_cvt_i32_f32_e32 v48, v48
	v_add_f32_e32 v0, v50, v0
	v_add_f32_e32 v0, v0, v51
	v_cvt_i32_f32_e32 v49, v49
	v_add_f32_e32 v0, v0, v52
	v_cvt_i32_f32_e32 v50, v0
	v_cvt_f32_i32_dpp v47, v47 row_shl:1 row_mask:0xf bank_mask:0xf bound_ctrl:1
	v_cvt_f32_i32_dpp v48, v48 row_shl:2 row_mask:0xf bank_mask:0xf bound_ctrl:1
	;; [unrolled: 1-line block ×4, first 2 shown]
	v_add_f32_e32 v46, v46, v47
	v_add_f32_e32 v46, v46, v48
	;; [unrolled: 1-line block ×3, first 2 shown]
	v_cvt_i32_f32_e32 v47, v46
	v_add_f32_e32 v0, v0, v50
	v_cvt_i32_f32_e32 v48, v0
	v_cvt_i32_f32_e32 v43, v43
	v_cvt_f32_i32_dpp v47, v47 row_shl:4 row_mask:0xf bank_mask:0xf bound_ctrl:1
	v_cvt_i32_f32_e32 v44, v44
	v_cvt_f32_i32_dpp v48, v48 row_shl:8 row_mask:0xf bank_mask:0xf bound_ctrl:1
	v_cvt_i32_f32_e32 v45, v45
	v_add_f32_e32 v46, v46, v47
	v_cvt_i32_f32_e32 v47, v46
	v_add_f32_e32 v0, v0, v48
	v_cvt_i32_f32_e32 v0, v0
	v_cvt_f32_i32_dpp v43, v43 row_shl:1 row_mask:0xf bank_mask:0xf bound_ctrl:1
	v_cvt_f32_i32_dpp v44, v44 row_shl:2 row_mask:0xf bank_mask:0xf bound_ctrl:1
	;; [unrolled: 1-line block ×4, first 2 shown]
	v_cvt_f32_i32_dpp v0, v0 row_shr:15 row_mask:0xf bank_mask:0xf bound_ctrl:1
	v_add_f32_e32 v42, v42, v43
	v_add_f32_e32 v42, v42, v44
	v_cvt_i32_f32_e32 v39, v39
	v_add_f32_e32 v46, v46, v47
	v_add_f32_e32 v43, v42, v45
	v_cvt_i32_f32_e32 v40, v40
	v_cvt_i32_f32_e32 v46, v46
	;; [unrolled: 1-line block ×5, first 2 shown]
	v_cvt_f32_i32_dpp v39, v39 row_shl:1 row_mask:0xf bank_mask:0xf bound_ctrl:1
	v_cvt_f32_i32_dpp v40, v40 row_shl:2 row_mask:0xf bank_mask:0xf bound_ctrl:1
	v_cvt_f32_i32_dpp v45, v46 row_shr:15 row_mask:0xf bank_mask:0xf bound_ctrl:1
	v_cvt_f32_i32_dpp v46, v42 row_shl:4 row_mask:0xf bank_mask:0xf bound_ctrl:1
	v_cvt_f32_i32_dpp v41, v41 row_shl:3 row_mask:0xf bank_mask:0xf bound_ctrl:1
	v_cvt_f32_i32_dpp v44, v47 row_bcast:15 row_mask:0xf bank_mask:0xf bound_ctrl:1
	v_add_f32_e32 v38, v38, v39
	v_add_f32_e32 v38, v38, v40
	;; [unrolled: 1-line block ×5, first 2 shown]
	v_cvt_i32_f32_e32 v44, v45
	v_cvt_i32_f32_e32 v46, v43
	;; [unrolled: 1-line block ×4, first 2 shown]
	v_cvt_f32_i32_dpp v41, v44 row_bcast:15 row_mask:0xf bank_mask:0xf bound_ctrl:1
	v_cvt_f32_i32_dpp v46, v46 row_shl:8 row_mask:0xf bank_mask:0xf bound_ctrl:1
	v_cvt_f32_i32_dpp v44, v38 row_shl:4 row_mask:0xf bank_mask:0xf bound_ctrl:1
	v_cvt_i32_f32_e32 v36, v36
	v_cvt_i32_f32_e32 v37, v37
	v_cvt_f32_i32_dpp v35, v35 row_shl:1 row_mask:0xf bank_mask:0xf bound_ctrl:1
	v_add_f32_e32 v39, v43, v46
	v_add_f32_e32 v40, v40, v44
	v_cvt_f32_i32_dpp v36, v36 row_shl:2 row_mask:0xf bank_mask:0xf bound_ctrl:1
	v_cvt_i32_f32_e32 v0, v42
	v_cvt_i32_f32_e32 v43, v39
	v_add_f32_e32 v38, v45, v41
	v_cvt_i32_f32_e32 v41, v40
	v_cvt_f32_i32_dpp v37, v37 row_shl:3 row_mask:0xf bank_mask:0xf bound_ctrl:1
	v_add_f32_e32 v34, v34, v35
	v_add_f32_e32 v34, v34, v36
	v_mov_b32_dpp v39, v0 row_bcast:31 row_mask:0xf bank_mask:0xf bound_ctrl:1
	v_cvt_f32_i32_dpp v0, v43 row_shr:15 row_mask:0xf bank_mask:0xf bound_ctrl:1
	v_cvt_f32_i32_dpp v41, v41 row_shl:8 row_mask:0xf bank_mask:0xf bound_ctrl:1
	v_add_f32_e32 v34, v34, v37
	v_cvt_i32_f32_e32 v35, v34
	v_cvt_i32_f32_e32 v36, v0
	v_add_f32_e32 v37, v40, v41
	v_cvt_i32_f32_e32 v37, v37
	v_cvt_f32_i32_dpp v35, v35 row_shl:4 row_mask:0xf bank_mask:0xf bound_ctrl:1
	v_cvt_i32_f32_e32 v31, v31
	v_cvt_f32_i32_dpp v36, v36 row_bcast:15 row_mask:0xf bank_mask:0xf bound_ctrl:1
	v_cvt_i32_f32_e32 v32, v32
	v_cvt_f32_i32_dpp v37, v37 row_shr:15 row_mask:0xf bank_mask:0xf bound_ctrl:1
	v_add_f32_e32 v41, v34, v35
	v_cvt_i32_f32_e32 v33, v33
	v_cvt_i32_f32_e32 v35, v41
	v_cvt_f32_i32_dpp v31, v31 row_shl:1 row_mask:0xf bank_mask:0xf bound_ctrl:1
	v_cvt_i32_f32_e32 v27, v27
	v_add_f32_e32 v34, v0, v36
	v_cvt_f32_i32_dpp v32, v32 row_shl:2 row_mask:0xf bank_mask:0xf bound_ctrl:1
	v_cvt_i32_f32_e32 v28, v28
	v_cvt_i32_f32_e32 v0, v34
	;; [unrolled: 1-line block ×3, first 2 shown]
	v_cvt_f32_i32_dpp v33, v33 row_shl:3 row_mask:0xf bank_mask:0xf bound_ctrl:1
	v_cvt_i32_f32_e32 v29, v29
	v_cvt_i32_f32_e32 v40, v38
	v_cvt_f32_i32_dpp v44, v35 row_shl:8 row_mask:0xf bank_mask:0xf bound_ctrl:1
	v_add_f32_e32 v30, v30, v31
	v_cvt_f32_i32_dpp v27, v27 row_shl:1 row_mask:0xf bank_mask:0xf bound_ctrl:1
	v_add_f32_e32 v30, v30, v32
	v_cvt_f32_i32_dpp v28, v28 row_shl:2 row_mask:0xf bank_mask:0xf bound_ctrl:1
	v_mov_b32_dpp v35, v0 row_bcast:31 row_mask:0xf bank_mask:0xf bound_ctrl:1
	v_cvt_f32_i32_dpp v0, v43 row_bcast:15 row_mask:0xf bank_mask:0xf bound_ctrl:1
	v_add_f32_e32 v31, v30, v33
	v_cvt_f32_i32_dpp v29, v29 row_shl:3 row_mask:0xf bank_mask:0xf bound_ctrl:1
	v_mov_b32_dpp v36, v40 row_bcast:31 row_mask:0xf bank_mask:0xf bound_ctrl:1
	v_add_f32_e32 v40, v41, v44
	v_cvt_i32_f32_e32 v32, v31
	v_cvt_i32_f32_e32 v40, v40
	v_add_f32_e32 v26, v26, v27
	v_add_f32_e32 v26, v26, v28
	v_cvt_i32_f32_e32 v23, v23
	v_add_f32_e32 v30, v37, v0
	v_add_f32_e32 v28, v26, v29
	v_cvt_i32_f32_e32 v24, v24
	v_cvt_i32_f32_e32 v0, v30
	v_cvt_f32_i32_dpp v32, v32 row_shl:4 row_mask:0xf bank_mask:0xf bound_ctrl:1
	v_cvt_i32_f32_e32 v26, v28
	v_cvt_i32_f32_e32 v25, v25
	v_cvt_f32_i32_dpp v40, v40 row_shr:15 row_mask:0xf bank_mask:0xf bound_ctrl:1
	v_cvt_f32_i32_dpp v23, v23 row_shl:1 row_mask:0xf bank_mask:0xf bound_ctrl:1
	v_cvt_f32_i32_dpp v24, v24 row_shl:2 row_mask:0xf bank_mask:0xf bound_ctrl:1
	v_add_f32_e32 v31, v31, v32
	v_mov_b32_dpp v27, v0 row_bcast:31 row_mask:0xf bank_mask:0xf bound_ctrl:1
	v_cvt_f32_i32_dpp v0, v26 row_shl:4 row_mask:0xf bank_mask:0xf bound_ctrl:1
	v_cvt_f32_i32_dpp v25, v25 row_shl:3 row_mask:0xf bank_mask:0xf bound_ctrl:1
	v_cvt_i32_f32_e32 v33, v40
	v_cvt_i32_f32_e32 v32, v31
	v_add_f32_e32 v22, v22, v23
	v_add_f32_e32 v22, v22, v24
	v_add_f32_e32 v0, v28, v0
	v_add_f32_e32 v22, v22, v25
	v_cvt_f32_i32_dpp v29, v33 row_bcast:15 row_mask:0xf bank_mask:0xf bound_ctrl:1
	v_cvt_f32_i32_dpp v32, v32 row_shl:8 row_mask:0xf bank_mask:0xf bound_ctrl:1
	v_cvt_i32_f32_e32 v28, v0
	v_cvt_i32_f32_e32 v23, v22
	v_add_f32_e32 v26, v40, v29
	v_add_f32_e32 v29, v31, v32
	v_cvt_f32_i32_dpp v28, v28 row_shl:8 row_mask:0xf bank_mask:0xf bound_ctrl:1
	v_cvt_f32_i32_dpp v23, v23 row_shl:4 row_mask:0xf bank_mask:0xf bound_ctrl:1
	v_cvt_i32_f32_e32 v29, v29
	v_cvt_i32_f32_e32 v19, v19
	v_add_f32_e32 v0, v0, v28
	v_add_f32_e32 v23, v22, v23
	v_cvt_f32_i32_dpp v25, v29 row_shr:15 row_mask:0xf bank_mask:0xf bound_ctrl:1
	v_cvt_i32_f32_e32 v0, v0
	v_cvt_i32_f32_e32 v22, v23
	;; [unrolled: 1-line block ×5, first 2 shown]
	v_cvt_f32_i32_dpp v0, v0 row_shr:15 row_mask:0xf bank_mask:0xf bound_ctrl:1
	v_cvt_f32_i32_dpp v31, v22 row_shl:8 row_mask:0xf bank_mask:0xf bound_ctrl:1
	v_cvt_f32_i32_dpp v19, v19 row_shl:1 row_mask:0xf bank_mask:0xf bound_ctrl:1
	v_cvt_i32_f32_e32 v15, v15
	v_cvt_f32_i32_dpp v20, v20 row_shl:2 row_mask:0xf bank_mask:0xf bound_ctrl:1
	v_cvt_i32_f32_e32 v16, v16
	;; [unrolled: 2-line block ×3, first 2 shown]
	v_cvt_i32_f32_e32 v11, v11
	v_cvt_f32_i32_dpp v28, v28 row_bcast:15 row_mask:0xf bank_mask:0xf bound_ctrl:1
	v_cvt_i32_f32_e32 v29, v0
	v_add_f32_e32 v23, v23, v31
	v_cvt_i32_f32_e32 v23, v23
	v_add_f32_e32 v18, v18, v19
	v_cvt_f32_i32_dpp v15, v15 row_shl:1 row_mask:0xf bank_mask:0xf bound_ctrl:1
	v_cvt_i32_f32_e32 v7, v7
	v_add_f32_e32 v18, v18, v20
	v_cvt_f32_i32_dpp v16, v16 row_shl:2 row_mask:0xf bank_mask:0xf bound_ctrl:1
	v_cvt_i32_f32_e32 v12, v12
	v_cvt_i32_f32_e32 v8, v8
	v_add_f32_e32 v20, v18, v21
	v_cvt_f32_i32_dpp v17, v17 row_shl:3 row_mask:0xf bank_mask:0xf bound_ctrl:1
	v_cvt_f32_i32_dpp v11, v11 row_shl:1 row_mask:0xf bank_mask:0xf bound_ctrl:1
	v_cvt_i32_f32_e32 v13, v13
	v_cvt_i32_f32_e32 v9, v9
	v_add_f32_e32 v22, v25, v28
	v_cvt_f32_i32_dpp v28, v29 row_bcast:15 row_mask:0xf bank_mask:0xf bound_ctrl:1
	v_cvt_i32_f32_e32 v18, v20
	v_cvt_f32_i32_dpp v23, v23 row_shr:15 row_mask:0xf bank_mask:0xf bound_ctrl:1
	v_add_f32_e32 v14, v14, v15
	v_cvt_f32_i32_dpp v7, v7 row_shl:1 row_mask:0xf bank_mask:0xf bound_ctrl:1
	v_add_f32_e32 v14, v14, v16
	v_cvt_f32_i32_dpp v12, v12 row_shl:2 row_mask:0xf bank_mask:0xf bound_ctrl:1
	v_cvt_f32_i32_dpp v8, v8 row_shl:2 row_mask:0xf bank_mask:0xf bound_ctrl:1
	v_add_f32_e32 v15, v14, v17
	v_add_f32_e32 v10, v10, v11
	v_cvt_f32_i32_dpp v11, v13 row_shl:3 row_mask:0xf bank_mask:0xf bound_ctrl:1
	v_cvt_f32_i32_dpp v9, v9 row_shl:3 row_mask:0xf bank_mask:0xf bound_ctrl:1
	v_add_f32_e32 v19, v0, v28
	v_cvt_f32_i32_dpp v0, v18 row_shl:4 row_mask:0xf bank_mask:0xf bound_ctrl:1
	v_cvt_i32_f32_e32 v16, v15
	v_cvt_i32_f32_e32 v25, v22
	;; [unrolled: 1-line block ×3, first 2 shown]
	v_add_f32_e32 v6, v6, v7
	v_add_f32_e32 v10, v10, v12
	;; [unrolled: 1-line block ×6, first 2 shown]
	v_cvt_f32_i32_dpp v16, v16 row_shl:4 row_mask:0xf bank_mask:0xf bound_ctrl:1
	v_cvt_i32_f32_e32 v11, v10
	v_cvt_i32_f32_e32 v7, v6
	v_mov_b32_dpp v21, v25 row_bcast:31 row_mask:0xf bank_mask:0xf bound_ctrl:1
	v_cvt_f32_i32_dpp v25, v29 row_bcast:15 row_mask:0xf bank_mask:0xf bound_ctrl:1
	v_cvt_i32_f32_e32 v20, v0
	v_add_f32_e32 v15, v15, v16
	v_cvt_f32_i32_dpp v9, v11 row_shl:4 row_mask:0xf bank_mask:0xf bound_ctrl:1
	v_cvt_f32_i32_dpp v7, v7 row_shl:4 row_mask:0xf bank_mask:0xf bound_ctrl:1
	v_add_f32_e32 v18, v23, v25
	v_cvt_f32_i32_dpp v25, v20 row_shl:8 row_mask:0xf bank_mask:0xf bound_ctrl:1
	v_cvt_i32_f32_e32 v16, v15
	v_add_f32_e32 v9, v10, v9
	v_add_f32_e32 v6, v6, v7
	;; [unrolled: 1-line block ×3, first 2 shown]
	v_cvt_f32_i32_dpp v8, v16 row_shl:8 row_mask:0xf bank_mask:0xf bound_ctrl:1
	v_cvt_i32_f32_e32 v10, v9
	v_cvt_i32_f32_e32 v7, v6
	;; [unrolled: 1-line block ×3, first 2 shown]
	v_add_f32_e32 v8, v15, v8
	v_cvt_f32_i32_dpp v10, v10 row_shl:8 row_mask:0xf bank_mask:0xf bound_ctrl:1
	v_cvt_f32_i32_dpp v7, v7 row_shl:8 row_mask:0xf bank_mask:0xf bound_ctrl:1
	v_cvt_f32_i32_dpp v0, v0 row_shr:15 row_mask:0xf bank_mask:0xf bound_ctrl:1
	v_cvt_i32_f32_e32 v8, v8
	v_add_f32_e32 v9, v9, v10
	v_add_f32_e32 v6, v6, v7
	v_cvt_i32_f32_e32 v11, v0
	v_cvt_f32_i32_dpp v8, v8 row_shr:15 row_mask:0xf bank_mask:0xf bound_ctrl:1
	v_cvt_i32_f32_e32 v9, v9
	v_cvt_i32_f32_e32 v6, v6
	v_cvt_f32_i32_dpp v7, v11 row_bcast:15 row_mask:0xf bank_mask:0xf bound_ctrl:1
	v_cvt_i32_f32_e32 v10, v8
	v_cvt_f32_i32_dpp v9, v9 row_shr:15 row_mask:0xf bank_mask:0xf bound_ctrl:1
	v_cvt_f32_i32_dpp v6, v6 row_shr:15 row_mask:0xf bank_mask:0xf bound_ctrl:1
	v_add_f32_e32 v16, v0, v7
	v_cvt_f32_i32_dpp v7, v10 row_bcast:15 row_mask:0xf bank_mask:0xf bound_ctrl:1
	v_cvt_i32_f32_e32 v0, v9
	v_cvt_i32_f32_e32 v10, v6
	v_cvt_i32_f32_e32 v24, v26
	v_add_f32_e32 v12, v8, v7
	v_cvt_f32_i32_dpp v0, v0 row_bcast:15 row_mask:0xf bank_mask:0xf bound_ctrl:1
	v_cvt_f32_i32_dpp v7, v10 row_bcast:15 row_mask:0xf bank_mask:0xf bound_ctrl:1
	v_cvt_i32_f32_e32 v28, v19
	v_cvt_i32_f32_e32 v23, v18
	v_add_f32_e32 v10, v9, v0
	v_add_f32_e32 v8, v6, v7
	v_cvt_i32_f32_e32 v11, v16
	v_cvt_i32_f32_e32 v13, v12
	;; [unrolled: 1-line block ×4, first 2 shown]
	v_mov_b32_dpp v24, v24 row_bcast:31 row_mask:0xf bank_mask:0xf bound_ctrl:1
	v_mov_b32_dpp v20, v28 row_bcast:31 row_mask:0xf bank_mask:0xf bound_ctrl:1
	;; [unrolled: 1-line block ×7, first 2 shown]
	s_and_saveexec_b64 s[38:39], s[0:1]
	s_cbranch_execz .LBB247_107
; %bb.33:                               ;   in Loop: Header=BB247_12 Depth=1
	s_andn2_b64 vcc, exec, s[30:31]
	v_mov_b32_e32 v41, 0
	v_add_u32_e32 v0, 2, v110
	v_add_u32_e32 v6, 3, v110
	v_mov_b32_e32 v40, 0
	v_mov_b32_e32 v37, 0
	;; [unrolled: 1-line block ×11, first 2 shown]
	s_cbranch_vccnz .LBB247_35
; %bb.34:                               ;   in Loop: Header=BB247_12 Depth=1
	v_mul_hi_u32 v7, v110, v121
	v_mul_lo_u32 v7, v7, s16
	v_sub_u32_e32 v7, v110, v7
	v_subrev_u32_e32 v15, s16, v7
	v_cmp_le_u32_e32 vcc, s16, v7
	v_mov_b32_e32 v33, v1
	v_mov_b32_e32 v29, v1
	v_cndmask_b32_e32 v7, v7, v15, vcc
	v_subrev_u32_e32 v15, s16, v7
	v_cmp_le_u32_e32 vcc, s16, v7
	v_mov_b32_e32 v47, v1
	v_mov_b32_e32 v51, v1
	v_cndmask_b32_e32 v28, v7, v15, vcc
	v_add_u32_e32 v7, 1, v110
	v_mul_hi_u32 v15, v7, v121
	v_mul_lo_u32 v15, v15, s16
	v_sub_u32_e32 v7, v7, v15
	v_subrev_u32_e32 v15, s16, v7
	v_cmp_le_u32_e32 vcc, s16, v7
	v_add_u32_e32 v32, s49, v28
	v_lshl_add_u64 v[58:59], v[32:33], 1, s[22:23]
	v_cndmask_b32_e32 v7, v7, v15, vcc
	v_subrev_u32_e32 v15, s16, v7
	v_cmp_le_u32_e32 vcc, s16, v7
	v_lshl_add_u64 v[44:45], v[28:29], 1, s[22:23]
	v_mov_b32_e32 v55, v1
	v_cndmask_b32_e32 v46, v7, v15, vcc
	v_mul_hi_u32 v7, v0, v121
	v_mul_lo_u32 v7, v7, s16
	v_sub_u32_e32 v7, v0, v7
	v_subrev_u32_e32 v15, s16, v7
	v_cmp_le_u32_e32 vcc, s16, v7
	v_add_u32_e32 v32, s49, v46
	v_lshl_add_u64 v[60:61], v[32:33], 1, s[22:23]
	v_cndmask_b32_e32 v7, v7, v15, vcc
	v_subrev_u32_e32 v15, s16, v7
	v_cmp_le_u32_e32 vcc, s16, v7
	v_lshl_add_u64 v[48:49], v[46:47], 1, s[22:23]
	v_add_u32_e32 v46, s50, v46
	v_cndmask_b32_e32 v50, v7, v15, vcc
	v_mul_hi_u32 v7, v6, v121
	v_mul_lo_u32 v7, v7, s16
	v_sub_u32_e32 v7, v6, v7
	v_subrev_u32_e32 v15, s16, v7
	v_cmp_le_u32_e32 vcc, s16, v7
	v_add_u32_e32 v32, s49, v50
	v_lshl_add_u64 v[62:63], v[32:33], 1, s[22:23]
	v_cndmask_b32_e32 v7, v7, v15, vcc
	v_subrev_u32_e32 v15, s16, v7
	v_cmp_le_u32_e32 vcc, s16, v7
	v_lshl_add_u64 v[52:53], v[50:51], 1, s[22:23]
	v_lshl_add_u64 v[46:47], v[46:47], 1, s[22:23]
	v_cndmask_b32_e32 v54, v7, v15, vcc
	v_add_u32_e32 v32, s49, v54
	v_lshl_add_u64 v[56:57], v[54:55], 1, s[22:23]
	v_lshl_add_u64 v[64:65], v[32:33], 1, s[22:23]
	global_load_ushort v41, v[44:45], off
	global_load_ushort v40, v[48:49], off
	;; [unrolled: 1-line block ×6, first 2 shown]
                                        ; kill: killed $vgpr60_vgpr61
                                        ; kill: killed $vgpr48_vgpr49
                                        ; kill: killed $vgpr44_vgpr45
                                        ; kill: killed $vgpr52_vgpr53
                                        ; kill: killed $vgpr56_vgpr57
                                        ; kill: killed $vgpr58_vgpr59
	global_load_ushort v31, v[62:63], off
	global_load_ushort v29, v[64:65], off
	v_add_u32_e32 v44, s50, v28
	v_mov_b32_e32 v45, v1
	v_lshl_add_u64 v[44:45], v[44:45], 1, s[22:23]
	v_add_u32_e32 v48, s50, v50
	v_mov_b32_e32 v49, v1
	v_add_u32_e32 v50, s50, v54
	v_lshl_add_u64 v[48:49], v[48:49], 1, s[22:23]
	v_lshl_add_u64 v[50:51], v[50:51], 1, s[22:23]
	global_load_ushort v28, v[44:45], off
	global_load_ushort v25, v[46:47], off
	global_load_ushort v23, v[48:49], off
	global_load_ushort v15, v[50:51], off
.LBB247_35:                             ;   in Loop: Header=BB247_12 Depth=1
	v_cmp_ne_u32_e32 vcc, 0, v2
	s_and_saveexec_b64 s[8:9], vcc
	s_cbranch_execnz .LBB247_47
; %bb.36:                               ;   in Loop: Header=BB247_12 Depth=1
	s_or_b64 exec, exec, s[8:9]
	v_cmp_ne_u32_e64 s[6:7], 0, v3
	s_and_saveexec_b64 s[10:11], s[6:7]
	s_cbranch_execnz .LBB247_52
.LBB247_37:                             ;   in Loop: Header=BB247_12 Depth=1
	s_or_b64 exec, exec, s[10:11]
	v_cmp_ne_u32_e64 s[8:9], 0, v4
	s_and_saveexec_b64 s[12:13], s[8:9]
	s_cbranch_execnz .LBB247_57
.LBB247_38:                             ;   in Loop: Header=BB247_12 Depth=1
	s_or_b64 exec, exec, s[12:13]
	v_cmp_ne_u32_e64 s[10:11], 0, v5
	s_and_saveexec_b64 s[40:41], s[10:11]
	s_cbranch_execnz .LBB247_62
.LBB247_39:                             ;   in Loop: Header=BB247_12 Depth=1
	s_or_b64 exec, exec, s[40:41]
	v_add_u32_e32 v0, s27, v110
	s_and_saveexec_b64 s[40:41], vcc
	s_cbranch_execnz .LBB247_67
.LBB247_40:                             ;   in Loop: Header=BB247_12 Depth=1
	s_or_b64 exec, exec, s[40:41]
	s_and_saveexec_b64 s[40:41], s[6:7]
	s_cbranch_execnz .LBB247_72
.LBB247_41:                             ;   in Loop: Header=BB247_12 Depth=1
	s_or_b64 exec, exec, s[40:41]
	s_and_saveexec_b64 s[40:41], s[8:9]
	s_cbranch_execnz .LBB247_77
.LBB247_42:                             ;   in Loop: Header=BB247_12 Depth=1
	s_or_b64 exec, exec, s[40:41]
	s_and_saveexec_b64 s[40:41], s[10:11]
	s_cbranch_execnz .LBB247_82
.LBB247_43:                             ;   in Loop: Header=BB247_12 Depth=1
	s_or_b64 exec, exec, s[40:41]
	v_add_u32_e32 v0, s27, v0
	s_and_saveexec_b64 s[12:13], vcc
	s_cbranch_execnz .LBB247_87
.LBB247_44:                             ;   in Loop: Header=BB247_12 Depth=1
	s_or_b64 exec, exec, s[12:13]
	s_and_saveexec_b64 s[12:13], s[6:7]
	s_cbranch_execnz .LBB247_92
.LBB247_45:                             ;   in Loop: Header=BB247_12 Depth=1
	s_or_b64 exec, exec, s[12:13]
	s_and_saveexec_b64 s[6:7], s[8:9]
	s_cbranch_execnz .LBB247_97
.LBB247_46:                             ;   in Loop: Header=BB247_12 Depth=1
	s_or_b64 exec, exec, s[6:7]
	s_and_b64 exec, exec, s[10:11]
	s_cbranch_execnz .LBB247_102
	s_branch .LBB247_107
.LBB247_47:                             ;   in Loop: Header=BB247_12 Depth=1
	v_cvt_f32_i32_e32 v39, v39
	s_waitcnt vmcnt(11)
	v_lshlrev_b32_e32 v41, 16, v41
	v_add_f32_e32 v39, v42, v39
	v_add_f32_e32 v41, v39, v41
	v_and_b32_e32 v39, 0x7f800000, v41
	v_cmp_ne_u32_e64 s[6:7], s54, v39
                                        ; implicit-def: $vgpr39
	s_and_saveexec_b64 s[10:11], s[6:7]
	s_xor_b64 s[6:7], exec, s[10:11]
; %bb.48:                               ;   in Loop: Header=BB247_12 Depth=1
	v_bfe_u32 v39, v41, 16, 1
	v_add3_u32 v39, v41, v39, s55
                                        ; implicit-def: $vgpr41
; %bb.49:                               ;   in Loop: Header=BB247_12 Depth=1
	s_andn2_saveexec_b64 s[10:11], s[6:7]
; %bb.50:                               ;   in Loop: Header=BB247_12 Depth=1
	v_or_b32_e32 v39, 0x10000, v41
	v_cmp_eq_u32_sdwa s[6:7], v41, v1 src0_sel:WORD_0 src1_sel:DWORD
	s_nop 1
	v_cndmask_b32_e64 v39, v39, v41, s[6:7]
; %bb.51:                               ;   in Loop: Header=BB247_12 Depth=1
	s_or_b64 exec, exec, s[10:11]
	v_mov_b32_e32 v111, v1
	v_lshl_add_u64 v[42:43], v[110:111], 1, s[14:15]
	global_store_short_d16_hi v[42:43], v39, off
	s_or_b64 exec, exec, s[8:9]
	v_cmp_ne_u32_e64 s[6:7], 0, v3
	s_and_saveexec_b64 s[10:11], s[6:7]
	s_cbranch_execz .LBB247_37
.LBB247_52:                             ;   in Loop: Header=BB247_12 Depth=1
	v_cvt_f32_i32_e32 v36, v36
	v_add_f32_e32 v36, v38, v36
	s_waitcnt vmcnt(10)
	v_lshlrev_b32_e32 v38, 16, v40
	v_add_f32_e32 v38, v36, v38
	v_and_b32_e32 v36, 0x7f800000, v38
	v_cmp_ne_u32_e64 s[8:9], s54, v36
                                        ; implicit-def: $vgpr36
	s_and_saveexec_b64 s[12:13], s[8:9]
	s_xor_b64 s[8:9], exec, s[12:13]
; %bb.53:                               ;   in Loop: Header=BB247_12 Depth=1
	v_bfe_u32 v36, v38, 16, 1
	v_add3_u32 v36, v38, v36, s55
                                        ; implicit-def: $vgpr38
; %bb.54:                               ;   in Loop: Header=BB247_12 Depth=1
	s_andn2_saveexec_b64 s[12:13], s[8:9]
; %bb.55:                               ;   in Loop: Header=BB247_12 Depth=1
	v_or_b32_e32 v36, 0x10000, v38
	v_cmp_eq_u32_sdwa s[8:9], v38, v1 src0_sel:WORD_0 src1_sel:DWORD
	s_nop 1
	v_cndmask_b32_e64 v36, v36, v38, s[8:9]
; %bb.56:                               ;   in Loop: Header=BB247_12 Depth=1
	s_or_b64 exec, exec, s[12:13]
	v_mov_b32_e32 v111, v1
	v_lshl_add_u64 v[38:39], v[110:111], 1, s[34:35]
	global_store_short_d16_hi v[38:39], v36, off
	s_or_b64 exec, exec, s[10:11]
	v_cmp_ne_u32_e64 s[8:9], 0, v4
	s_and_saveexec_b64 s[12:13], s[8:9]
	s_cbranch_execz .LBB247_38
.LBB247_57:                             ;   in Loop: Header=BB247_12 Depth=1
	v_cvt_f32_i32_e32 v35, v35
	v_add_f32_e32 v34, v34, v35
	s_waitcnt vmcnt(9)
	v_lshlrev_b32_e32 v35, 16, v37
	v_add_f32_e32 v35, v34, v35
	v_and_b32_e32 v34, 0x7f800000, v35
	v_cmp_ne_u32_e64 s[10:11], s54, v34
                                        ; implicit-def: $vgpr34
	s_and_saveexec_b64 s[40:41], s[10:11]
	s_xor_b64 s[10:11], exec, s[40:41]
; %bb.58:                               ;   in Loop: Header=BB247_12 Depth=1
	v_bfe_u32 v34, v35, 16, 1
	v_add3_u32 v34, v35, v34, s55
                                        ; implicit-def: $vgpr35
; %bb.59:                               ;   in Loop: Header=BB247_12 Depth=1
	s_andn2_saveexec_b64 s[40:41], s[10:11]
; %bb.60:                               ;   in Loop: Header=BB247_12 Depth=1
	v_or_b32_e32 v34, 0x10000, v35
	v_cmp_eq_u32_sdwa s[10:11], v35, v1 src0_sel:WORD_0 src1_sel:DWORD
	s_nop 1
	v_cndmask_b32_e64 v34, v34, v35, s[10:11]
; %bb.61:                               ;   in Loop: Header=BB247_12 Depth=1
	s_or_b64 exec, exec, s[40:41]
	v_lshl_add_u64 v[36:37], v[0:1], 1, s[14:15]
	global_store_short_d16_hi v[36:37], v34, off
	s_or_b64 exec, exec, s[12:13]
	v_cmp_ne_u32_e64 s[10:11], 0, v5
	s_and_saveexec_b64 s[40:41], s[10:11]
	s_cbranch_execz .LBB247_39
.LBB247_62:                             ;   in Loop: Header=BB247_12 Depth=1
	v_cvt_f32_i32_e32 v0, v27
	s_waitcnt vmcnt(8)
	v_lshlrev_b32_e32 v7, 16, v7
	v_add_f32_e32 v0, v30, v0
	v_add_f32_e32 v7, v0, v7
	v_and_b32_e32 v0, 0x7f800000, v7
	v_cmp_ne_u32_e64 s[12:13], s54, v0
                                        ; implicit-def: $vgpr0
	s_and_saveexec_b64 s[42:43], s[12:13]
	s_xor_b64 s[12:13], exec, s[42:43]
; %bb.63:                               ;   in Loop: Header=BB247_12 Depth=1
	v_bfe_u32 v0, v7, 16, 1
	v_add3_u32 v0, v7, v0, s55
                                        ; implicit-def: $vgpr7
; %bb.64:                               ;   in Loop: Header=BB247_12 Depth=1
	s_andn2_saveexec_b64 s[42:43], s[12:13]
; %bb.65:                               ;   in Loop: Header=BB247_12 Depth=1
	v_or_b32_e32 v0, 0x10000, v7
	v_cmp_eq_u32_sdwa s[12:13], v7, v1 src0_sel:WORD_0 src1_sel:DWORD
	s_nop 1
	v_cndmask_b32_e64 v0, v0, v7, s[12:13]
; %bb.66:                               ;   in Loop: Header=BB247_12 Depth=1
	s_or_b64 exec, exec, s[42:43]
	v_mov_b32_e32 v7, v1
	v_lshl_add_u64 v[6:7], v[6:7], 1, s[14:15]
	global_store_short_d16_hi v[6:7], v0, off
	s_or_b64 exec, exec, s[40:41]
	v_add_u32_e32 v0, s27, v110
	s_and_saveexec_b64 s[40:41], vcc
	s_cbranch_execz .LBB247_40
.LBB247_67:                             ;   in Loop: Header=BB247_12 Depth=1
	v_cvt_f32_i32_e32 v6, v24
	s_waitcnt vmcnt(7)
	v_lshlrev_b32_e32 v7, 16, v33
	v_add_f32_e32 v6, v26, v6
	v_add_f32_e32 v7, v6, v7
	v_and_b32_e32 v6, 0x7f800000, v7
	v_cmp_ne_u32_e64 s[12:13], s54, v6
                                        ; implicit-def: $vgpr6
	s_and_saveexec_b64 s[42:43], s[12:13]
	s_xor_b64 s[12:13], exec, s[42:43]
; %bb.68:                               ;   in Loop: Header=BB247_12 Depth=1
	v_bfe_u32 v6, v7, 16, 1
	v_add3_u32 v6, v7, v6, s55
                                        ; implicit-def: $vgpr7
; %bb.69:                               ;   in Loop: Header=BB247_12 Depth=1
	s_andn2_saveexec_b64 s[42:43], s[12:13]
; %bb.70:                               ;   in Loop: Header=BB247_12 Depth=1
	v_or_b32_e32 v6, 0x10000, v7
	v_cmp_eq_u32_sdwa s[12:13], v7, v1 src0_sel:WORD_0 src1_sel:DWORD
	s_nop 1
	v_cndmask_b32_e64 v6, v6, v7, s[12:13]
; %bb.71:                               ;   in Loop: Header=BB247_12 Depth=1
	s_or_b64 exec, exec, s[42:43]
	v_lshl_add_u64 v[26:27], v[0:1], 1, s[14:15]
	global_store_short_d16_hi v[26:27], v6, off
	s_or_b64 exec, exec, s[40:41]
	s_and_saveexec_b64 s[40:41], s[6:7]
	s_cbranch_execz .LBB247_41
.LBB247_72:                             ;   in Loop: Header=BB247_12 Depth=1
	v_cvt_f32_i32_e32 v6, v21
	s_waitcnt vmcnt(6)
	v_lshlrev_b32_e32 v7, 16, v32
	v_add_f32_e32 v6, v22, v6
	v_add_f32_e32 v7, v6, v7
	v_and_b32_e32 v6, 0x7f800000, v7
	v_cmp_ne_u32_e64 s[12:13], s54, v6
                                        ; implicit-def: $vgpr6
	s_and_saveexec_b64 s[42:43], s[12:13]
	s_xor_b64 s[12:13], exec, s[42:43]
; %bb.73:                               ;   in Loop: Header=BB247_12 Depth=1
	v_bfe_u32 v6, v7, 16, 1
	v_add3_u32 v6, v7, v6, s55
                                        ; implicit-def: $vgpr7
; %bb.74:                               ;   in Loop: Header=BB247_12 Depth=1
	s_andn2_saveexec_b64 s[42:43], s[12:13]
; %bb.75:                               ;   in Loop: Header=BB247_12 Depth=1
	v_or_b32_e32 v6, 0x10000, v7
	v_cmp_eq_u32_sdwa s[12:13], v7, v1 src0_sel:WORD_0 src1_sel:DWORD
	s_nop 1
	v_cndmask_b32_e64 v6, v6, v7, s[12:13]
; %bb.76:                               ;   in Loop: Header=BB247_12 Depth=1
	s_or_b64 exec, exec, s[42:43]
	v_add_u32_e32 v26, 1, v0
	v_mov_b32_e32 v27, v1
	v_lshl_add_u64 v[26:27], v[26:27], 1, s[14:15]
	global_store_short_d16_hi v[26:27], v6, off
	s_or_b64 exec, exec, s[40:41]
	s_and_saveexec_b64 s[40:41], s[8:9]
	s_cbranch_execz .LBB247_42
.LBB247_77:                             ;   in Loop: Header=BB247_12 Depth=1
	v_cvt_f32_i32_e32 v6, v20
	s_waitcnt vmcnt(5)
	v_lshlrev_b32_e32 v7, 16, v31
	v_add_f32_e32 v6, v19, v6
	v_add_f32_e32 v7, v6, v7
	v_and_b32_e32 v6, 0x7f800000, v7
	v_cmp_ne_u32_e64 s[12:13], s54, v6
                                        ; implicit-def: $vgpr6
	s_and_saveexec_b64 s[42:43], s[12:13]
	s_xor_b64 s[12:13], exec, s[42:43]
; %bb.78:                               ;   in Loop: Header=BB247_12 Depth=1
	v_bfe_u32 v6, v7, 16, 1
	v_add3_u32 v6, v7, v6, s55
                                        ; implicit-def: $vgpr7
; %bb.79:                               ;   in Loop: Header=BB247_12 Depth=1
	s_andn2_saveexec_b64 s[42:43], s[12:13]
; %bb.80:                               ;   in Loop: Header=BB247_12 Depth=1
	v_or_b32_e32 v6, 0x10000, v7
	v_cmp_eq_u32_sdwa s[12:13], v7, v1 src0_sel:WORD_0 src1_sel:DWORD
	s_nop 1
	v_cndmask_b32_e64 v6, v6, v7, s[12:13]
; %bb.81:                               ;   in Loop: Header=BB247_12 Depth=1
	s_or_b64 exec, exec, s[42:43]
	v_add_u32_e32 v20, 2, v0
	v_mov_b32_e32 v21, v1
	v_lshl_add_u64 v[20:21], v[20:21], 1, s[14:15]
	global_store_short_d16_hi v[20:21], v6, off
	s_or_b64 exec, exec, s[40:41]
	s_and_saveexec_b64 s[40:41], s[10:11]
	s_cbranch_execz .LBB247_43
.LBB247_82:                             ;   in Loop: Header=BB247_12 Depth=1
	v_cvt_f32_i32_e32 v6, v14
	s_waitcnt vmcnt(4)
	v_lshlrev_b32_e32 v7, 16, v29
	v_add_f32_e32 v6, v18, v6
	v_add_f32_e32 v7, v6, v7
	v_and_b32_e32 v6, 0x7f800000, v7
	v_cmp_ne_u32_e64 s[12:13], s54, v6
                                        ; implicit-def: $vgpr6
	s_and_saveexec_b64 s[42:43], s[12:13]
	s_xor_b64 s[12:13], exec, s[42:43]
; %bb.83:                               ;   in Loop: Header=BB247_12 Depth=1
	v_bfe_u32 v6, v7, 16, 1
	v_add3_u32 v6, v7, v6, s55
                                        ; implicit-def: $vgpr7
; %bb.84:                               ;   in Loop: Header=BB247_12 Depth=1
	s_andn2_saveexec_b64 s[42:43], s[12:13]
; %bb.85:                               ;   in Loop: Header=BB247_12 Depth=1
	v_or_b32_e32 v6, 0x10000, v7
	v_cmp_eq_u32_sdwa s[12:13], v7, v1 src0_sel:WORD_0 src1_sel:DWORD
	s_nop 1
	v_cndmask_b32_e64 v6, v6, v7, s[12:13]
; %bb.86:                               ;   in Loop: Header=BB247_12 Depth=1
	s_or_b64 exec, exec, s[42:43]
	v_add_u32_e32 v18, 3, v0
	v_mov_b32_e32 v19, v1
	v_lshl_add_u64 v[18:19], v[18:19], 1, s[14:15]
	global_store_short_d16_hi v[18:19], v6, off
	s_or_b64 exec, exec, s[40:41]
	v_add_u32_e32 v0, s27, v0
	s_and_saveexec_b64 s[12:13], vcc
	s_cbranch_execz .LBB247_44
.LBB247_87:                             ;   in Loop: Header=BB247_12 Depth=1
	v_cvt_f32_i32_e32 v6, v17
	s_waitcnt vmcnt(3)
	v_lshlrev_b32_e32 v7, 16, v28
	v_add_f32_e32 v6, v16, v6
	v_add_f32_e32 v7, v6, v7
	v_and_b32_e32 v6, 0x7f800000, v7
	v_cmp_ne_u32_e32 vcc, s54, v6
                                        ; implicit-def: $vgpr6
	s_and_saveexec_b64 s[40:41], vcc
	s_xor_b64 s[40:41], exec, s[40:41]
; %bb.88:                               ;   in Loop: Header=BB247_12 Depth=1
	v_bfe_u32 v6, v7, 16, 1
	v_add3_u32 v6, v7, v6, s55
                                        ; implicit-def: $vgpr7
; %bb.89:                               ;   in Loop: Header=BB247_12 Depth=1
	s_andn2_saveexec_b64 s[40:41], s[40:41]
; %bb.90:                               ;   in Loop: Header=BB247_12 Depth=1
	v_or_b32_e32 v6, 0x10000, v7
	v_cmp_eq_u32_sdwa vcc, v7, v1 src0_sel:WORD_0 src1_sel:DWORD
	s_nop 1
	v_cndmask_b32_e32 v6, v6, v7, vcc
; %bb.91:                               ;   in Loop: Header=BB247_12 Depth=1
	s_or_b64 exec, exec, s[40:41]
	v_lshl_add_u64 v[16:17], v[0:1], 1, s[14:15]
	global_store_short_d16_hi v[16:17], v6, off
	s_or_b64 exec, exec, s[12:13]
	s_and_saveexec_b64 s[12:13], s[6:7]
	s_cbranch_execz .LBB247_45
.LBB247_92:                             ;   in Loop: Header=BB247_12 Depth=1
	v_cvt_f32_i32_e32 v6, v13
	s_waitcnt vmcnt(2)
	v_lshlrev_b32_e32 v7, 16, v25
	v_add_f32_e32 v6, v12, v6
	v_add_f32_e32 v7, v6, v7
	v_and_b32_e32 v6, 0x7f800000, v7
	v_cmp_ne_u32_e32 vcc, s54, v6
                                        ; implicit-def: $vgpr6
	s_and_saveexec_b64 s[6:7], vcc
	s_xor_b64 s[6:7], exec, s[6:7]
; %bb.93:                               ;   in Loop: Header=BB247_12 Depth=1
	v_bfe_u32 v6, v7, 16, 1
	v_add3_u32 v6, v7, v6, s55
                                        ; implicit-def: $vgpr7
; %bb.94:                               ;   in Loop: Header=BB247_12 Depth=1
	s_andn2_saveexec_b64 s[6:7], s[6:7]
; %bb.95:                               ;   in Loop: Header=BB247_12 Depth=1
	v_or_b32_e32 v6, 0x10000, v7
	v_cmp_eq_u32_sdwa vcc, v7, v1 src0_sel:WORD_0 src1_sel:DWORD
	s_nop 1
	v_cndmask_b32_e32 v6, v6, v7, vcc
; %bb.96:                               ;   in Loop: Header=BB247_12 Depth=1
	s_or_b64 exec, exec, s[6:7]
	v_add_u32_e32 v12, 1, v0
	v_mov_b32_e32 v13, v1
	v_lshl_add_u64 v[12:13], v[12:13], 1, s[14:15]
	global_store_short_d16_hi v[12:13], v6, off
	s_or_b64 exec, exec, s[12:13]
	s_and_saveexec_b64 s[6:7], s[8:9]
	s_cbranch_execz .LBB247_46
.LBB247_97:                             ;   in Loop: Header=BB247_12 Depth=1
	v_cvt_f32_i32_e32 v6, v11
	s_waitcnt vmcnt(1)
	v_lshlrev_b32_e32 v7, 16, v23
	v_add_f32_e32 v6, v10, v6
	v_add_f32_e32 v7, v6, v7
	v_and_b32_e32 v6, 0x7f800000, v7
	v_cmp_ne_u32_e32 vcc, s54, v6
                                        ; implicit-def: $vgpr6
	s_and_saveexec_b64 s[8:9], vcc
	s_xor_b64 s[8:9], exec, s[8:9]
; %bb.98:                               ;   in Loop: Header=BB247_12 Depth=1
	v_bfe_u32 v6, v7, 16, 1
	v_add3_u32 v6, v7, v6, s55
                                        ; implicit-def: $vgpr7
; %bb.99:                               ;   in Loop: Header=BB247_12 Depth=1
	s_andn2_saveexec_b64 s[8:9], s[8:9]
; %bb.100:                              ;   in Loop: Header=BB247_12 Depth=1
	v_or_b32_e32 v6, 0x10000, v7
	v_cmp_eq_u32_sdwa vcc, v7, v1 src0_sel:WORD_0 src1_sel:DWORD
	s_nop 1
	v_cndmask_b32_e32 v6, v6, v7, vcc
; %bb.101:                              ;   in Loop: Header=BB247_12 Depth=1
	s_or_b64 exec, exec, s[8:9]
	v_add_u32_e32 v10, 2, v0
	v_mov_b32_e32 v11, v1
	v_lshl_add_u64 v[10:11], v[10:11], 1, s[14:15]
	global_store_short_d16_hi v[10:11], v6, off
	s_or_b64 exec, exec, s[6:7]
	s_and_b64 exec, exec, s[10:11]
	s_cbranch_execz .LBB247_107
.LBB247_102:                            ;   in Loop: Header=BB247_12 Depth=1
	v_cvt_f32_i32_e32 v6, v9
	s_waitcnt vmcnt(0)
	v_lshlrev_b32_e32 v7, 16, v15
	v_add_f32_e32 v6, v8, v6
	v_add_f32_e32 v7, v6, v7
	v_and_b32_e32 v6, 0x7f800000, v7
	v_cmp_ne_u32_e32 vcc, s54, v6
                                        ; implicit-def: $vgpr6
	s_and_saveexec_b64 s[6:7], vcc
	s_xor_b64 s[6:7], exec, s[6:7]
; %bb.103:                              ;   in Loop: Header=BB247_12 Depth=1
	v_bfe_u32 v6, v7, 16, 1
	v_add3_u32 v6, v7, v6, s55
                                        ; implicit-def: $vgpr7
; %bb.104:                              ;   in Loop: Header=BB247_12 Depth=1
	s_andn2_saveexec_b64 s[6:7], s[6:7]
; %bb.105:                              ;   in Loop: Header=BB247_12 Depth=1
	v_or_b32_e32 v6, 0x10000, v7
	v_cmp_eq_u32_sdwa vcc, v7, v1 src0_sel:WORD_0 src1_sel:DWORD
	s_nop 1
	v_cndmask_b32_e32 v6, v6, v7, vcc
; %bb.106:                              ;   in Loop: Header=BB247_12 Depth=1
	s_or_b64 exec, exec, s[6:7]
	v_add_u32_e32 v0, 3, v0
	v_lshl_add_u64 v[8:9], v[0:1], 1, s[14:15]
	global_store_short_d16_hi v[8:9], v6, off
.LBB247_107:                            ;   in Loop: Header=BB247_12 Depth=1
	s_or_b64 exec, exec, s[38:39]
	v_add_u32_e32 v110, s48, v110
	v_add_u32_e32 v0, 4, v110
	v_cmp_gt_u32_e32 vcc, s27, v110
	v_cmp_le_u32_e64 s[6:7], s27, v0
	s_and_b64 s[6:7], vcc, s[6:7]
	s_and_saveexec_b64 s[8:9], s[6:7]
	s_cbranch_execz .LBB247_10
; %bb.108:                              ;   in Loop: Header=BB247_12 Depth=1
	v_cmp_ne_u32_e32 vcc, s17, v110
	s_and_saveexec_b64 s[10:11], vcc
	s_cbranch_execz .LBB247_9
; %bb.109:                              ;   in Loop: Header=BB247_12 Depth=1
	v_subrev_u32_e32 v0, s17, v110
	v_cmp_lt_u32_e32 vcc, 1, v0
	s_mov_b64 s[12:13], 0
	s_mov_b64 s[38:39], 0
	v_cndmask_b32_e32 v0, 1, v0, vcc
.LBB247_110:                            ;   Parent Loop BB247_12 Depth=1
                                        ; =>  This Inner Loop Header: Depth=2
	s_cmp_lg_u32 s38, 3
	s_cselect_b64 vcc, -1, 0
	s_cmp_lg_u32 s38, 2
	v_cndmask_b32_e32 v5, 0, v5, vcc
	s_cselect_b64 vcc, -1, 0
	s_cmp_lg_u32 s38, 1
	v_cndmask_b32_e32 v4, 0, v4, vcc
	;; [unrolled: 3-line block ×3, first 2 shown]
	s_cselect_b64 vcc, -1, 0
	s_add_u32 s38, s38, 1
	s_addc_u32 s39, s39, 0
	v_cmp_eq_u32_e64 s[6:7], s38, v0
	s_or_b64 s[12:13], s[6:7], s[12:13]
	v_cndmask_b32_e32 v2, 0, v2, vcc
	s_andn2_b64 exec, exec, s[12:13]
	s_cbranch_execnz .LBB247_110
; %bb.111:                              ;   in Loop: Header=BB247_12 Depth=1
	s_or_b64 exec, exec, s[12:13]
	s_branch .LBB247_9
.LBB247_112:
	s_endpgm
	.section	.rodata,"a",@progbits
	.p2align	6, 0x0
	.amdhsa_kernel _Z16wvSplitK_hf_big_I14__hip_bfloat16Li64ELi4ELi16ELi8ELi2ELi3EEviiiiiiPKT_S3_S3_PS1_ii
		.amdhsa_group_segment_fixed_size 65536
		.amdhsa_private_segment_fixed_size 0
		.amdhsa_kernarg_size 64
		.amdhsa_user_sgpr_count 2
		.amdhsa_user_sgpr_dispatch_ptr 0
		.amdhsa_user_sgpr_queue_ptr 0
		.amdhsa_user_sgpr_kernarg_segment_ptr 1
		.amdhsa_user_sgpr_dispatch_id 0
		.amdhsa_user_sgpr_kernarg_preload_length 0
		.amdhsa_user_sgpr_kernarg_preload_offset 0
		.amdhsa_user_sgpr_private_segment_size 0
		.amdhsa_uses_dynamic_stack 0
		.amdhsa_enable_private_segment 0
		.amdhsa_system_sgpr_workgroup_id_x 1
		.amdhsa_system_sgpr_workgroup_id_y 0
		.amdhsa_system_sgpr_workgroup_id_z 0
		.amdhsa_system_sgpr_workgroup_info 0
		.amdhsa_system_vgpr_workitem_id 1
		.amdhsa_next_free_vgpr 128
		.amdhsa_next_free_sgpr 56
		.amdhsa_accum_offset 128
		.amdhsa_reserve_vcc 1
		.amdhsa_float_round_mode_32 0
		.amdhsa_float_round_mode_16_64 0
		.amdhsa_float_denorm_mode_32 3
		.amdhsa_float_denorm_mode_16_64 3
		.amdhsa_dx10_clamp 1
		.amdhsa_ieee_mode 1
		.amdhsa_fp16_overflow 0
		.amdhsa_tg_split 0
		.amdhsa_exception_fp_ieee_invalid_op 0
		.amdhsa_exception_fp_denorm_src 0
		.amdhsa_exception_fp_ieee_div_zero 0
		.amdhsa_exception_fp_ieee_overflow 0
		.amdhsa_exception_fp_ieee_underflow 0
		.amdhsa_exception_fp_ieee_inexact 0
		.amdhsa_exception_int_div_zero 0
	.end_amdhsa_kernel
	.section	.text._Z16wvSplitK_hf_big_I14__hip_bfloat16Li64ELi4ELi16ELi8ELi2ELi3EEviiiiiiPKT_S3_S3_PS1_ii,"axG",@progbits,_Z16wvSplitK_hf_big_I14__hip_bfloat16Li64ELi4ELi16ELi8ELi2ELi3EEviiiiiiPKT_S3_S3_PS1_ii,comdat
.Lfunc_end247:
	.size	_Z16wvSplitK_hf_big_I14__hip_bfloat16Li64ELi4ELi16ELi8ELi2ELi3EEviiiiiiPKT_S3_S3_PS1_ii, .Lfunc_end247-_Z16wvSplitK_hf_big_I14__hip_bfloat16Li64ELi4ELi16ELi8ELi2ELi3EEviiiiiiPKT_S3_S3_PS1_ii
                                        ; -- End function
	.section	.AMDGPU.csdata,"",@progbits
; Kernel info:
; codeLenInByte = 6304
; NumSgprs: 62
; NumVgprs: 128
; NumAgprs: 0
; TotalNumVgprs: 128
; ScratchSize: 0
; MemoryBound: 0
; FloatMode: 240
; IeeeMode: 1
; LDSByteSize: 65536 bytes/workgroup (compile time only)
; SGPRBlocks: 7
; VGPRBlocks: 15
; NumSGPRsForWavesPerEU: 62
; NumVGPRsForWavesPerEU: 128
; AccumOffset: 128
; Occupancy: 4
; WaveLimiterHint : 0
; COMPUTE_PGM_RSRC2:SCRATCH_EN: 0
; COMPUTE_PGM_RSRC2:USER_SGPR: 2
; COMPUTE_PGM_RSRC2:TRAP_HANDLER: 0
; COMPUTE_PGM_RSRC2:TGID_X_EN: 1
; COMPUTE_PGM_RSRC2:TGID_Y_EN: 0
; COMPUTE_PGM_RSRC2:TGID_Z_EN: 0
; COMPUTE_PGM_RSRC2:TIDIG_COMP_CNT: 1
; COMPUTE_PGM_RSRC3_GFX90A:ACCUM_OFFSET: 31
; COMPUTE_PGM_RSRC3_GFX90A:TG_SPLIT: 0
	.section	.text._Z16wvSplitK_hf_sml_I14__hip_bfloat16Li32ELi1ELi16ELi8ELi4ELi4EEviiiiiiPKT_S3_S3_PS1_ii,"axG",@progbits,_Z16wvSplitK_hf_sml_I14__hip_bfloat16Li32ELi1ELi16ELi8ELi4ELi4EEviiiiiiPKT_S3_S3_PS1_ii,comdat
	.protected	_Z16wvSplitK_hf_sml_I14__hip_bfloat16Li32ELi1ELi16ELi8ELi4ELi4EEviiiiiiPKT_S3_S3_PS1_ii ; -- Begin function _Z16wvSplitK_hf_sml_I14__hip_bfloat16Li32ELi1ELi16ELi8ELi4ELi4EEviiiiiiPKT_S3_S3_PS1_ii
	.globl	_Z16wvSplitK_hf_sml_I14__hip_bfloat16Li32ELi1ELi16ELi8ELi4ELi4EEviiiiiiPKT_S3_S3_PS1_ii
	.p2align	8
	.type	_Z16wvSplitK_hf_sml_I14__hip_bfloat16Li32ELi1ELi16ELi8ELi4ELi4EEviiiiiiPKT_S3_S3_PS1_ii,@function
_Z16wvSplitK_hf_sml_I14__hip_bfloat16Li32ELi1ELi16ELi8ELi4ELi4EEviiiiiiPKT_S3_S3_PS1_ii: ; @_Z16wvSplitK_hf_sml_I14__hip_bfloat16Li32ELi1ELi16ELi8ELi4ELi4EEviiiiiiPKT_S3_S3_PS1_ii
; %bb.0:
	s_load_dwordx4 s[4:7], s[0:1], 0x0
	v_and_b32_e32 v4, 0x3ff, v0
	v_bfe_u32 v5, v0, 10, 10
	v_lshlrev_b32_e32 v102, 3, v4
	v_lshl_add_u32 v6, v5, 8, v102
	s_waitcnt lgkmcnt(0)
	s_lshl_b32 s28, s6, 2
	s_min_u32 s3, s28, 0x8000
	v_cmp_gt_u32_e32 vcc, s3, v6
	s_and_saveexec_b64 s[8:9], vcc
	s_cbranch_execz .LBB248_9
; %bb.1:
	s_load_dwordx2 s[10:11], s[0:1], 0x20
	v_lshlrev_b32_e32 v0, 1, v6
	v_add_u32_e32 v1, 0x1000, v6
	v_cmp_gt_u32_e32 vcc, s3, v1
	s_waitcnt lgkmcnt(0)
	global_load_dwordx4 v[8:11], v0, s[10:11]
	s_waitcnt vmcnt(0)
	ds_write_b128 v0, v[8:11]
	s_and_saveexec_b64 s[12:13], vcc
	s_xor_b64 s[12:13], exec, s[12:13]
	s_cbranch_execz .LBB248_9
; %bb.2:
	v_mov_b32_e32 v1, 0
	v_lshl_add_u64 v[2:3], s[10:11], 0, v[0:1]
	v_add_co_u32_e32 v8, vcc, 0x2000, v2
	v_add_u32_e32 v1, 0x2000, v6
	s_nop 0
	v_addc_co_u32_e32 v9, vcc, 0, v3, vcc
	global_load_dwordx4 v[8:11], v[8:9], off
	v_cmp_gt_u32_e32 vcc, s3, v1
	s_waitcnt vmcnt(0)
	ds_write_b128 v0, v[8:11] offset:8192
	s_and_saveexec_b64 s[10:11], vcc
	s_xor_b64 s[10:11], exec, s[10:11]
	s_cbranch_execz .LBB248_9
; %bb.3:
	v_add_co_u32_e32 v8, vcc, 0x4000, v2
	v_add_u32_e32 v1, 0x3000, v6
	s_nop 0
	v_addc_co_u32_e32 v9, vcc, 0, v3, vcc
	global_load_dwordx4 v[8:11], v[8:9], off
	v_cmp_gt_u32_e32 vcc, s3, v1
	s_waitcnt vmcnt(0)
	ds_write_b128 v0, v[8:11] offset:16384
	s_and_saveexec_b64 s[10:11], vcc
	s_xor_b64 s[10:11], exec, s[10:11]
	s_cbranch_execz .LBB248_9
; %bb.4:
	v_add_co_u32_e32 v8, vcc, 0x6000, v2
	v_add_u32_e32 v1, 0x4000, v6
	s_nop 0
	v_addc_co_u32_e32 v9, vcc, 0, v3, vcc
	global_load_dwordx4 v[8:11], v[8:9], off
	v_cmp_gt_u32_e32 vcc, s3, v1
	s_waitcnt vmcnt(0)
	ds_write_b128 v0, v[8:11] offset:24576
	s_and_saveexec_b64 s[10:11], vcc
	s_xor_b64 s[10:11], exec, s[10:11]
	s_cbranch_execz .LBB248_9
; %bb.5:
	v_add_co_u32_e32 v8, vcc, 0x8000, v2
	v_add_u32_e32 v1, 0x5000, v6
	s_nop 0
	v_addc_co_u32_e32 v9, vcc, 0, v3, vcc
	global_load_dwordx4 v[8:11], v[8:9], off
	v_cmp_gt_u32_e32 vcc, s3, v1
	s_waitcnt vmcnt(0)
	ds_write_b128 v0, v[8:11] offset:32768
	s_and_saveexec_b64 s[10:11], vcc
	s_xor_b64 s[10:11], exec, s[10:11]
	s_cbranch_execz .LBB248_9
; %bb.6:
	v_add_co_u32_e32 v8, vcc, 0xa000, v2
	v_add_u32_e32 v1, 0x6000, v6
	s_nop 0
	v_addc_co_u32_e32 v9, vcc, 0, v3, vcc
	global_load_dwordx4 v[8:11], v[8:9], off
	v_cmp_gt_u32_e32 vcc, s3, v1
	s_waitcnt vmcnt(0)
	ds_write_b128 v0, v[8:11] offset:40960
	s_and_saveexec_b64 s[10:11], vcc
	s_xor_b64 s[10:11], exec, s[10:11]
	s_cbranch_execz .LBB248_9
; %bb.7:
	v_add_co_u32_e32 v8, vcc, 0xc000, v2
	v_add_u32_e32 v1, 0x7000, v6
	s_nop 0
	v_addc_co_u32_e32 v9, vcc, 0, v3, vcc
	global_load_dwordx4 v[8:11], v[8:9], off
	v_cmp_gt_u32_e32 vcc, s3, v1
	s_waitcnt vmcnt(0)
	ds_write_b128 v0, v[8:11] offset:49152
	s_and_saveexec_b64 s[10:11], vcc
	s_xor_b64 s[10:11], exec, s[10:11]
	s_cbranch_execz .LBB248_9
; %bb.8:
	v_add_co_u32_e32 v2, vcc, 0xe000, v2
	s_nop 1
	v_addc_co_u32_e32 v3, vcc, 0, v3, vcc
	global_load_dwordx4 v[6:9], v[2:3], off
	s_waitcnt vmcnt(0)
	ds_write_b128 v0, v[6:9] offset:57344
.LBB248_9:
	s_or_b64 exec, exec, s[8:9]
	s_load_dwordx2 s[20:21], s[0:1], 0x38
	s_waitcnt lgkmcnt(0)
	s_barrier
	v_cmp_gt_u32_e32 vcc, s20, v5
	s_and_saveexec_b64 s[8:9], vcc
	s_cbranch_execz .LBB248_44
; %bb.10:
	s_load_dwordx2 s[12:13], s[0:1], 0x10
	s_mul_i32 s2, s2, s20
	v_add_u32_e32 v80, s2, v5
	v_cmp_gt_u32_e32 vcc, s7, v80
	s_and_b64 exec, exec, vcc
	s_cbranch_execz .LBB248_44
; %bb.11:
	s_load_dwordx4 s[8:11], s[0:1], 0x28
	s_load_dwordx2 s[14:15], s[0:1], 0x18
	s_cmp_lg_u32 s4, 0
	s_cselect_b64 s[2:3], -1, 0
	s_add_i32 s29, s4, -8
	s_add_i32 s30, s7, -1
	s_waitcnt lgkmcnt(0)
	s_cmp_lg_u64 s[8:9], 0
	s_cselect_b64 s[18:19], -1, 0
	s_abs_i32 s22, s13
	v_cvt_f32_u32_e32 v0, s12
	v_cvt_f32_u32_e32 v1, s22
	s_mul_i32 s13, s21, s20
	s_sub_i32 s20, 0, s12
	v_rcp_iflag_f32_e32 v0, v0
	v_rcp_iflag_f32_e32 v1, v1
	v_cmp_eq_u32_e64 s[0:1], 31, v4
	s_mov_b64 s[16:17], 0
	v_mul_f32_e32 v0, 0x4f7ffffe, v0
	v_mul_f32_e32 v1, 0x4f7ffffe, v1
	v_cvt_u32_f32_e32 v0, v0
	v_cvt_u32_f32_e32 v1, v1
	v_mov_b32_e32 v83, 0
	s_mul_i32 s35, s6, 6
	v_mul_lo_u32 v2, s20, v0
	s_sub_i32 s20, 0, s22
	v_readfirstlane_b32 s21, v1
	s_mul_i32 s20, s20, s21
	s_mul_hi_u32 s20, s21, s20
	s_add_i32 s21, s21, s20
	s_sub_i32 s20, 1, s22
	s_cmp_lt_u32 s22, 2
	s_cselect_b32 s20, s20, 1
	s_sub_i32 s23, s20, s22
	s_cmp_ge_u32 s20, s22
	s_cselect_b32 s31, s23, s20
	s_lshr_b32 s20, s21, 31
	s_mul_i32 s20, s20, s22
	s_sub_i32 s20, 2, s20
	s_sub_i32 s23, s20, s22
	s_cmp_ge_u32 s20, s22
	s_cselect_b32 s20, s23, s20
	s_sub_i32 s23, s20, s22
	s_cmp_ge_u32 s20, s22
	s_cselect_b32 s33, s23, s20
	s_mul_hi_u32 s20, s21, 3
	s_mul_i32 s20, s20, s22
	s_sub_i32 s20, 3, s20
	s_sub_i32 s21, s20, s22
	s_cmp_ge_u32 s20, s22
	s_cselect_b32 s20, s21, s20
	s_sub_i32 s21, s20, s22
	v_mul_hi_u32 v2, v0, v2
	s_cmp_ge_u32 s20, s22
	v_add_u32_e32 v103, v0, v2
	s_cselect_b32 s34, s21, s20
	v_cndmask_b32_e64 v0, 0, 1, s[2:3]
	s_mul_i32 s31, s31, s12
	s_mul_i32 s33, s33, s12
	;; [unrolled: 1-line block ×3, first 2 shown]
	v_lshlrev_b32_e32 v104, 4, v4
	s_lshl_b32 s6, s6, 1
	v_cmp_ne_u32_e64 s[2:3], 1, v0
	s_mov_b32 s36, 0x7f800000
	s_movk_i32 s37, 0x7fff
	s_branch .LBB248_14
.LBB248_12:                             ;   in Loop: Header=BB248_14 Depth=1
	s_or_b64 exec, exec, s[22:23]
	v_add_u32_e32 v82, s7, v82
	v_lshl_add_u64 v[2:3], v[82:83], 1, s[10:11]
	global_store_short_d16_hi v[2:3], v0, off
.LBB248_13:                             ;   in Loop: Header=BB248_14 Depth=1
	s_or_b64 exec, exec, s[20:21]
	v_add_u32_e32 v80, s13, v80
	v_cmp_le_u32_e32 vcc, s7, v80
	s_or_b64 s[16:17], vcc, s[16:17]
	s_andn2_b64 exec, exec, s[16:17]
	s_cbranch_execz .LBB248_44
.LBB248_14:                             ; =>This Loop Header: Depth=1
                                        ;     Child Loop BB248_20 Depth 2
	s_and_b64 vcc, exec, s[2:3]
	v_mov_b32_e32 v3, v83
	v_mov_b32_e32 v2, v83
	;; [unrolled: 1-line block ×16, first 2 shown]
	s_cbranch_vccnz .LBB248_25
; %bb.15:                               ;   in Loop: Header=BB248_14 Depth=1
	v_min_u32_e32 v0, s30, v80
	v_mul_lo_u32 v82, v0, s5
	v_mov_b32_e32 v12, 0
	v_lshl_add_u64 v[84:85], v[82:83], 1, s[14:15]
	s_mov_b32 s38, 0
	v_mov_b32_e32 v81, v104
	v_mov_b32_e32 v13, v12
	;; [unrolled: 1-line block ×16, first 2 shown]
	s_branch .LBB248_20
.LBB248_16:                             ;   in Loop: Header=BB248_20 Depth=2
	s_or_b64 exec, exec, s[26:27]
.LBB248_17:                             ;   in Loop: Header=BB248_20 Depth=2
	s_or_b64 exec, exec, s[24:25]
.LBB248_18:                             ;   in Loop: Header=BB248_20 Depth=2
	s_or_b64 exec, exec, s[22:23]
.LBB248_19:                             ;   in Loop: Header=BB248_20 Depth=2
	s_or_b64 exec, exec, s[20:21]
	s_waitcnt vmcnt(3) lgkmcnt(4)
	v_mfma_f32_4x4x4_16b_bf16 v[12:15], v[72:73], v[28:29], v[12:15]
	s_addk_i32 s38, 0x400
	s_waitcnt lgkmcnt(3)
	v_mfma_f32_4x4x4_16b_bf16 v[8:11], v[48:49], v[28:29], v[8:11]
	v_add_u32_e32 v81, 0x800, v81
	s_waitcnt lgkmcnt(2)
	v_mfma_f32_4x4x4_16b_bf16 v[4:7], v[88:89], v[28:29], v[4:7]
	s_cmp_ge_u32 s38, s4
	s_waitcnt lgkmcnt(0)
	v_mfma_f32_4x4x4_16b_bf16 v[0:3], v[32:33], v[28:29], v[0:3]
	v_mfma_f32_4x4x4_16b_bf16 v[12:15], v[74:75], v[30:31], v[12:15]
	v_mfma_f32_4x4x4_16b_bf16 v[8:11], v[50:51], v[30:31], v[8:11]
	v_mfma_f32_4x4x4_16b_bf16 v[4:7], v[86:87], v[30:31], v[4:7]
	v_mfma_f32_4x4x4_16b_bf16 v[0:3], v[34:35], v[30:31], v[0:3]
	s_waitcnt vmcnt(2)
	v_mfma_f32_4x4x4_16b_bf16 v[12:15], v[56:57], v[24:25], v[12:15]
	v_mfma_f32_4x4x4_16b_bf16 v[8:11], v[52:53], v[24:25], v[8:11]
	v_mfma_f32_4x4x4_16b_bf16 v[4:7], v[92:93], v[24:25], v[4:7]
	v_mfma_f32_4x4x4_16b_bf16 v[0:3], v[36:37], v[24:25], v[0:3]
	v_mfma_f32_4x4x4_16b_bf16 v[12:15], v[58:59], v[26:27], v[12:15]
	v_mfma_f32_4x4x4_16b_bf16 v[8:11], v[54:55], v[26:27], v[8:11]
	v_mfma_f32_4x4x4_16b_bf16 v[4:7], v[90:91], v[26:27], v[4:7]
	v_mfma_f32_4x4x4_16b_bf16 v[0:3], v[38:39], v[26:27], v[0:3]
	s_waitcnt vmcnt(1)
	v_mfma_f32_4x4x4_16b_bf16 v[12:15], v[40:41], v[20:21], v[12:15]
	v_mfma_f32_4x4x4_16b_bf16 v[8:11], v[60:61], v[20:21], v[8:11]
	v_mfma_f32_4x4x4_16b_bf16 v[4:7], v[94:95], v[20:21], v[4:7]
	;; [unrolled: 9-line block ×3, first 2 shown]
	v_mfma_f32_4x4x4_16b_bf16 v[0:3], v[64:65], v[16:17], v[0:3]
	v_mfma_f32_4x4x4_16b_bf16 v[12:15], v[46:47], v[18:19], v[12:15]
	;; [unrolled: 1-line block ×5, first 2 shown]
	s_cbranch_scc1 .LBB248_25
.LBB248_20:                             ;   Parent Loop BB248_14 Depth=1
                                        ; =>  This Inner Loop Header: Depth=2
	v_add_u32_e32 v36, s38, v102
	v_min_u32_e32 v82, s29, v36
	v_add_u32_e32 v109, 0x100, v36
	v_lshl_add_u64 v[16:17], v[82:83], 1, v[84:85]
	v_min_u32_e32 v82, s29, v109
	v_add_u32_e32 v106, 0x200, v36
	v_lshl_add_u64 v[18:19], v[82:83], 1, v[84:85]
	;; [unrolled: 3-line block ×3, first 2 shown]
	v_min_u32_e32 v82, s29, v105
	global_load_dwordx4 v[28:31], v[16:17], off nt
	global_load_dwordx4 v[24:27], v[18:19], off nt
	v_lshl_add_u64 v[34:35], v[82:83], 1, v[84:85]
	global_load_dwordx4 v[20:23], v[32:33], off nt
	global_load_dwordx4 v[16:19], v[34:35], off nt
	v_cmp_gt_u32_e32 vcc, s4, v36
	v_mov_b32_e32 v66, 0
	v_mov_b32_e32 v67, 0
	;; [unrolled: 1-line block ×64, first 2 shown]
	s_and_saveexec_b64 s[20:21], vcc
	s_cbranch_execz .LBB248_19
; %bb.21:                               ;   in Loop: Header=BB248_20 Depth=2
	v_add_u32_e32 v82, s6, v81
	v_add_u32_e32 v107, s28, v81
	ds_read_b128 v[72:75], v81
	ds_read_b128 v[48:51], v82
	ds_read2_b32 v[88:89], v107 offset1:1
	v_add_u32_e32 v108, s35, v81
	ds_read2_b32 v[86:87], v107 offset0:2 offset1:3
	ds_read_b128 v[32:35], v108
	v_cmp_gt_u32_e32 vcc, s4, v109
	v_mov_b32_e32 v57, 0
	v_mov_b32_e32 v56, 0
	;; [unrolled: 1-line block ×48, first 2 shown]
	s_and_saveexec_b64 s[22:23], vcc
	s_cbranch_execz .LBB248_18
; %bb.22:                               ;   in Loop: Header=BB248_20 Depth=2
	ds_read_b128 v[56:59], v81 offset:512
	ds_read_b128 v[52:55], v82 offset:512
	ds_read2_b32 v[92:93], v107 offset0:128 offset1:129
	ds_read2_b32 v[90:91], v107 offset0:130 offset1:131
	ds_read_b128 v[36:39], v108 offset:512
	v_cmp_gt_u32_e32 vcc, s4, v106
	v_mov_b32_e32 v41, 0
	v_mov_b32_e32 v40, 0
	;; [unrolled: 1-line block ×32, first 2 shown]
	s_and_saveexec_b64 s[24:25], vcc
	s_cbranch_execz .LBB248_17
; %bb.23:                               ;   in Loop: Header=BB248_20 Depth=2
	v_add_u32_e32 v44, 0x400, v107
	ds_read_b128 v[40:43], v81 offset:1024
	v_add_u32_e32 v45, 0x408, v107
	ds_read2_b32 v[94:95], v44 offset1:1
	ds_read2_b32 v[96:97], v45 offset1:1
	ds_read_b128 v[60:63], v82 offset:1024
	ds_read_b128 v[68:71], v108 offset:1024
	v_cmp_gt_u32_e32 vcc, s4, v105
	v_mov_b32_e32 v45, 0
	v_mov_b32_e32 v44, 0
	;; [unrolled: 1-line block ×16, first 2 shown]
	s_and_saveexec_b64 s[26:27], vcc
	s_cbranch_execz .LBB248_16
; %bb.24:                               ;   in Loop: Header=BB248_20 Depth=2
	v_add_u32_e32 v64, 0x600, v107
	v_add_u32_e32 v65, 0x608, v107
	ds_read_b128 v[44:47], v81 offset:1536
	ds_read2_b32 v[98:99], v64 offset1:1
	ds_read2_b32 v[100:101], v65 offset1:1
	ds_read_b128 v[76:79], v82 offset:1536
	ds_read_b128 v[64:67], v108 offset:1536
	s_branch .LBB248_16
.LBB248_25:                             ;   in Loop: Header=BB248_14 Depth=1
	; sched_barrier mask(0x00000000)
	s_nop 0
	v_cvt_i32_f32_e32 v13, v13
	v_cvt_i32_f32_e32 v14, v14
	;; [unrolled: 1-line block ×4, first 2 shown]
	v_cvt_f32_i32_dpp v13, v13 row_shl:1 row_mask:0xf bank_mask:0xf bound_ctrl:1
	v_cvt_f32_i32_dpp v14, v14 row_shl:2 row_mask:0xf bank_mask:0xf bound_ctrl:1
	v_cvt_i32_f32_e32 v10, v10
	v_cvt_f32_i32_dpp v15, v15 row_shl:3 row_mask:0xf bank_mask:0xf bound_ctrl:1
	v_cvt_i32_f32_e32 v11, v11
	v_cvt_i32_f32_e32 v5, v5
	v_add_f32_e32 v12, v12, v13
	v_cvt_f32_i32_dpp v9, v9 row_shl:1 row_mask:0xf bank_mask:0xf bound_ctrl:1
	v_cvt_i32_f32_e32 v1, v1
	v_add_f32_e32 v12, v12, v14
	v_cvt_f32_i32_dpp v10, v10 row_shl:2 row_mask:0xf bank_mask:0xf bound_ctrl:1
	v_cvt_i32_f32_e32 v6, v6
	v_cvt_i32_f32_e32 v2, v2
	v_add_f32_e32 v12, v12, v15
	v_cvt_f32_i32_dpp v11, v11 row_shl:3 row_mask:0xf bank_mask:0xf bound_ctrl:1
	v_cvt_f32_i32_dpp v5, v5 row_shl:1 row_mask:0xf bank_mask:0xf bound_ctrl:1
	v_cvt_i32_f32_e32 v7, v7
	v_cvt_i32_f32_e32 v3, v3
	;; [unrolled: 1-line block ×3, first 2 shown]
	v_add_f32_e32 v8, v8, v9
	v_cvt_f32_i32_dpp v1, v1 row_shl:1 row_mask:0xf bank_mask:0xf bound_ctrl:1
	v_add_f32_e32 v8, v8, v10
	v_cvt_f32_i32_dpp v6, v6 row_shl:2 row_mask:0xf bank_mask:0xf bound_ctrl:1
	v_cvt_f32_i32_dpp v2, v2 row_shl:2 row_mask:0xf bank_mask:0xf bound_ctrl:1
	v_add_f32_e32 v8, v8, v11
	v_add_f32_e32 v4, v4, v5
	v_cvt_f32_i32_dpp v5, v7 row_shl:3 row_mask:0xf bank_mask:0xf bound_ctrl:1
	v_cvt_f32_i32_dpp v3, v3 row_shl:3 row_mask:0xf bank_mask:0xf bound_ctrl:1
	;; [unrolled: 1-line block ×3, first 2 shown]
	v_cvt_i32_f32_e32 v10, v8
	v_add_f32_e32 v0, v0, v1
	v_add_f32_e32 v4, v4, v6
	;; [unrolled: 1-line block ×6, first 2 shown]
	v_cvt_f32_i32_dpp v10, v10 row_shl:4 row_mask:0xf bank_mask:0xf bound_ctrl:1
	v_cvt_i32_f32_e32 v5, v4
	v_cvt_i32_f32_e32 v1, v0
	;; [unrolled: 1-line block ×3, first 2 shown]
	v_add_f32_e32 v8, v8, v10
	v_cvt_f32_i32_dpp v3, v5 row_shl:4 row_mask:0xf bank_mask:0xf bound_ctrl:1
	v_cvt_f32_i32_dpp v1, v1 row_shl:4 row_mask:0xf bank_mask:0xf bound_ctrl:1
	;; [unrolled: 1-line block ×3, first 2 shown]
	v_cvt_i32_f32_e32 v10, v8
	v_add_f32_e32 v3, v4, v3
	v_add_f32_e32 v0, v0, v1
	;; [unrolled: 1-line block ×3, first 2 shown]
	v_cvt_f32_i32_dpp v2, v10 row_shl:8 row_mask:0xf bank_mask:0xf bound_ctrl:1
	v_cvt_i32_f32_e32 v4, v3
	v_cvt_i32_f32_e32 v1, v0
	v_cvt_i32_f32_e32 v9, v9
	v_add_f32_e32 v2, v8, v2
	v_cvt_f32_i32_dpp v4, v4 row_shl:8 row_mask:0xf bank_mask:0xf bound_ctrl:1
	v_cvt_f32_i32_dpp v1, v1 row_shl:8 row_mask:0xf bank_mask:0xf bound_ctrl:1
	v_cvt_f32_i32_dpp v5, v9 row_shr:15 row_mask:0xf bank_mask:0xf bound_ctrl:1
	v_cvt_i32_f32_e32 v2, v2
	v_add_f32_e32 v3, v3, v4
	v_add_f32_e32 v0, v0, v1
	v_cvt_i32_f32_e32 v6, v5
	v_cvt_f32_i32_dpp v2, v2 row_shr:15 row_mask:0xf bank_mask:0xf bound_ctrl:1
	v_cvt_i32_f32_e32 v3, v3
	v_cvt_i32_f32_e32 v0, v0
	v_cvt_f32_i32_dpp v1, v6 row_bcast:15 row_mask:0xf bank_mask:0xf bound_ctrl:1
	v_cvt_i32_f32_e32 v4, v2
	v_cvt_f32_i32_dpp v3, v3 row_shr:15 row_mask:0xf bank_mask:0xf bound_ctrl:1
	v_cvt_f32_i32_dpp v0, v0 row_shr:15 row_mask:0xf bank_mask:0xf bound_ctrl:1
	v_add_f32_e32 v8, v5, v1
	v_cvt_f32_i32_dpp v4, v4 row_bcast:15 row_mask:0xf bank_mask:0xf bound_ctrl:1
	v_cvt_i32_f32_e32 v1, v3
	v_cvt_i32_f32_e32 v6, v0
	;; [unrolled: 1-line block ×3, first 2 shown]
	v_add_f32_e32 v5, v2, v4
	v_cvt_f32_i32_dpp v1, v1 row_bcast:15 row_mask:0xf bank_mask:0xf bound_ctrl:1
	v_cvt_f32_i32_dpp v4, v6 row_bcast:15 row_mask:0xf bank_mask:0xf bound_ctrl:1
	v_cvt_i32_f32_e32 v6, v5
	v_mov_b32_dpp v9, v7 row_bcast:31 row_mask:0xf bank_mask:0xf bound_ctrl:1
	v_add_f32_e32 v2, v3, v1
	v_add_f32_e32 v0, v0, v4
	v_cvt_i32_f32_e32 v1, v2
	v_cvt_i32_f32_e32 v3, v0
	v_mov_b32_dpp v7, v6 row_bcast:31 row_mask:0xf bank_mask:0xf bound_ctrl:1
	v_mov_b32_dpp v4, v1 row_bcast:31 row_mask:0xf bank_mask:0xf bound_ctrl:1
	;; [unrolled: 1-line block ×3, first 2 shown]
	s_and_saveexec_b64 s[20:21], s[0:1]
	s_cbranch_execz .LBB248_13
; %bb.26:                               ;   in Loop: Header=BB248_14 Depth=1
	s_andn2_b64 vcc, exec, s[18:19]
	v_mov_b32_e32 v3, 0
	v_mov_b32_e32 v6, 0
	v_mov_b32_e32 v10, 0
	v_mov_b32_e32 v11, 0
	s_cbranch_vccnz .LBB248_28
; %bb.27:                               ;   in Loop: Header=BB248_14 Depth=1
	v_mul_hi_u32 v3, v80, v103
	v_mul_lo_u32 v3, v3, s12
	v_sub_u32_e32 v3, v80, v3
	v_subrev_u32_e32 v6, s12, v3
	v_cmp_le_u32_e32 vcc, s12, v3
	v_mov_b32_e32 v11, v83
	s_nop 0
	v_cndmask_b32_e32 v3, v3, v6, vcc
	v_subrev_u32_e32 v6, s12, v3
	v_cmp_le_u32_e32 vcc, s12, v3
	s_nop 1
	v_cndmask_b32_e32 v82, v3, v6, vcc
	v_add_u32_e32 v10, s31, v82
	v_lshl_add_u64 v[12:13], v[82:83], 1, s[8:9]
	v_lshl_add_u64 v[14:15], v[10:11], 1, s[8:9]
	v_add_u32_e32 v10, s33, v82
	v_add_u32_e32 v82, s34, v82
	v_lshl_add_u64 v[16:17], v[10:11], 1, s[8:9]
	v_lshl_add_u64 v[18:19], v[82:83], 1, s[8:9]
	global_load_ushort v11, v[12:13], off
	global_load_ushort v10, v[14:15], off
	;; [unrolled: 1-line block ×4, first 2 shown]
.LBB248_28:                             ;   in Loop: Header=BB248_14 Depth=1
	v_cvt_f32_i32_e32 v9, v9
	v_add_f32_e32 v8, v8, v9
	s_waitcnt vmcnt(3)
	v_lshlrev_b32_e32 v9, 16, v11
	v_add_f32_e32 v9, v8, v9
	v_and_b32_e32 v8, 0x7f800000, v9
	v_cmp_ne_u32_e32 vcc, s36, v8
                                        ; implicit-def: $vgpr8
	s_and_saveexec_b64 s[22:23], vcc
	s_xor_b64 s[22:23], exec, s[22:23]
; %bb.29:                               ;   in Loop: Header=BB248_14 Depth=1
	v_bfe_u32 v8, v9, 16, 1
	v_add3_u32 v8, v9, v8, s37
                                        ; implicit-def: $vgpr9
; %bb.30:                               ;   in Loop: Header=BB248_14 Depth=1
	s_andn2_saveexec_b64 s[22:23], s[22:23]
; %bb.31:                               ;   in Loop: Header=BB248_14 Depth=1
	v_or_b32_e32 v8, 0x10000, v9
	v_cmp_eq_u32_sdwa vcc, v9, v83 src0_sel:WORD_0 src1_sel:DWORD
	s_nop 1
	v_cndmask_b32_e32 v8, v8, v9, vcc
; %bb.32:                               ;   in Loop: Header=BB248_14 Depth=1
	s_or_b64 exec, exec, s[22:23]
	v_cvt_f32_i32_e32 v7, v7
	v_mov_b32_e32 v81, v83
	v_lshl_add_u64 v[12:13], v[80:81], 1, s[10:11]
	global_store_short_d16_hi v[12:13], v8, off
	v_add_f32_e32 v5, v5, v7
	s_waitcnt vmcnt(3)
	v_lshlrev_b32_e32 v7, 16, v10
	v_add_f32_e32 v7, v5, v7
	v_and_b32_e32 v5, 0x7f800000, v7
	v_cmp_ne_u32_e32 vcc, s36, v5
                                        ; implicit-def: $vgpr5
	s_and_saveexec_b64 s[22:23], vcc
	s_xor_b64 s[22:23], exec, s[22:23]
; %bb.33:                               ;   in Loop: Header=BB248_14 Depth=1
	v_bfe_u32 v5, v7, 16, 1
	v_add3_u32 v5, v7, v5, s37
                                        ; implicit-def: $vgpr7
; %bb.34:                               ;   in Loop: Header=BB248_14 Depth=1
	s_andn2_saveexec_b64 s[22:23], s[22:23]
; %bb.35:                               ;   in Loop: Header=BB248_14 Depth=1
	v_or_b32_e32 v5, 0x10000, v7
	v_cmp_eq_u32_sdwa vcc, v7, v83 src0_sel:WORD_0 src1_sel:DWORD
	s_nop 1
	v_cndmask_b32_e32 v5, v5, v7, vcc
; %bb.36:                               ;   in Loop: Header=BB248_14 Depth=1
	s_or_b64 exec, exec, s[22:23]
	v_cvt_f32_i32_e32 v4, v4
	v_add_u32_e32 v82, s7, v80
	v_lshl_add_u64 v[8:9], v[82:83], 1, s[10:11]
	global_store_short_d16_hi v[8:9], v5, off
	v_add_f32_e32 v2, v2, v4
	s_waitcnt vmcnt(3)
	v_lshlrev_b32_e32 v4, 16, v6
	v_add_f32_e32 v4, v2, v4
	v_and_b32_e32 v2, 0x7f800000, v4
	v_cmp_ne_u32_e32 vcc, s36, v2
                                        ; implicit-def: $vgpr2
	s_and_saveexec_b64 s[22:23], vcc
	s_xor_b64 s[22:23], exec, s[22:23]
; %bb.37:                               ;   in Loop: Header=BB248_14 Depth=1
	v_bfe_u32 v2, v4, 16, 1
	v_add3_u32 v2, v4, v2, s37
                                        ; implicit-def: $vgpr4
; %bb.38:                               ;   in Loop: Header=BB248_14 Depth=1
	s_andn2_saveexec_b64 s[22:23], s[22:23]
; %bb.39:                               ;   in Loop: Header=BB248_14 Depth=1
	v_or_b32_e32 v2, 0x10000, v4
	v_cmp_eq_u32_sdwa vcc, v4, v83 src0_sel:WORD_0 src1_sel:DWORD
	s_nop 1
	v_cndmask_b32_e32 v2, v2, v4, vcc
; %bb.40:                               ;   in Loop: Header=BB248_14 Depth=1
	s_or_b64 exec, exec, s[22:23]
	v_cvt_f32_i32_e32 v1, v1
	v_add_u32_e32 v82, s7, v82
	v_lshl_add_u64 v[4:5], v[82:83], 1, s[10:11]
	global_store_short_d16_hi v[4:5], v2, off
	v_add_f32_e32 v0, v0, v1
	s_waitcnt vmcnt(3)
	v_lshlrev_b32_e32 v1, 16, v3
	v_add_f32_e32 v1, v0, v1
	v_and_b32_e32 v0, 0x7f800000, v1
	v_cmp_ne_u32_e32 vcc, s36, v0
                                        ; implicit-def: $vgpr0
	s_and_saveexec_b64 s[22:23], vcc
	s_xor_b64 s[22:23], exec, s[22:23]
; %bb.41:                               ;   in Loop: Header=BB248_14 Depth=1
	v_bfe_u32 v0, v1, 16, 1
	v_add3_u32 v0, v1, v0, s37
                                        ; implicit-def: $vgpr1
; %bb.42:                               ;   in Loop: Header=BB248_14 Depth=1
	s_andn2_saveexec_b64 s[22:23], s[22:23]
	s_cbranch_execz .LBB248_12
; %bb.43:                               ;   in Loop: Header=BB248_14 Depth=1
	v_or_b32_e32 v0, 0x10000, v1
	v_cmp_eq_u32_sdwa vcc, v1, v83 src0_sel:WORD_0 src1_sel:DWORD
	s_nop 1
	v_cndmask_b32_e32 v0, v0, v1, vcc
	s_branch .LBB248_12
.LBB248_44:
	s_endpgm
	.section	.rodata,"a",@progbits
	.p2align	6, 0x0
	.amdhsa_kernel _Z16wvSplitK_hf_sml_I14__hip_bfloat16Li32ELi1ELi16ELi8ELi4ELi4EEviiiiiiPKT_S3_S3_PS1_ii
		.amdhsa_group_segment_fixed_size 65536
		.amdhsa_private_segment_fixed_size 0
		.amdhsa_kernarg_size 64
		.amdhsa_user_sgpr_count 2
		.amdhsa_user_sgpr_dispatch_ptr 0
		.amdhsa_user_sgpr_queue_ptr 0
		.amdhsa_user_sgpr_kernarg_segment_ptr 1
		.amdhsa_user_sgpr_dispatch_id 0
		.amdhsa_user_sgpr_kernarg_preload_length 0
		.amdhsa_user_sgpr_kernarg_preload_offset 0
		.amdhsa_user_sgpr_private_segment_size 0
		.amdhsa_uses_dynamic_stack 0
		.amdhsa_enable_private_segment 0
		.amdhsa_system_sgpr_workgroup_id_x 1
		.amdhsa_system_sgpr_workgroup_id_y 0
		.amdhsa_system_sgpr_workgroup_id_z 0
		.amdhsa_system_sgpr_workgroup_info 0
		.amdhsa_system_vgpr_workitem_id 1
		.amdhsa_next_free_vgpr 110
		.amdhsa_next_free_sgpr 39
		.amdhsa_accum_offset 112
		.amdhsa_reserve_vcc 1
		.amdhsa_float_round_mode_32 0
		.amdhsa_float_round_mode_16_64 0
		.amdhsa_float_denorm_mode_32 3
		.amdhsa_float_denorm_mode_16_64 3
		.amdhsa_dx10_clamp 1
		.amdhsa_ieee_mode 1
		.amdhsa_fp16_overflow 0
		.amdhsa_tg_split 0
		.amdhsa_exception_fp_ieee_invalid_op 0
		.amdhsa_exception_fp_denorm_src 0
		.amdhsa_exception_fp_ieee_div_zero 0
		.amdhsa_exception_fp_ieee_overflow 0
		.amdhsa_exception_fp_ieee_underflow 0
		.amdhsa_exception_fp_ieee_inexact 0
		.amdhsa_exception_int_div_zero 0
	.end_amdhsa_kernel
	.section	.text._Z16wvSplitK_hf_sml_I14__hip_bfloat16Li32ELi1ELi16ELi8ELi4ELi4EEviiiiiiPKT_S3_S3_PS1_ii,"axG",@progbits,_Z16wvSplitK_hf_sml_I14__hip_bfloat16Li32ELi1ELi16ELi8ELi4ELi4EEviiiiiiPKT_S3_S3_PS1_ii,comdat
.Lfunc_end248:
	.size	_Z16wvSplitK_hf_sml_I14__hip_bfloat16Li32ELi1ELi16ELi8ELi4ELi4EEviiiiiiPKT_S3_S3_PS1_ii, .Lfunc_end248-_Z16wvSplitK_hf_sml_I14__hip_bfloat16Li32ELi1ELi16ELi8ELi4ELi4EEviiiiiiPKT_S3_S3_PS1_ii
                                        ; -- End function
	.section	.AMDGPU.csdata,"",@progbits
; Kernel info:
; codeLenInByte = 3504
; NumSgprs: 45
; NumVgprs: 110
; NumAgprs: 0
; TotalNumVgprs: 110
; ScratchSize: 0
; MemoryBound: 0
; FloatMode: 240
; IeeeMode: 1
; LDSByteSize: 65536 bytes/workgroup (compile time only)
; SGPRBlocks: 5
; VGPRBlocks: 13
; NumSGPRsForWavesPerEU: 45
; NumVGPRsForWavesPerEU: 110
; AccumOffset: 112
; Occupancy: 2
; WaveLimiterHint : 0
; COMPUTE_PGM_RSRC2:SCRATCH_EN: 0
; COMPUTE_PGM_RSRC2:USER_SGPR: 2
; COMPUTE_PGM_RSRC2:TRAP_HANDLER: 0
; COMPUTE_PGM_RSRC2:TGID_X_EN: 1
; COMPUTE_PGM_RSRC2:TGID_Y_EN: 0
; COMPUTE_PGM_RSRC2:TGID_Z_EN: 0
; COMPUTE_PGM_RSRC2:TIDIG_COMP_CNT: 1
; COMPUTE_PGM_RSRC3_GFX90A:ACCUM_OFFSET: 27
; COMPUTE_PGM_RSRC3_GFX90A:TG_SPLIT: 0
	.section	.text._Z12wvSplitK_hf_I14__hip_bfloat16Li32ELi1ELi16ELi8ELi4ELi4EEviiiiiiPKT_S3_S3_PS1_ii,"axG",@progbits,_Z12wvSplitK_hf_I14__hip_bfloat16Li32ELi1ELi16ELi8ELi4ELi4EEviiiiiiPKT_S3_S3_PS1_ii,comdat
	.protected	_Z12wvSplitK_hf_I14__hip_bfloat16Li32ELi1ELi16ELi8ELi4ELi4EEviiiiiiPKT_S3_S3_PS1_ii ; -- Begin function _Z12wvSplitK_hf_I14__hip_bfloat16Li32ELi1ELi16ELi8ELi4ELi4EEviiiiiiPKT_S3_S3_PS1_ii
	.globl	_Z12wvSplitK_hf_I14__hip_bfloat16Li32ELi1ELi16ELi8ELi4ELi4EEviiiiiiPKT_S3_S3_PS1_ii
	.p2align	8
	.type	_Z12wvSplitK_hf_I14__hip_bfloat16Li32ELi1ELi16ELi8ELi4ELi4EEviiiiiiPKT_S3_S3_PS1_ii,@function
_Z12wvSplitK_hf_I14__hip_bfloat16Li32ELi1ELi16ELi8ELi4ELi4EEviiiiiiPKT_S3_S3_PS1_ii: ; @_Z12wvSplitK_hf_I14__hip_bfloat16Li32ELi1ELi16ELi8ELi4ELi4EEviiiiiiPKT_S3_S3_PS1_ii
; %bb.0:
	s_load_dwordx2 s[4:5], s[0:1], 0x38
	s_load_dwordx2 s[16:17], s[0:1], 0x20
	s_load_dwordx4 s[8:11], s[0:1], 0x0
	s_load_dwordx2 s[18:19], s[0:1], 0x10
	v_bfe_u32 v5, v0, 10, 10
	s_waitcnt lgkmcnt(0)
	s_mul_i32 s2, s2, s4
	v_add_u32_e32 v96, s2, v5
	v_add_u32_e32 v1, 1, v96
	v_cmp_gt_u32_e32 vcc, s11, v96
	v_cmp_le_u32_e64 s[2:3], s11, v1
	s_and_b64 s[6:7], vcc, s[2:3]
	v_mov_b32_e32 v99, 1
	s_and_saveexec_b64 s[2:3], s[6:7]
; %bb.1:
	v_subrev_u32_e32 v1, s11, v96
	v_cmp_eq_u32_e32 vcc, -1, v1
	s_add_i32 s6, s11, -1
	v_mov_b32_e32 v96, s6
	v_cndmask_b32_e64 v99, 0, 1, vcc
; %bb.2:
	s_or_b64 exec, exec, s[2:3]
	v_and_b32_e32 v4, 0x3ff, v0
	v_lshlrev_b32_e32 v98, 3, v4
	s_lshl_b32 s33, s10, 2
	v_lshl_add_u32 v6, v5, 8, v98
	s_min_u32 s6, s33, 0x8000
	v_cmp_gt_u32_e32 vcc, s6, v6
	s_and_saveexec_b64 s[2:3], vcc
	s_cbranch_execz .LBB249_11
; %bb.3:
	v_lshlrev_b32_e32 v0, 1, v6
	global_load_dwordx4 v[8:11], v0, s[16:17]
	v_add_u32_e32 v1, 0x1000, v6
	v_cmp_gt_u32_e32 vcc, s6, v1
	s_waitcnt vmcnt(0)
	ds_write_b128 v0, v[8:11]
	s_and_saveexec_b64 s[12:13], vcc
	s_xor_b64 s[12:13], exec, s[12:13]
	s_cbranch_execz .LBB249_11
; %bb.4:
	v_mov_b32_e32 v1, 0
	v_lshl_add_u64 v[2:3], s[16:17], 0, v[0:1]
	v_add_co_u32_e32 v8, vcc, 0x2000, v2
	v_add_u32_e32 v1, 0x2000, v6
	s_nop 0
	v_addc_co_u32_e32 v9, vcc, 0, v3, vcc
	global_load_dwordx4 v[8:11], v[8:9], off
	v_cmp_gt_u32_e32 vcc, s6, v1
	s_waitcnt vmcnt(0)
	ds_write_b128 v0, v[8:11] offset:8192
	s_and_saveexec_b64 s[12:13], vcc
	s_xor_b64 s[12:13], exec, s[12:13]
	s_cbranch_execz .LBB249_11
; %bb.5:
	v_add_co_u32_e32 v8, vcc, 0x4000, v2
	v_add_u32_e32 v1, 0x3000, v6
	s_nop 0
	v_addc_co_u32_e32 v9, vcc, 0, v3, vcc
	global_load_dwordx4 v[8:11], v[8:9], off
	v_cmp_gt_u32_e32 vcc, s6, v1
	s_waitcnt vmcnt(0)
	ds_write_b128 v0, v[8:11] offset:16384
	s_and_saveexec_b64 s[12:13], vcc
	s_xor_b64 s[12:13], exec, s[12:13]
	s_cbranch_execz .LBB249_11
; %bb.6:
	;; [unrolled: 12-line block ×6, first 2 shown]
	v_add_co_u32_e32 v2, vcc, 0xe000, v2
	s_nop 1
	v_addc_co_u32_e32 v3, vcc, 0, v3, vcc
	global_load_dwordx4 v[6:9], v[2:3], off
	s_waitcnt vmcnt(0)
	ds_write_b128 v0, v[6:9] offset:57344
.LBB249_11:
	s_or_b64 exec, exec, s[2:3]
	v_cmp_gt_u32_e32 vcc, s4, v5
	v_cmp_gt_u32_e64 s[2:3], s11, v96
	s_and_b64 s[2:3], vcc, s[2:3]
	s_waitcnt lgkmcnt(0)
	s_barrier
	s_and_saveexec_b64 s[6:7], s[2:3]
	s_cbranch_execz .LBB249_110
; %bb.12:
	s_load_dwordx4 s[12:15], s[0:1], 0x28
	s_load_dwordx2 s[20:21], s[0:1], 0x18
	s_cmp_lg_u32 s8, 0
	s_cselect_b64 s[2:3], -1, 0
	s_add_i32 s38, s8, -8
	s_add_i32 s39, s11, -1
	s_waitcnt lgkmcnt(0)
	s_cmp_lg_u64 s[12:13], 0
	s_cselect_b64 s[24:25], -1, 0
	s_mul_i32 s40, s5, s4
	s_abs_i32 s4, s19
	v_cvt_f32_u32_e32 v0, s18
	v_cvt_f32_u32_e32 v1, s4
	s_sub_i32 s5, 0, s18
	s_sub_i32 s41, s40, s11
	v_rcp_iflag_f32_e32 v0, v0
	v_rcp_iflag_f32_e32 v1, v1
	s_add_i32 s41, s41, 2
	s_lshl_b32 s19, s10, 1
	v_mul_f32_e32 v0, 0x4f7ffffe, v0
	v_mul_f32_e32 v1, 0x4f7ffffe, v1
	v_cvt_u32_f32_e32 v0, v0
	v_cvt_u32_f32_e32 v1, v1
	v_cmp_eq_u32_e64 s[0:1], 31, v4
	s_mov_b64 s[22:23], 0
	v_mul_lo_u32 v2, s5, v0
	s_sub_i32 s5, 0, s4
	v_readfirstlane_b32 s6, v1
	s_mul_i32 s5, s5, s6
	s_mul_hi_u32 s5, s6, s5
	s_add_i32 s6, s6, s5
	s_sub_i32 s5, 1, s4
	s_cmp_lt_u32 s4, 2
	s_cselect_b32 s5, s5, 1
	s_sub_i32 s7, s5, s4
	s_cmp_ge_u32 s5, s4
	s_cselect_b32 s42, s7, s5
	s_lshr_b32 s5, s6, 31
	s_mul_i32 s5, s5, s4
	s_sub_i32 s5, 2, s5
	s_sub_i32 s7, s5, s4
	s_cmp_ge_u32 s5, s4
	s_cselect_b32 s5, s7, s5
	s_sub_i32 s7, s5, s4
	s_cmp_ge_u32 s5, s4
	s_cselect_b32 s43, s7, s5
	s_mul_hi_u32 s5, s6, 3
	s_mul_i32 s5, s5, s4
	s_sub_i32 s5, 3, s5
	s_sub_i32 s6, s5, s4
	s_cmp_ge_u32 s5, s4
	s_cselect_b32 s5, s6, s5
	s_sub_i32 s6, s5, s4
	v_mul_hi_u32 v2, v0, v2
	s_cmp_ge_u32 s5, s4
	v_add_u32_e32 v116, v0, v2
	s_cselect_b32 s44, s6, s5
	v_mad_u64_u32 v[102:103], s[4:5], s10, 3, v[98:99]
	v_cndmask_b32_e64 v0, 0, 1, s[2:3]
	v_mov_b32_e32 v101, 0
	s_mul_i32 s42, s42, s18
	s_mul_i32 s43, s43, s18
	;; [unrolled: 1-line block ×3, first 2 shown]
	v_lshlrev_b32_e32 v117, 4, v4
	s_mul_i32 s45, s10, 6
	v_add_u32_e32 v118, s19, v98
	v_add_u32_e32 v103, s10, v98
	v_cmp_ne_u32_e64 s[2:3], 1, v0
	s_movk_i32 s10, 0x7fff
	s_mov_b32 s46, 0x7f800000
	s_mov_b32 s26, 0
	s_branch .LBB249_15
.LBB249_13:                             ;   in Loop: Header=BB249_15 Depth=1
	s_or_b64 exec, exec, s[6:7]
	v_add_u32_e32 v100, s11, v100
	v_lshl_add_u64 v[2:3], v[100:101], 1, s[14:15]
	global_store_short_d16_hi v[2:3], v0, off
.LBB249_14:                             ;   in Loop: Header=BB249_15 Depth=1
	s_or_b64 exec, exec, s[4:5]
	v_add_u32_e32 v0, s40, v96
	v_add_u32_e32 v1, 1, v0
	v_cmp_le_u32_e32 vcc, s11, v0
	v_cmp_gt_u32_e64 s[4:5], s11, v1
	v_add_u32_e32 v1, s41, v96
	v_cmp_eq_u32_e64 s[6:7], 1, v1
	v_mov_b32_e32 v1, s39
	s_or_b64 vcc, vcc, s[4:5]
	v_cndmask_b32_e32 v96, v1, v0, vcc
	v_cmp_le_u32_e64 s[4:5], s11, v96
	s_or_b64 vcc, vcc, s[6:7]
	s_or_b64 s[22:23], s[4:5], s[22:23]
	v_cndmask_b32_e32 v99, 0, v99, vcc
	s_andn2_b64 exec, exec, s[22:23]
	s_cbranch_execz .LBB249_110
.LBB249_15:                             ; =>This Loop Header: Depth=1
                                        ;     Child Loop BB249_22 Depth 2
	s_and_b64 vcc, exec, s[2:3]
	s_waitcnt vmcnt(0)
	v_mov_b32_e32 v3, v101
	v_mov_b32_e32 v2, v101
	;; [unrolled: 1-line block ×16, first 2 shown]
	s_cbranch_vccnz .LBB249_90
; %bb.16:                               ;   in Loop: Header=BB249_15 Depth=1
	v_min_u32_e32 v0, s39, v96
	v_mul_lo_u32 v100, v0, s9
	v_mov_b32_e32 v12, 0
	v_lshl_add_u64 v[104:105], v[100:101], 1, s[20:21]
	s_mov_b32 s4, 0
	v_mov_b32_e32 v97, v117
	s_mov_b32 s47, 0
	v_mov_b32_e32 v13, v12
	v_mov_b32_e32 v14, v12
	;; [unrolled: 1-line block ×15, first 2 shown]
	s_branch .LBB249_22
.LBB249_17:                             ;   in Loop: Header=BB249_22 Depth=2
	s_or_b64 exec, exec, s[36:37]
.LBB249_18:                             ;   in Loop: Header=BB249_22 Depth=2
	s_or_b64 exec, exec, s[34:35]
.LBB249_19:                             ;   in Loop: Header=BB249_22 Depth=2
	s_or_b64 exec, exec, s[30:31]
.LBB249_20:                             ;   in Loop: Header=BB249_22 Depth=2
	s_or_b64 exec, exec, s[28:29]
.LBB249_21:                             ;   in Loop: Header=BB249_22 Depth=2
	s_or_b64 exec, exec, s[6:7]
	s_waitcnt vmcnt(0) lgkmcnt(0)
	v_mfma_f32_4x4x4_16b_bf16 v[12:15], v[32:33], v[24:25], v[12:15]
	s_addk_i32 s47, 0x400
	v_mfma_f32_4x4x4_16b_bf16 v[8:11], v[36:37], v[24:25], v[8:11]
	v_add_u32_e32 v97, 0x800, v97
	v_mfma_f32_4x4x4_16b_bf16 v[4:7], v[40:41], v[24:25], v[4:7]
	s_cmp_ge_u32 s47, s8
	v_mfma_f32_4x4x4_16b_bf16 v[0:3], v[44:45], v[24:25], v[0:3]
	v_mfma_f32_4x4x4_16b_bf16 v[12:15], v[34:35], v[26:27], v[12:15]
	;; [unrolled: 1-line block ×29, first 2 shown]
	s_cbranch_scc1 .LBB249_90
.LBB249_22:                             ;   Parent Loop BB249_15 Depth=1
                                        ; =>  This Inner Loop Header: Depth=2
	v_add_u32_e32 v108, s47, v98
	v_min_u32_e32 v100, s38, v108
	v_add_u32_e32 v114, 0x100, v108
	v_lshl_add_u64 v[16:17], v[100:101], 1, v[104:105]
	v_min_u32_e32 v100, s38, v114
	v_add_u32_e32 v112, 0x200, v108
	v_lshl_add_u64 v[18:19], v[100:101], 1, v[104:105]
	v_min_u32_e32 v100, s38, v112
	v_add_u32_e32 v106, 0x300, v108
	v_lshl_add_u64 v[32:33], v[100:101], 1, v[104:105]
	v_min_u32_e32 v100, s38, v106
	global_load_dwordx4 v[24:27], v[16:17], off nt
	global_load_dwordx4 v[20:23], v[18:19], off nt
	v_lshl_add_u64 v[34:35], v[100:101], 1, v[104:105]
	global_load_dwordx4 v[28:31], v[32:33], off nt
	global_load_dwordx4 v[16:19], v[34:35], off nt
	s_mov_b32 s5, s4
	v_cmp_gt_u32_e32 vcc, s8, v108
	v_mov_b64_e32 v[32:33], s[4:5]
	v_mov_b32_e32 v85, 0
	v_mov_b32_e32 v84, 0
	;; [unrolled: 1-line block ×4, first 2 shown]
	v_mov_b64_e32 v[34:35], s[4:5]
	v_mov_b64_e32 v[48:49], s[4:5]
	;; [unrolled: 1-line block ×29, first 2 shown]
	s_and_saveexec_b64 s[6:7], vcc
	s_cbranch_execz .LBB249_21
; %bb.23:                               ;   in Loop: Header=BB249_22 Depth=2
	v_cmp_lt_u32_e32 vcc, s10, v108
                                        ; implicit-def: $vgpr32_vgpr33
	s_and_saveexec_b64 s[28:29], vcc
	s_xor_b64 s[28:29], exec, s[28:29]
	s_cbranch_execz .LBB249_25
; %bb.24:                               ;   in Loop: Header=BB249_22 Depth=2
	v_mov_b32_e32 v109, v101
	v_lshl_add_u64 v[32:33], v[108:109], 1, s[16:17]
	global_load_dwordx4 v[32:35], v[32:33], off
.LBB249_25:                             ;   in Loop: Header=BB249_22 Depth=2
	s_andn2_saveexec_b64 s[28:29], s[28:29]
	s_cbranch_execz .LBB249_27
; %bb.26:                               ;   in Loop: Header=BB249_22 Depth=2
	s_waitcnt vmcnt(0)
	ds_read_b128 v[32:35], v97
.LBB249_27:                             ;   in Loop: Header=BB249_22 Depth=2
	s_or_b64 exec, exec, s[28:29]
	v_add_u32_e32 v100, s47, v103
	v_cmp_lt_u32_e32 vcc, s10, v100
                                        ; implicit-def: $vgpr36_vgpr37
	s_and_saveexec_b64 s[28:29], vcc
	s_xor_b64 s[28:29], exec, s[28:29]
	s_cbranch_execz .LBB249_29
; %bb.28:                               ;   in Loop: Header=BB249_22 Depth=2
	v_lshl_add_u64 v[36:37], v[100:101], 1, s[16:17]
	global_load_dwordx4 v[36:39], v[36:37], off
.LBB249_29:                             ;   in Loop: Header=BB249_22 Depth=2
	s_andn2_saveexec_b64 s[28:29], s[28:29]
	s_cbranch_execz .LBB249_31
; %bb.30:                               ;   in Loop: Header=BB249_22 Depth=2
	s_waitcnt vmcnt(0)
	v_add_u32_e32 v36, s19, v97
	ds_read_b128 v[36:39], v36
.LBB249_31:                             ;   in Loop: Header=BB249_22 Depth=2
	s_or_b64 exec, exec, s[28:29]
	v_add_u32_e32 v110, s47, v118
	v_cmp_lt_u32_e32 vcc, s10, v110
                                        ; implicit-def: $vgpr40_vgpr41
	s_and_saveexec_b64 s[28:29], vcc
	s_xor_b64 s[28:29], exec, s[28:29]
	s_cbranch_execz .LBB249_33
; %bb.32:                               ;   in Loop: Header=BB249_22 Depth=2
	v_mov_b32_e32 v111, v101
	v_lshl_add_u64 v[40:41], v[110:111], 1, s[16:17]
	global_load_dwordx4 v[40:43], v[40:41], off
.LBB249_33:                             ;   in Loop: Header=BB249_22 Depth=2
	s_andn2_saveexec_b64 s[28:29], s[28:29]
	s_cbranch_execz .LBB249_35
; %bb.34:                               ;   in Loop: Header=BB249_22 Depth=2
	s_waitcnt vmcnt(0)
	v_add_u32_e32 v42, s33, v97
	ds_read2_b32 v[40:41], v42 offset1:1
	ds_read2_b32 v[42:43], v42 offset0:2 offset1:3
.LBB249_35:                             ;   in Loop: Header=BB249_22 Depth=2
	s_or_b64 exec, exec, s[28:29]
	v_add_u32_e32 v108, s47, v102
	v_cmp_lt_u32_e32 vcc, s10, v108
                                        ; implicit-def: $vgpr44_vgpr45
	s_and_saveexec_b64 s[28:29], vcc
	s_xor_b64 s[28:29], exec, s[28:29]
	s_cbranch_execz .LBB249_37
; %bb.36:                               ;   in Loop: Header=BB249_22 Depth=2
	v_mov_b32_e32 v109, v101
	v_lshl_add_u64 v[44:45], v[108:109], 1, s[16:17]
	global_load_dwordx4 v[44:47], v[44:45], off
.LBB249_37:                             ;   in Loop: Header=BB249_22 Depth=2
	s_andn2_saveexec_b64 s[28:29], s[28:29]
	s_cbranch_execz .LBB249_39
; %bb.38:                               ;   in Loop: Header=BB249_22 Depth=2
	s_waitcnt vmcnt(0)
	v_add_u32_e32 v44, s45, v97
	ds_read_b128 v[44:47], v44
.LBB249_39:                             ;   in Loop: Header=BB249_22 Depth=2
	s_or_b64 exec, exec, s[28:29]
	s_mov_b32 s27, s26
	v_cmp_gt_u32_e32 vcc, s8, v114
	v_mov_b32_e32 v85, 0
	v_mov_b64_e32 v[48:49], s[26:27]
	v_mov_b32_e32 v84, 0
	v_mov_b32_e32 v87, 0
	;; [unrolled: 1-line block ×3, first 2 shown]
	v_mov_b64_e32 v[50:51], s[26:27]
	v_mov_b64_e32 v[64:65], s[26:27]
	;; [unrolled: 1-line block ×21, first 2 shown]
	s_and_saveexec_b64 s[28:29], vcc
	s_cbranch_execz .LBB249_20
; %bb.40:                               ;   in Loop: Header=BB249_22 Depth=2
	v_cmp_lt_u32_e32 vcc, s10, v114
                                        ; implicit-def: $vgpr48_vgpr49
	s_and_saveexec_b64 s[30:31], vcc
	s_xor_b64 s[30:31], exec, s[30:31]
	s_cbranch_execz .LBB249_42
; %bb.41:                               ;   in Loop: Header=BB249_22 Depth=2
	v_mov_b32_e32 v115, v101
	v_lshl_add_u64 v[48:49], v[114:115], 1, s[16:17]
	global_load_dwordx4 v[48:51], v[48:49], off
.LBB249_42:                             ;   in Loop: Header=BB249_22 Depth=2
	s_andn2_saveexec_b64 s[30:31], s[30:31]
	s_cbranch_execz .LBB249_44
; %bb.43:                               ;   in Loop: Header=BB249_22 Depth=2
	s_waitcnt vmcnt(0)
	ds_read_b128 v[48:51], v97 offset:512
.LBB249_44:                             ;   in Loop: Header=BB249_22 Depth=2
	s_or_b64 exec, exec, s[30:31]
	v_add_u32_e32 v54, 0x100, v100
	v_cmp_lt_u32_e32 vcc, s10, v54
                                        ; implicit-def: $vgpr52_vgpr53
	s_and_saveexec_b64 s[30:31], vcc
	s_xor_b64 s[30:31], exec, s[30:31]
	s_cbranch_execz .LBB249_46
; %bb.45:                               ;   in Loop: Header=BB249_22 Depth=2
	v_mov_b32_e32 v55, v101
	v_lshl_add_u64 v[52:53], v[54:55], 1, s[16:17]
	global_load_dwordx4 v[52:55], v[52:53], off
.LBB249_46:                             ;   in Loop: Header=BB249_22 Depth=2
	s_andn2_saveexec_b64 s[30:31], s[30:31]
	s_cbranch_execz .LBB249_48
; %bb.47:                               ;   in Loop: Header=BB249_22 Depth=2
	s_waitcnt vmcnt(0)
	v_add_u32_e32 v52, s19, v97
	ds_read_b128 v[52:55], v52 offset:512
.LBB249_48:                             ;   in Loop: Header=BB249_22 Depth=2
	s_or_b64 exec, exec, s[30:31]
	v_add_u32_e32 v58, 0x100, v110
	v_cmp_lt_u32_e32 vcc, s10, v58
                                        ; implicit-def: $vgpr56_vgpr57
	s_and_saveexec_b64 s[30:31], vcc
	s_xor_b64 s[30:31], exec, s[30:31]
	s_cbranch_execz .LBB249_50
; %bb.49:                               ;   in Loop: Header=BB249_22 Depth=2
	v_mov_b32_e32 v59, v101
	v_lshl_add_u64 v[56:57], v[58:59], 1, s[16:17]
	global_load_dwordx4 v[56:59], v[56:57], off
.LBB249_50:                             ;   in Loop: Header=BB249_22 Depth=2
	s_andn2_saveexec_b64 s[30:31], s[30:31]
	s_cbranch_execz .LBB249_52
; %bb.51:                               ;   in Loop: Header=BB249_22 Depth=2
	s_waitcnt vmcnt(0)
	v_add_u32_e32 v58, s33, v97
	ds_read2_b32 v[56:57], v58 offset0:128 offset1:129
	ds_read2_b32 v[58:59], v58 offset0:130 offset1:131
.LBB249_52:                             ;   in Loop: Header=BB249_22 Depth=2
	s_or_b64 exec, exec, s[30:31]
	v_add_u32_e32 v62, 0x100, v108
	v_cmp_lt_u32_e32 vcc, s10, v62
                                        ; implicit-def: $vgpr60_vgpr61
	s_and_saveexec_b64 s[30:31], vcc
	s_xor_b64 s[30:31], exec, s[30:31]
	s_cbranch_execz .LBB249_54
; %bb.53:                               ;   in Loop: Header=BB249_22 Depth=2
	v_mov_b32_e32 v63, v101
	v_lshl_add_u64 v[60:61], v[62:63], 1, s[16:17]
	global_load_dwordx4 v[60:63], v[60:61], off
.LBB249_54:                             ;   in Loop: Header=BB249_22 Depth=2
	s_andn2_saveexec_b64 s[30:31], s[30:31]
	s_cbranch_execz .LBB249_56
; %bb.55:                               ;   in Loop: Header=BB249_22 Depth=2
	s_waitcnt vmcnt(0)
	v_add_u32_e32 v60, s45, v97
	ds_read_b128 v[60:63], v60 offset:512
.LBB249_56:                             ;   in Loop: Header=BB249_22 Depth=2
	s_or_b64 exec, exec, s[30:31]
	s_mov_b32 s27, s26
	v_cmp_gt_u32_e32 vcc, s8, v112
	v_mov_b32_e32 v85, 0
	v_mov_b64_e32 v[64:65], s[26:27]
	v_mov_b32_e32 v84, 0
	v_mov_b32_e32 v87, 0
	;; [unrolled: 1-line block ×3, first 2 shown]
	v_mov_b64_e32 v[66:67], s[26:27]
	v_mov_b64_e32 v[80:81], s[26:27]
	;; [unrolled: 1-line block ×13, first 2 shown]
	s_and_saveexec_b64 s[30:31], vcc
	s_cbranch_execz .LBB249_19
; %bb.57:                               ;   in Loop: Header=BB249_22 Depth=2
	v_cmp_lt_u32_e32 vcc, s10, v112
                                        ; implicit-def: $vgpr64_vgpr65
	s_and_saveexec_b64 s[34:35], vcc
	s_xor_b64 s[34:35], exec, s[34:35]
	s_cbranch_execz .LBB249_59
; %bb.58:                               ;   in Loop: Header=BB249_22 Depth=2
	v_mov_b32_e32 v113, v101
	v_lshl_add_u64 v[64:65], v[112:113], 1, s[16:17]
	global_load_dwordx4 v[64:67], v[64:65], off
.LBB249_59:                             ;   in Loop: Header=BB249_22 Depth=2
	s_andn2_saveexec_b64 s[34:35], s[34:35]
	s_cbranch_execz .LBB249_61
; %bb.60:                               ;   in Loop: Header=BB249_22 Depth=2
	s_waitcnt vmcnt(0)
	ds_read_b128 v[64:67], v97 offset:1024
.LBB249_61:                             ;   in Loop: Header=BB249_22 Depth=2
	s_or_b64 exec, exec, s[34:35]
	v_add_u32_e32 v70, 0x200, v100
	v_cmp_lt_u32_e32 vcc, s10, v70
                                        ; implicit-def: $vgpr68_vgpr69
	s_and_saveexec_b64 s[34:35], vcc
	s_xor_b64 s[34:35], exec, s[34:35]
	s_cbranch_execz .LBB249_63
; %bb.62:                               ;   in Loop: Header=BB249_22 Depth=2
	v_mov_b32_e32 v71, v101
	v_lshl_add_u64 v[68:69], v[70:71], 1, s[16:17]
	global_load_dwordx4 v[68:71], v[68:69], off
.LBB249_63:                             ;   in Loop: Header=BB249_22 Depth=2
	s_andn2_saveexec_b64 s[34:35], s[34:35]
	s_cbranch_execz .LBB249_65
; %bb.64:                               ;   in Loop: Header=BB249_22 Depth=2
	s_waitcnt vmcnt(0)
	v_add_u32_e32 v68, s19, v97
	ds_read_b128 v[68:71], v68 offset:1024
.LBB249_65:                             ;   in Loop: Header=BB249_22 Depth=2
	s_or_b64 exec, exec, s[34:35]
	v_add_u32_e32 v74, 0x200, v110
	v_cmp_lt_u32_e32 vcc, s10, v74
                                        ; implicit-def: $vgpr72_vgpr73
	s_and_saveexec_b64 s[34:35], vcc
	s_xor_b64 s[34:35], exec, s[34:35]
	s_cbranch_execz .LBB249_67
; %bb.66:                               ;   in Loop: Header=BB249_22 Depth=2
	v_mov_b32_e32 v75, v101
	v_lshl_add_u64 v[72:73], v[74:75], 1, s[16:17]
	global_load_dwordx4 v[72:75], v[72:73], off
.LBB249_67:                             ;   in Loop: Header=BB249_22 Depth=2
	s_andn2_saveexec_b64 s[34:35], s[34:35]
	s_cbranch_execz .LBB249_69
; %bb.68:                               ;   in Loop: Header=BB249_22 Depth=2
	s_waitcnt vmcnt(0)
	v_add_u32_e32 v72, s33, v97
	v_add_u32_e32 v73, 0x400, v72
	;; [unrolled: 1-line block ×3, first 2 shown]
	ds_read2_b32 v[72:73], v73 offset1:1
	ds_read2_b32 v[74:75], v74 offset1:1
.LBB249_69:                             ;   in Loop: Header=BB249_22 Depth=2
	s_or_b64 exec, exec, s[34:35]
	v_add_u32_e32 v78, 0x200, v108
	v_cmp_lt_u32_e32 vcc, s10, v78
                                        ; implicit-def: $vgpr76_vgpr77
	s_and_saveexec_b64 s[34:35], vcc
	s_xor_b64 s[34:35], exec, s[34:35]
	s_cbranch_execz .LBB249_71
; %bb.70:                               ;   in Loop: Header=BB249_22 Depth=2
	v_mov_b32_e32 v79, v101
	v_lshl_add_u64 v[76:77], v[78:79], 1, s[16:17]
	global_load_dwordx4 v[76:79], v[76:77], off
.LBB249_71:                             ;   in Loop: Header=BB249_22 Depth=2
	s_andn2_saveexec_b64 s[34:35], s[34:35]
	s_cbranch_execz .LBB249_73
; %bb.72:                               ;   in Loop: Header=BB249_22 Depth=2
	s_waitcnt vmcnt(0)
	v_add_u32_e32 v76, s45, v97
	ds_read_b128 v[76:79], v76 offset:1024
.LBB249_73:                             ;   in Loop: Header=BB249_22 Depth=2
	s_or_b64 exec, exec, s[34:35]
	s_mov_b32 s27, s26
	v_cmp_gt_u32_e32 vcc, s8, v106
	v_mov_b32_e32 v85, 0
	v_mov_b64_e32 v[80:81], s[26:27]
	v_mov_b32_e32 v84, 0
	v_mov_b32_e32 v87, 0
	;; [unrolled: 1-line block ×3, first 2 shown]
	v_mov_b64_e32 v[82:83], s[26:27]
	v_mov_b64_e32 v[88:89], s[26:27]
	;; [unrolled: 1-line block ×5, first 2 shown]
	s_and_saveexec_b64 s[34:35], vcc
	s_cbranch_execz .LBB249_18
; %bb.74:                               ;   in Loop: Header=BB249_22 Depth=2
	v_cmp_lt_u32_e32 vcc, s10, v106
                                        ; implicit-def: $vgpr80_vgpr81
	s_and_saveexec_b64 s[36:37], vcc
	s_xor_b64 s[36:37], exec, s[36:37]
	s_cbranch_execz .LBB249_76
; %bb.75:                               ;   in Loop: Header=BB249_22 Depth=2
	v_mov_b32_e32 v107, v101
	v_lshl_add_u64 v[80:81], v[106:107], 1, s[16:17]
	global_load_dwordx4 v[80:83], v[80:81], off
.LBB249_76:                             ;   in Loop: Header=BB249_22 Depth=2
	s_andn2_saveexec_b64 s[36:37], s[36:37]
	s_cbranch_execz .LBB249_78
; %bb.77:                               ;   in Loop: Header=BB249_22 Depth=2
	s_waitcnt vmcnt(0)
	ds_read_b128 v[80:83], v97 offset:1536
.LBB249_78:                             ;   in Loop: Header=BB249_22 Depth=2
	s_or_b64 exec, exec, s[36:37]
	v_add_u32_e32 v100, 0x300, v100
	v_cmp_lt_u32_e32 vcc, s10, v100
                                        ; implicit-def: $vgpr88_vgpr89
	s_and_saveexec_b64 s[36:37], vcc
	s_xor_b64 s[36:37], exec, s[36:37]
	s_cbranch_execz .LBB249_80
; %bb.79:                               ;   in Loop: Header=BB249_22 Depth=2
	v_lshl_add_u64 v[84:85], v[100:101], 1, s[16:17]
	global_load_dwordx4 v[88:91], v[84:85], off
.LBB249_80:                             ;   in Loop: Header=BB249_22 Depth=2
	s_andn2_saveexec_b64 s[36:37], s[36:37]
	s_cbranch_execz .LBB249_82
; %bb.81:                               ;   in Loop: Header=BB249_22 Depth=2
	v_add_u32_e32 v84, s19, v97
	s_waitcnt vmcnt(0)
	ds_read_b128 v[88:91], v84 offset:1536
.LBB249_82:                             ;   in Loop: Header=BB249_22 Depth=2
	s_or_b64 exec, exec, s[36:37]
	v_add_u32_e32 v100, 0x300, v110
	v_cmp_lt_u32_e32 vcc, s10, v100
                                        ; implicit-def: $vgpr92_vgpr93
	s_and_saveexec_b64 s[36:37], vcc
	s_xor_b64 s[36:37], exec, s[36:37]
	s_cbranch_execz .LBB249_84
; %bb.83:                               ;   in Loop: Header=BB249_22 Depth=2
	v_lshl_add_u64 v[84:85], v[100:101], 1, s[16:17]
	global_load_dwordx4 v[92:95], v[84:85], off
.LBB249_84:                             ;   in Loop: Header=BB249_22 Depth=2
	s_andn2_saveexec_b64 s[36:37], s[36:37]
	s_cbranch_execz .LBB249_86
; %bb.85:                               ;   in Loop: Header=BB249_22 Depth=2
	v_add_u32_e32 v84, s33, v97
	v_add_u32_e32 v85, 0x600, v84
	;; [unrolled: 1-line block ×3, first 2 shown]
	s_waitcnt vmcnt(0)
	ds_read2_b32 v[92:93], v85 offset1:1
	ds_read2_b32 v[94:95], v84 offset1:1
.LBB249_86:                             ;   in Loop: Header=BB249_22 Depth=2
	s_or_b64 exec, exec, s[36:37]
	v_add_u32_e32 v100, 0x300, v108
	v_cmp_lt_u32_e32 vcc, s10, v100
                                        ; implicit-def: $vgpr85
	s_and_saveexec_b64 s[36:37], vcc
	s_xor_b64 s[36:37], exec, s[36:37]
	s_cbranch_execz .LBB249_88
; %bb.87:                               ;   in Loop: Header=BB249_22 Depth=2
	v_lshl_add_u64 v[84:85], v[100:101], 1, s[16:17]
	global_load_dwordx4 v[84:87], v[84:85], off
.LBB249_88:                             ;   in Loop: Header=BB249_22 Depth=2
	s_andn2_saveexec_b64 s[36:37], s[36:37]
	s_cbranch_execz .LBB249_17
; %bb.89:                               ;   in Loop: Header=BB249_22 Depth=2
	s_waitcnt vmcnt(0)
	v_add_u32_e32 v84, s45, v97
	ds_read_b128 v[84:87], v84 offset:1536
	s_branch .LBB249_17
.LBB249_90:                             ;   in Loop: Header=BB249_15 Depth=1
	s_nop 0
	v_cvt_i32_f32_e32 v13, v13
	v_cvt_i32_f32_e32 v14, v14
	v_cvt_i32_f32_e32 v15, v15
	v_cvt_i32_f32_e32 v9, v9
	v_cvt_f32_i32_dpp v13, v13 row_shl:1 row_mask:0xf bank_mask:0xf bound_ctrl:1
	v_cvt_f32_i32_dpp v14, v14 row_shl:2 row_mask:0xf bank_mask:0xf bound_ctrl:1
	v_cvt_i32_f32_e32 v10, v10
	v_cvt_f32_i32_dpp v15, v15 row_shl:3 row_mask:0xf bank_mask:0xf bound_ctrl:1
	v_cvt_i32_f32_e32 v11, v11
	v_cvt_i32_f32_e32 v5, v5
	v_add_f32_e32 v12, v12, v13
	v_cvt_f32_i32_dpp v9, v9 row_shl:1 row_mask:0xf bank_mask:0xf bound_ctrl:1
	v_cvt_i32_f32_e32 v1, v1
	v_add_f32_e32 v12, v12, v14
	v_cvt_f32_i32_dpp v10, v10 row_shl:2 row_mask:0xf bank_mask:0xf bound_ctrl:1
	v_cvt_i32_f32_e32 v6, v6
	v_cvt_i32_f32_e32 v2, v2
	v_add_f32_e32 v12, v12, v15
	v_cvt_f32_i32_dpp v11, v11 row_shl:3 row_mask:0xf bank_mask:0xf bound_ctrl:1
	v_cvt_f32_i32_dpp v5, v5 row_shl:1 row_mask:0xf bank_mask:0xf bound_ctrl:1
	v_cvt_i32_f32_e32 v7, v7
	v_cvt_i32_f32_e32 v3, v3
	;; [unrolled: 1-line block ×3, first 2 shown]
	v_add_f32_e32 v8, v8, v9
	v_cvt_f32_i32_dpp v1, v1 row_shl:1 row_mask:0xf bank_mask:0xf bound_ctrl:1
	v_add_f32_e32 v8, v8, v10
	v_cvt_f32_i32_dpp v6, v6 row_shl:2 row_mask:0xf bank_mask:0xf bound_ctrl:1
	v_cvt_f32_i32_dpp v2, v2 row_shl:2 row_mask:0xf bank_mask:0xf bound_ctrl:1
	v_add_f32_e32 v8, v8, v11
	v_add_f32_e32 v4, v4, v5
	v_cvt_f32_i32_dpp v5, v7 row_shl:3 row_mask:0xf bank_mask:0xf bound_ctrl:1
	v_cvt_f32_i32_dpp v3, v3 row_shl:3 row_mask:0xf bank_mask:0xf bound_ctrl:1
	;; [unrolled: 1-line block ×3, first 2 shown]
	v_cvt_i32_f32_e32 v10, v8
	v_add_f32_e32 v0, v0, v1
	v_add_f32_e32 v4, v4, v6
	;; [unrolled: 1-line block ×6, first 2 shown]
	v_cvt_f32_i32_dpp v10, v10 row_shl:4 row_mask:0xf bank_mask:0xf bound_ctrl:1
	v_cvt_i32_f32_e32 v5, v4
	v_cvt_i32_f32_e32 v1, v0
	;; [unrolled: 1-line block ×3, first 2 shown]
	v_add_f32_e32 v8, v8, v10
	v_cvt_f32_i32_dpp v3, v5 row_shl:4 row_mask:0xf bank_mask:0xf bound_ctrl:1
	v_cvt_f32_i32_dpp v1, v1 row_shl:4 row_mask:0xf bank_mask:0xf bound_ctrl:1
	;; [unrolled: 1-line block ×3, first 2 shown]
	v_cvt_i32_f32_e32 v10, v8
	v_add_f32_e32 v3, v4, v3
	v_add_f32_e32 v0, v0, v1
	;; [unrolled: 1-line block ×3, first 2 shown]
	v_cvt_f32_i32_dpp v2, v10 row_shl:8 row_mask:0xf bank_mask:0xf bound_ctrl:1
	v_cvt_i32_f32_e32 v4, v3
	v_cvt_i32_f32_e32 v1, v0
	;; [unrolled: 1-line block ×3, first 2 shown]
	v_add_f32_e32 v2, v8, v2
	v_cvt_f32_i32_dpp v4, v4 row_shl:8 row_mask:0xf bank_mask:0xf bound_ctrl:1
	v_cvt_f32_i32_dpp v1, v1 row_shl:8 row_mask:0xf bank_mask:0xf bound_ctrl:1
	v_cvt_f32_i32_dpp v5, v9 row_shr:15 row_mask:0xf bank_mask:0xf bound_ctrl:1
	v_cvt_i32_f32_e32 v2, v2
	v_add_f32_e32 v3, v3, v4
	v_add_f32_e32 v0, v0, v1
	v_cvt_i32_f32_e32 v6, v5
	v_cvt_f32_i32_dpp v2, v2 row_shr:15 row_mask:0xf bank_mask:0xf bound_ctrl:1
	v_cvt_i32_f32_e32 v3, v3
	v_cvt_i32_f32_e32 v0, v0
	v_cvt_f32_i32_dpp v1, v6 row_bcast:15 row_mask:0xf bank_mask:0xf bound_ctrl:1
	v_cvt_i32_f32_e32 v4, v2
	v_cvt_f32_i32_dpp v3, v3 row_shr:15 row_mask:0xf bank_mask:0xf bound_ctrl:1
	v_cvt_f32_i32_dpp v0, v0 row_shr:15 row_mask:0xf bank_mask:0xf bound_ctrl:1
	v_add_f32_e32 v8, v5, v1
	v_cvt_f32_i32_dpp v4, v4 row_bcast:15 row_mask:0xf bank_mask:0xf bound_ctrl:1
	v_cvt_i32_f32_e32 v1, v3
	v_cvt_i32_f32_e32 v6, v0
	;; [unrolled: 1-line block ×3, first 2 shown]
	v_add_f32_e32 v5, v2, v4
	v_cvt_f32_i32_dpp v1, v1 row_bcast:15 row_mask:0xf bank_mask:0xf bound_ctrl:1
	v_cvt_f32_i32_dpp v4, v6 row_bcast:15 row_mask:0xf bank_mask:0xf bound_ctrl:1
	v_cvt_i32_f32_e32 v6, v5
	v_mov_b32_dpp v9, v7 row_bcast:31 row_mask:0xf bank_mask:0xf bound_ctrl:1
	v_add_f32_e32 v2, v3, v1
	v_add_f32_e32 v0, v0, v4
	v_cvt_i32_f32_e32 v1, v2
	v_cvt_i32_f32_e32 v3, v0
	v_mov_b32_dpp v7, v6 row_bcast:31 row_mask:0xf bank_mask:0xf bound_ctrl:1
	v_mov_b32_dpp v4, v1 row_bcast:31 row_mask:0xf bank_mask:0xf bound_ctrl:1
	v_mov_b32_dpp v1, v3 row_bcast:31 row_mask:0xf bank_mask:0xf bound_ctrl:1
	s_and_saveexec_b64 s[4:5], s[0:1]
	s_cbranch_execz .LBB249_14
; %bb.91:                               ;   in Loop: Header=BB249_15 Depth=1
	s_andn2_b64 vcc, exec, s[24:25]
	v_mov_b32_e32 v3, 0
	v_mov_b32_e32 v6, 0
	;; [unrolled: 1-line block ×4, first 2 shown]
	s_cbranch_vccnz .LBB249_93
; %bb.92:                               ;   in Loop: Header=BB249_15 Depth=1
	v_mul_hi_u32 v3, v96, v116
	v_mul_lo_u32 v3, v3, s18
	v_sub_u32_e32 v3, v96, v3
	v_subrev_u32_e32 v6, s18, v3
	v_cmp_le_u32_e32 vcc, s18, v3
	v_mov_b32_e32 v11, v101
	s_nop 0
	v_cndmask_b32_e32 v3, v3, v6, vcc
	v_subrev_u32_e32 v6, s18, v3
	v_cmp_le_u32_e32 vcc, s18, v3
	s_nop 1
	v_cndmask_b32_e32 v100, v3, v6, vcc
	v_add_u32_e32 v10, s42, v100
	v_lshl_add_u64 v[12:13], v[100:101], 1, s[12:13]
	v_lshl_add_u64 v[14:15], v[10:11], 1, s[12:13]
	v_add_u32_e32 v10, s43, v100
	v_add_u32_e32 v100, s44, v100
	v_lshl_add_u64 v[16:17], v[10:11], 1, s[12:13]
	v_lshl_add_u64 v[18:19], v[100:101], 1, s[12:13]
	global_load_ushort v11, v[12:13], off
	global_load_ushort v10, v[14:15], off
	;; [unrolled: 1-line block ×4, first 2 shown]
.LBB249_93:                             ;   in Loop: Header=BB249_15 Depth=1
	v_cmp_ne_u32_e32 vcc, 0, v99
	s_and_b64 exec, exec, vcc
	s_cbranch_execz .LBB249_14
; %bb.94:                               ;   in Loop: Header=BB249_15 Depth=1
	v_cvt_f32_i32_e32 v9, v9
	v_add_f32_e32 v8, v8, v9
	s_waitcnt vmcnt(3)
	v_lshlrev_b32_e32 v9, 16, v11
	v_add_f32_e32 v9, v8, v9
	v_and_b32_e32 v8, 0x7f800000, v9
	v_cmp_ne_u32_e32 vcc, s46, v8
                                        ; implicit-def: $vgpr8
	s_and_saveexec_b64 s[6:7], vcc
	s_xor_b64 s[6:7], exec, s[6:7]
; %bb.95:                               ;   in Loop: Header=BB249_15 Depth=1
	v_bfe_u32 v8, v9, 16, 1
	v_add3_u32 v8, v9, v8, s10
                                        ; implicit-def: $vgpr9
; %bb.96:                               ;   in Loop: Header=BB249_15 Depth=1
	s_andn2_saveexec_b64 s[6:7], s[6:7]
; %bb.97:                               ;   in Loop: Header=BB249_15 Depth=1
	v_or_b32_e32 v8, 0x10000, v9
	v_cmp_eq_u32_sdwa vcc, v9, v101 src0_sel:WORD_0 src1_sel:DWORD
	s_nop 1
	v_cndmask_b32_e32 v8, v8, v9, vcc
; %bb.98:                               ;   in Loop: Header=BB249_15 Depth=1
	s_or_b64 exec, exec, s[6:7]
	v_cvt_f32_i32_e32 v7, v7
	v_mov_b32_e32 v97, v101
	v_lshl_add_u64 v[12:13], v[96:97], 1, s[14:15]
	global_store_short_d16_hi v[12:13], v8, off
	v_add_f32_e32 v5, v5, v7
	s_waitcnt vmcnt(3)
	v_lshlrev_b32_e32 v7, 16, v10
	v_add_f32_e32 v7, v5, v7
	v_and_b32_e32 v5, 0x7f800000, v7
	v_cmp_ne_u32_e32 vcc, s46, v5
                                        ; implicit-def: $vgpr5
	s_and_saveexec_b64 s[6:7], vcc
	s_xor_b64 s[6:7], exec, s[6:7]
; %bb.99:                               ;   in Loop: Header=BB249_15 Depth=1
	v_bfe_u32 v5, v7, 16, 1
	v_add3_u32 v5, v7, v5, s10
                                        ; implicit-def: $vgpr7
; %bb.100:                              ;   in Loop: Header=BB249_15 Depth=1
	s_andn2_saveexec_b64 s[6:7], s[6:7]
; %bb.101:                              ;   in Loop: Header=BB249_15 Depth=1
	v_or_b32_e32 v5, 0x10000, v7
	v_cmp_eq_u32_sdwa vcc, v7, v101 src0_sel:WORD_0 src1_sel:DWORD
	s_nop 1
	v_cndmask_b32_e32 v5, v5, v7, vcc
; %bb.102:                              ;   in Loop: Header=BB249_15 Depth=1
	s_or_b64 exec, exec, s[6:7]
	v_cvt_f32_i32_e32 v4, v4
	v_add_u32_e32 v100, s11, v96
	v_lshl_add_u64 v[8:9], v[100:101], 1, s[14:15]
	global_store_short_d16_hi v[8:9], v5, off
	v_add_f32_e32 v2, v2, v4
	s_waitcnt vmcnt(3)
	v_lshlrev_b32_e32 v4, 16, v6
	v_add_f32_e32 v4, v2, v4
	v_and_b32_e32 v2, 0x7f800000, v4
	v_cmp_ne_u32_e32 vcc, s46, v2
                                        ; implicit-def: $vgpr2
	s_and_saveexec_b64 s[6:7], vcc
	s_xor_b64 s[6:7], exec, s[6:7]
; %bb.103:                              ;   in Loop: Header=BB249_15 Depth=1
	v_bfe_u32 v2, v4, 16, 1
	v_add3_u32 v2, v4, v2, s10
                                        ; implicit-def: $vgpr4
; %bb.104:                              ;   in Loop: Header=BB249_15 Depth=1
	s_andn2_saveexec_b64 s[6:7], s[6:7]
; %bb.105:                              ;   in Loop: Header=BB249_15 Depth=1
	v_or_b32_e32 v2, 0x10000, v4
	v_cmp_eq_u32_sdwa vcc, v4, v101 src0_sel:WORD_0 src1_sel:DWORD
	s_nop 1
	v_cndmask_b32_e32 v2, v2, v4, vcc
; %bb.106:                              ;   in Loop: Header=BB249_15 Depth=1
	s_or_b64 exec, exec, s[6:7]
	v_cvt_f32_i32_e32 v1, v1
	v_add_u32_e32 v100, s11, v100
	v_lshl_add_u64 v[4:5], v[100:101], 1, s[14:15]
	global_store_short_d16_hi v[4:5], v2, off
	v_add_f32_e32 v0, v0, v1
	s_waitcnt vmcnt(3)
	v_lshlrev_b32_e32 v1, 16, v3
	v_add_f32_e32 v1, v0, v1
	v_and_b32_e32 v0, 0x7f800000, v1
	v_cmp_ne_u32_e32 vcc, s46, v0
                                        ; implicit-def: $vgpr0
	s_and_saveexec_b64 s[6:7], vcc
	s_xor_b64 s[6:7], exec, s[6:7]
; %bb.107:                              ;   in Loop: Header=BB249_15 Depth=1
	v_bfe_u32 v0, v1, 16, 1
	v_add3_u32 v0, v1, v0, s10
                                        ; implicit-def: $vgpr1
; %bb.108:                              ;   in Loop: Header=BB249_15 Depth=1
	s_andn2_saveexec_b64 s[6:7], s[6:7]
	s_cbranch_execz .LBB249_13
; %bb.109:                              ;   in Loop: Header=BB249_15 Depth=1
	v_or_b32_e32 v0, 0x10000, v1
	v_cmp_eq_u32_sdwa vcc, v1, v101 src0_sel:WORD_0 src1_sel:DWORD
	s_nop 1
	v_cndmask_b32_e32 v0, v0, v1, vcc
	s_branch .LBB249_13
.LBB249_110:
	s_endpgm
	.section	.rodata,"a",@progbits
	.p2align	6, 0x0
	.amdhsa_kernel _Z12wvSplitK_hf_I14__hip_bfloat16Li32ELi1ELi16ELi8ELi4ELi4EEviiiiiiPKT_S3_S3_PS1_ii
		.amdhsa_group_segment_fixed_size 65536
		.amdhsa_private_segment_fixed_size 0
		.amdhsa_kernarg_size 64
		.amdhsa_user_sgpr_count 2
		.amdhsa_user_sgpr_dispatch_ptr 0
		.amdhsa_user_sgpr_queue_ptr 0
		.amdhsa_user_sgpr_kernarg_segment_ptr 1
		.amdhsa_user_sgpr_dispatch_id 0
		.amdhsa_user_sgpr_kernarg_preload_length 0
		.amdhsa_user_sgpr_kernarg_preload_offset 0
		.amdhsa_user_sgpr_private_segment_size 0
		.amdhsa_uses_dynamic_stack 0
		.amdhsa_enable_private_segment 0
		.amdhsa_system_sgpr_workgroup_id_x 1
		.amdhsa_system_sgpr_workgroup_id_y 0
		.amdhsa_system_sgpr_workgroup_id_z 0
		.amdhsa_system_sgpr_workgroup_info 0
		.amdhsa_system_vgpr_workitem_id 1
		.amdhsa_next_free_vgpr 119
		.amdhsa_next_free_sgpr 48
		.amdhsa_accum_offset 120
		.amdhsa_reserve_vcc 1
		.amdhsa_float_round_mode_32 0
		.amdhsa_float_round_mode_16_64 0
		.amdhsa_float_denorm_mode_32 3
		.amdhsa_float_denorm_mode_16_64 3
		.amdhsa_dx10_clamp 1
		.amdhsa_ieee_mode 1
		.amdhsa_fp16_overflow 0
		.amdhsa_tg_split 0
		.amdhsa_exception_fp_ieee_invalid_op 0
		.amdhsa_exception_fp_denorm_src 0
		.amdhsa_exception_fp_ieee_div_zero 0
		.amdhsa_exception_fp_ieee_overflow 0
		.amdhsa_exception_fp_ieee_underflow 0
		.amdhsa_exception_fp_ieee_inexact 0
		.amdhsa_exception_int_div_zero 0
	.end_amdhsa_kernel
	.section	.text._Z12wvSplitK_hf_I14__hip_bfloat16Li32ELi1ELi16ELi8ELi4ELi4EEviiiiiiPKT_S3_S3_PS1_ii,"axG",@progbits,_Z12wvSplitK_hf_I14__hip_bfloat16Li32ELi1ELi16ELi8ELi4ELi4EEviiiiiiPKT_S3_S3_PS1_ii,comdat
.Lfunc_end249:
	.size	_Z12wvSplitK_hf_I14__hip_bfloat16Li32ELi1ELi16ELi8ELi4ELi4EEviiiiiiPKT_S3_S3_PS1_ii, .Lfunc_end249-_Z12wvSplitK_hf_I14__hip_bfloat16Li32ELi1ELi16ELi8ELi4ELi4EEviiiiiiPKT_S3_S3_PS1_ii
                                        ; -- End function
	.section	.AMDGPU.csdata,"",@progbits
; Kernel info:
; codeLenInByte = 4296
; NumSgprs: 54
; NumVgprs: 119
; NumAgprs: 0
; TotalNumVgprs: 119
; ScratchSize: 0
; MemoryBound: 1
; FloatMode: 240
; IeeeMode: 1
; LDSByteSize: 65536 bytes/workgroup (compile time only)
; SGPRBlocks: 6
; VGPRBlocks: 14
; NumSGPRsForWavesPerEU: 54
; NumVGPRsForWavesPerEU: 119
; AccumOffset: 120
; Occupancy: 2
; WaveLimiterHint : 0
; COMPUTE_PGM_RSRC2:SCRATCH_EN: 0
; COMPUTE_PGM_RSRC2:USER_SGPR: 2
; COMPUTE_PGM_RSRC2:TRAP_HANDLER: 0
; COMPUTE_PGM_RSRC2:TGID_X_EN: 1
; COMPUTE_PGM_RSRC2:TGID_Y_EN: 0
; COMPUTE_PGM_RSRC2:TGID_Z_EN: 0
; COMPUTE_PGM_RSRC2:TIDIG_COMP_CNT: 1
; COMPUTE_PGM_RSRC3_GFX90A:ACCUM_OFFSET: 29
; COMPUTE_PGM_RSRC3_GFX90A:TG_SPLIT: 0
	.section	.text._Z16wvSplitK_hf_big_I14__hip_bfloat16Li32ELi1ELi16ELi8ELi4ELi4EEviiiiiiPKT_S3_S3_PS1_ii,"axG",@progbits,_Z16wvSplitK_hf_big_I14__hip_bfloat16Li32ELi1ELi16ELi8ELi4ELi4EEviiiiiiPKT_S3_S3_PS1_ii,comdat
	.protected	_Z16wvSplitK_hf_big_I14__hip_bfloat16Li32ELi1ELi16ELi8ELi4ELi4EEviiiiiiPKT_S3_S3_PS1_ii ; -- Begin function _Z16wvSplitK_hf_big_I14__hip_bfloat16Li32ELi1ELi16ELi8ELi4ELi4EEviiiiiiPKT_S3_S3_PS1_ii
	.globl	_Z16wvSplitK_hf_big_I14__hip_bfloat16Li32ELi1ELi16ELi8ELi4ELi4EEviiiiiiPKT_S3_S3_PS1_ii
	.p2align	8
	.type	_Z16wvSplitK_hf_big_I14__hip_bfloat16Li32ELi1ELi16ELi8ELi4ELi4EEviiiiiiPKT_S3_S3_PS1_ii,@function
_Z16wvSplitK_hf_big_I14__hip_bfloat16Li32ELi1ELi16ELi8ELi4ELi4EEviiiiiiPKT_S3_S3_PS1_ii: ; @_Z16wvSplitK_hf_big_I14__hip_bfloat16Li32ELi1ELi16ELi8ELi4ELi4EEviiiiiiPKT_S3_S3_PS1_ii
; %bb.0:
	s_load_dwordx2 s[4:5], s[0:1], 0x38
	v_bfe_u32 v1, v0, 10, 10
	s_waitcnt lgkmcnt(0)
	v_cmp_gt_u32_e32 vcc, s4, v1
	s_and_saveexec_b64 s[6:7], vcc
	s_cbranch_execz .LBB250_54
; %bb.1:
	s_load_dwordx4 s[20:23], s[0:1], 0x0
	s_mul_i32 s2, s2, s4
	v_add_u32_e32 v96, s2, v1
	v_add_u32_e32 v2, 1, v96
	v_mov_b32_e32 v101, 1
	s_waitcnt lgkmcnt(0)
	v_cmp_gt_u32_e32 vcc, s23, v96
	v_cmp_le_u32_e64 s[2:3], s23, v2
	s_and_b64 s[6:7], vcc, s[2:3]
	s_and_saveexec_b64 s[2:3], s[6:7]
; %bb.2:
	v_subrev_u32_e32 v2, s23, v96
	v_cmp_eq_u32_e32 vcc, -1, v2
	s_add_i32 s6, s23, -1
	v_mov_b32_e32 v96, s6
	v_cndmask_b32_e64 v101, 0, 1, vcc
; %bb.3:
	s_or_b64 exec, exec, s[2:3]
	s_abs_i32 s2, s4
	v_cvt_f32_u32_e32 v2, s2
	s_sub_i32 s7, 0, s2
	s_abs_i32 s6, s23
	s_ashr_i32 s3, s23, 31
	v_rcp_iflag_f32_e32 v2, v2
	s_nop 0
	v_mul_f32_e32 v2, 0x4f7ffffe, v2
	v_cvt_u32_f32_e32 v2, v2
	s_nop 0
	v_readfirstlane_b32 s8, v2
	s_mul_i32 s7, s7, s8
	s_mul_hi_u32 s7, s8, s7
	s_add_i32 s8, s8, s7
	s_mul_hi_u32 s7, s6, s8
	s_mul_i32 s7, s7, s2
	s_sub_i32 s6, s6, s7
	s_sub_i32 s7, s6, s2
	s_cmp_ge_u32 s6, s2
	s_cselect_b32 s6, s7, s6
	s_sub_i32 s7, s6, s2
	s_cmp_ge_u32 s6, s2
	s_cselect_b32 s2, s7, s6
	s_xor_b32 s2, s2, s3
	s_sub_i32 s2, s2, s3
	s_add_i32 s3, s4, s23
	s_sub_i32 s3, s3, s2
	s_cmp_eq_u32 s2, 0
	s_cselect_b32 s33, s23, s3
	v_cmp_gt_u32_e32 vcc, s33, v96
	s_and_b64 exec, exec, vcc
	s_cbranch_execz .LBB250_54
; %bb.4:
	s_load_dwordx8 s[12:19], s[0:1], 0x10
	s_min_u32 s38, s22, 0x2000
	s_cmp_lg_u32 s20, 0
	s_cselect_b64 s[2:3], -1, 0
	s_cmp_lg_u32 s22, 0
	s_cselect_b64 s[6:7], -1, 0
	s_lshl_b32 s39, s4, 8
	s_add_i32 s40, s20, -8
	s_add_i32 s41, s23, -1
	s_waitcnt lgkmcnt(0)
	s_cmp_lg_u64 s[18:19], 0
	s_cselect_b64 s[26:27], -1, 0
	s_abs_i32 s8, s13
	v_cvt_f32_u32_e32 v2, s12
	v_cvt_f32_u32_e32 v3, s8
	s_mul_i32 s42, s5, s4
	s_sub_i32 s5, s42, s23
	v_rcp_iflag_f32_e32 v2, v2
	v_rcp_iflag_f32_e32 v3, v3
	s_add_i32 s13, s5, 2
	s_sub_i32 s5, 0, s12
	v_mul_f32_e32 v2, 0x4f7ffffe, v2
	v_mul_f32_e32 v3, 0x4f7ffffe, v3
	v_cvt_u32_f32_e32 v2, v2
	v_cvt_u32_f32_e32 v3, v3
	s_load_dwordx2 s[10:11], s[0:1], 0x30
	v_and_b32_e32 v0, 0x3ff, v0
	v_mul_lo_u32 v4, s5, v2
	s_sub_i32 s5, 0, s8
	v_readfirstlane_b32 s9, v3
	s_mul_i32 s5, s5, s9
	s_mul_hi_u32 s5, s9, s5
	s_add_i32 s9, s9, s5
	s_sub_i32 s5, 1, s8
	s_cmp_lt_u32 s8, 2
	s_cselect_b32 s5, s5, 1
	s_sub_i32 s28, s5, s8
	s_cmp_ge_u32 s5, s8
	s_cselect_b32 s43, s28, s5
	s_lshr_b32 s5, s9, 31
	s_mul_i32 s5, s5, s8
	s_sub_i32 s5, 2, s5
	s_sub_i32 s28, s5, s8
	s_cmp_ge_u32 s5, s8
	s_cselect_b32 s5, s28, s5
	s_sub_i32 s28, s5, s8
	s_cmp_ge_u32 s5, s8
	s_cselect_b32 s44, s28, s5
	s_mul_hi_u32 s5, s9, 3
	s_mul_i32 s5, s5, s8
	s_sub_i32 s5, 3, s5
	s_sub_i32 s9, s5, s8
	s_cmp_ge_u32 s5, s8
	s_cselect_b32 s5, s9, s5
	v_lshlrev_b32_e32 v106, 3, v0
	v_cmp_eq_u32_e64 s[0:1], 31, v0
	s_sub_i32 s9, s5, s8
	v_lshlrev_b32_e32 v0, 4, v0
	s_cmp_ge_u32 s5, s8
	v_lshl_add_u32 v108, v1, 9, v0
	v_lshl_add_u32 v100, v1, 8, v106
	v_cndmask_b32_e64 v0, 0, 1, s[2:3]
	v_mul_hi_u32 v4, v2, v4
	s_cselect_b32 s45, s9, s5
	s_lshl_b32 s47, s4, 9
	v_mad_u64_u32 v[102:103], s[4:5], s22, 3, v[100:101]
	v_cmp_ne_u32_e64 s[2:3], 1, v0
	v_cndmask_b32_e64 v0, 0, 1, s[6:7]
	s_mov_b64 s[24:25], 0
	v_add_u32_e32 v107, v2, v4
	v_mov_b32_e32 v99, 0
	s_mul_i32 s43, s43, s12
	s_mul_i32 s44, s44, s12
	;; [unrolled: 1-line block ×4, first 2 shown]
	s_lshl_b32 s48, s38, 2
	s_lshl_b32 s49, s38, 1
	v_lshl_add_u32 v109, s22, 1, v100
	v_add_u32_e32 v103, s22, v100
	v_cmp_ne_u32_e64 s[4:5], 1, v0
	s_mov_b32 s50, 0x7f800000
	s_movk_i32 s51, 0x7fff
	s_branch .LBB250_7
.LBB250_5:                              ;   in Loop: Header=BB250_7 Depth=1
	s_or_b64 exec, exec, s[6:7]
.LBB250_6:                              ;   in Loop: Header=BB250_7 Depth=1
	s_or_b64 exec, exec, s[8:9]
	v_cmp_le_u32_e32 vcc, s33, v16
	s_or_b64 s[24:25], vcc, s[24:25]
	v_mov_b32_e32 v96, v16
	s_andn2_b64 exec, exec, s[24:25]
	s_cbranch_execz .LBB250_54
.LBB250_7:                              ; =>This Loop Header: Depth=1
                                        ;     Child Loop BB250_14 Depth 2
                                        ;       Child Loop BB250_19 Depth 3
	s_and_b64 vcc, exec, s[2:3]
	s_waitcnt vmcnt(0)
	v_mov_b32_e32 v3, v99
	v_mov_b32_e32 v2, v99
	;; [unrolled: 1-line block ×16, first 2 shown]
	s_cbranch_vccnz .LBB250_28
; %bb.8:                                ;   in Loop: Header=BB250_7 Depth=1
	v_min_u32_e32 v0, s41, v96
	v_mul_lo_u32 v98, v0, s21
	v_mov_b32_e32 v12, 0
	v_cmp_gt_u32_e64 s[6:7], s23, v96
	v_lshl_add_u64 v[104:105], v[98:99], 1, s[14:15]
	s_mov_b32 s52, 0
	s_mov_b32 s53, 0
	v_mov_b32_e32 v13, v12
	v_mov_b32_e32 v14, v12
	;; [unrolled: 1-line block ×15, first 2 shown]
	s_branch .LBB250_14
.LBB250_9:                              ;   in Loop: Header=BB250_14 Depth=2
	s_or_b64 exec, exec, s[36:37]
.LBB250_10:                             ;   in Loop: Header=BB250_14 Depth=2
	s_or_b64 exec, exec, s[34:35]
.LBB250_11:                             ;   in Loop: Header=BB250_14 Depth=2
	s_or_b64 exec, exec, s[30:31]
.LBB250_12:                             ;   in Loop: Header=BB250_14 Depth=2
	s_or_b64 exec, exec, s[28:29]
	s_waitcnt vmcnt(3) lgkmcnt(0)
	v_mfma_f32_4x4x4_16b_bf16 v[12:15], v[88:89], v[28:29], v[12:15]
	v_mfma_f32_4x4x4_16b_bf16 v[8:11], v[56:57], v[28:29], v[8:11]
	v_mfma_f32_4x4x4_16b_bf16 v[4:7], v[36:37], v[28:29], v[4:7]
	v_mfma_f32_4x4x4_16b_bf16 v[0:3], v[32:33], v[28:29], v[0:3]
	v_mfma_f32_4x4x4_16b_bf16 v[12:15], v[90:91], v[30:31], v[12:15]
	v_mfma_f32_4x4x4_16b_bf16 v[8:11], v[58:59], v[30:31], v[8:11]
	v_mfma_f32_4x4x4_16b_bf16 v[4:7], v[38:39], v[30:31], v[4:7]
	v_mfma_f32_4x4x4_16b_bf16 v[0:3], v[34:35], v[30:31], v[0:3]
	s_waitcnt vmcnt(2)
	v_mfma_f32_4x4x4_16b_bf16 v[12:15], v[76:77], v[24:25], v[12:15]
	v_mfma_f32_4x4x4_16b_bf16 v[8:11], v[64:65], v[24:25], v[8:11]
	v_mfma_f32_4x4x4_16b_bf16 v[4:7], v[48:49], v[24:25], v[4:7]
	v_mfma_f32_4x4x4_16b_bf16 v[0:3], v[40:41], v[24:25], v[0:3]
	v_mfma_f32_4x4x4_16b_bf16 v[12:15], v[78:79], v[26:27], v[12:15]
	v_mfma_f32_4x4x4_16b_bf16 v[8:11], v[66:67], v[26:27], v[8:11]
	v_mfma_f32_4x4x4_16b_bf16 v[4:7], v[50:51], v[26:27], v[4:7]
	v_mfma_f32_4x4x4_16b_bf16 v[0:3], v[42:43], v[26:27], v[0:3]
	s_waitcnt vmcnt(1)
	;; [unrolled: 9-line block ×3, first 2 shown]
	v_mfma_f32_4x4x4_16b_bf16 v[12:15], v[44:45], v[16:17], v[12:15]
	v_mfma_f32_4x4x4_16b_bf16 v[8:11], v[72:73], v[16:17], v[8:11]
	;; [unrolled: 1-line block ×8, first 2 shown]
.LBB250_13:                             ;   in Loop: Header=BB250_14 Depth=2
	s_or_b64 exec, exec, s[8:9]
	s_addk_i32 s53, 0x400
	s_cmp_ge_u32 s53, s20
	s_cbranch_scc1 .LBB250_28
.LBB250_14:                             ;   Parent Loop BB250_7 Depth=1
                                        ; =>  This Loop Header: Depth=2
                                        ;       Child Loop BB250_19 Depth 3
	s_cmp_eq_u32 s53, 0
	s_cselect_b64 s[8:9], -1, 0
	s_add_i32 s28, s52, s38
	s_cmp_eq_u32 s53, s28
	s_cselect_b64 s[30:31], -1, 0
	s_or_b64 s[30:31], s[8:9], s[30:31]
	s_andn2_b64 vcc, exec, s[30:31]
	s_cbranch_vccz .LBB250_16
; %bb.15:                               ;   in Loop: Header=BB250_14 Depth=2
	s_and_saveexec_b64 s[8:9], s[6:7]
	s_cbranch_execz .LBB250_13
	s_branch .LBB250_23
.LBB250_16:                             ;   in Loop: Header=BB250_14 Depth=2
	s_and_b64 s[8:9], s[8:9], exec
	s_cselect_b32 s52, s52, s28
	s_and_b64 vcc, exec, s[4:5]
	s_waitcnt lgkmcnt(0)
	s_barrier
	s_cbranch_vccnz .LBB250_22
; %bb.17:                               ;   in Loop: Header=BB250_14 Depth=2
	v_add_u32_e32 v16, s52, v109
	v_add_u32_e32 v17, s52, v102
	;; [unrolled: 1-line block ×4, first 2 shown]
	s_mov_b32 s34, 0
	s_mov_b64 s[28:29], 0
	v_mov_b32_e32 v20, v108
                                        ; implicit-def: $sgpr30_sgpr31
	s_branch .LBB250_19
.LBB250_18:                             ;   in Loop: Header=BB250_19 Depth=3
	s_or_b64 exec, exec, s[8:9]
	s_and_b64 s[8:9], exec, s[30:31]
	s_or_b64 s[28:29], s[8:9], s[28:29]
	s_andn2_b64 exec, exec, s[28:29]
	s_cbranch_execz .LBB250_21
.LBB250_19:                             ;   Parent Loop BB250_7 Depth=1
                                        ;     Parent Loop BB250_14 Depth=2
                                        ; =>    This Inner Loop Header: Depth=3
	v_add_u32_e32 v21, s34, v100
	v_add_u32_e32 v98, s34, v19
	v_cmp_gt_u32_e32 vcc, s22, v98
	v_cmp_gt_u32_e64 s[8:9], s38, v21
	s_and_b64 s[36:37], s[8:9], vcc
	s_or_b64 s[30:31], s[30:31], exec
	s_and_saveexec_b64 s[8:9], s[36:37]
	s_cbranch_execz .LBB250_18
; %bb.20:                               ;   in Loop: Header=BB250_19 Depth=3
	v_lshl_add_u64 v[22:23], v[98:99], 1, s[16:17]
	v_add_u32_e32 v98, s34, v18
	v_lshl_add_u64 v[26:27], v[98:99], 1, s[16:17]
	v_add_u32_e32 v98, s34, v16
	global_load_dwordx4 v[22:25], v[22:23], off
	s_nop 0
	global_load_dwordx4 v[26:29], v[26:27], off
	v_lshl_add_u64 v[30:31], v[98:99], 1, s[16:17]
	v_add_u32_e32 v98, s34, v17
	global_load_dwordx4 v[30:33], v[30:31], off
	v_lshl_add_u64 v[34:35], v[98:99], 1, s[16:17]
	global_load_dwordx4 v[34:37], v[34:35], off
	s_add_i32 s34, s34, s39
	s_cmp_ge_u32 s34, s38
	s_cselect_b64 s[36:37], -1, 0
	s_andn2_b64 s[30:31], s[30:31], exec
	s_and_b64 s[36:37], s[36:37], exec
	v_add_u32_e32 v21, s49, v20
	v_add_u32_e32 v38, s48, v20
	;; [unrolled: 1-line block ×3, first 2 shown]
	s_or_b64 s[30:31], s[30:31], s[36:37]
	s_waitcnt vmcnt(3)
	ds_write_b128 v20, v[22:25]
	v_add_u32_e32 v20, s47, v20
	s_waitcnt vmcnt(2)
	ds_write2_b64 v21, v[26:27], v[28:29] offset1:1
	s_waitcnt vmcnt(1)
	ds_write2_b32 v38, v30, v31 offset1:1
	ds_write2_b32 v38, v32, v33 offset0:2 offset1:3
	s_waitcnt vmcnt(0)
	ds_write2_b64 v39, v[34:35], v[36:37] offset1:1
	s_branch .LBB250_18
.LBB250_21:                             ;   in Loop: Header=BB250_14 Depth=2
	s_or_b64 exec, exec, s[28:29]
.LBB250_22:                             ;   in Loop: Header=BB250_14 Depth=2
	s_waitcnt lgkmcnt(0)
	s_barrier
	s_and_saveexec_b64 s[8:9], s[6:7]
	s_cbranch_execz .LBB250_13
.LBB250_23:                             ;   in Loop: Header=BB250_14 Depth=2
	v_add_u32_e32 v111, s53, v106
	v_min_u32_e32 v98, s40, v111
	v_add_u32_e32 v114, 0x100, v111
	v_lshl_add_u64 v[16:17], v[98:99], 1, v[104:105]
	v_min_u32_e32 v98, s40, v114
	v_add_u32_e32 v110, 0x200, v111
	v_lshl_add_u64 v[18:19], v[98:99], 1, v[104:105]
	;; [unrolled: 3-line block ×3, first 2 shown]
	v_min_u32_e32 v98, s40, v97
	global_load_dwordx4 v[28:31], v[16:17], off nt
	global_load_dwordx4 v[24:27], v[18:19], off nt
	v_lshl_add_u64 v[34:35], v[98:99], 1, v[104:105]
	global_load_dwordx4 v[20:23], v[32:33], off nt
	global_load_dwordx4 v[16:19], v[34:35], off nt
	v_cmp_gt_u32_e32 vcc, s20, v111
	v_mov_b32_e32 v94, 0
	v_mov_b32_e32 v95, 0
	v_mov_b32_e32 v92, 0
	v_mov_b32_e32 v93, 0
	v_mov_b32_e32 v82, 0
	v_mov_b32_e32 v83, 0
	v_mov_b32_e32 v80, 0
	v_mov_b32_e32 v81, 0
	v_mov_b32_e32 v42, 0
	v_mov_b32_e32 v43, 0
	v_mov_b32_e32 v40, 0
	v_mov_b32_e32 v41, 0
	v_mov_b32_e32 v34, 0
	v_mov_b32_e32 v35, 0
	v_mov_b32_e32 v32, 0
	v_mov_b32_e32 v33, 0
	v_mov_b32_e32 v86, 0
	v_mov_b32_e32 v87, 0
	v_mov_b32_e32 v84, 0
	v_mov_b32_e32 v85, 0
	v_mov_b32_e32 v70, 0
	v_mov_b32_e32 v71, 0
	v_mov_b32_e32 v68, 0
	v_mov_b32_e32 v69, 0
	v_mov_b32_e32 v50, 0
	v_mov_b32_e32 v51, 0
	v_mov_b32_e32 v48, 0
	v_mov_b32_e32 v49, 0
	v_mov_b32_e32 v38, 0
	v_mov_b32_e32 v39, 0
	v_mov_b32_e32 v36, 0
	v_mov_b32_e32 v37, 0
	v_mov_b32_e32 v74, 0
	v_mov_b32_e32 v75, 0
	v_mov_b32_e32 v72, 0
	v_mov_b32_e32 v73, 0
	v_mov_b32_e32 v62, 0
	v_mov_b32_e32 v63, 0
	v_mov_b32_e32 v60, 0
	v_mov_b32_e32 v61, 0
	v_mov_b32_e32 v66, 0
	v_mov_b32_e32 v67, 0
	v_mov_b32_e32 v64, 0
	v_mov_b32_e32 v65, 0
	v_mov_b32_e32 v58, 0
	v_mov_b32_e32 v59, 0
	v_mov_b32_e32 v56, 0
	v_mov_b32_e32 v57, 0
	v_mov_b32_e32 v46, 0
	v_mov_b32_e32 v47, 0
	v_mov_b32_e32 v44, 0
	v_mov_b32_e32 v45, 0
	v_mov_b32_e32 v54, 0
	v_mov_b32_e32 v55, 0
	v_mov_b32_e32 v52, 0
	v_mov_b32_e32 v53, 0
	v_mov_b32_e32 v78, 0
	v_mov_b32_e32 v79, 0
	v_mov_b32_e32 v76, 0
	v_mov_b32_e32 v77, 0
	v_mov_b32_e32 v90, 0
	v_mov_b32_e32 v91, 0
	v_mov_b32_e32 v88, 0
	v_mov_b32_e32 v89, 0
	s_and_saveexec_b64 s[28:29], vcc
	s_cbranch_execz .LBB250_12
; %bb.24:                               ;   in Loop: Header=BB250_14 Depth=2
	v_subrev_u32_e32 v32, s52, v111
	v_lshlrev_b32_e32 v113, 1, v32
	v_add_u32_e32 v112, s49, v113
	v_add_u32_e32 v111, s49, v112
	ds_read_b128 v[88:91], v113
	ds_read_b128 v[56:59], v112
	v_add_u32_e32 v98, s49, v111
	ds_read_b128 v[36:39], v111
	ds_read_b128 v[32:35], v98
	v_cmp_gt_u32_e32 vcc, s20, v114
	v_mov_b32_e32 v77, 0
	v_mov_b32_e32 v76, 0
	;; [unrolled: 1-line block ×48, first 2 shown]
	s_and_saveexec_b64 s[30:31], vcc
	s_cbranch_execz .LBB250_11
; %bb.25:                               ;   in Loop: Header=BB250_14 Depth=2
	ds_read_b128 v[76:79], v113 offset:512
	ds_read_b128 v[64:67], v112 offset:512
	;; [unrolled: 1-line block ×4, first 2 shown]
	v_cmp_gt_u32_e32 vcc, s20, v110
	v_mov_b32_e32 v53, 0
	v_mov_b32_e32 v52, 0
	;; [unrolled: 1-line block ×32, first 2 shown]
	s_and_saveexec_b64 s[34:35], vcc
	s_cbranch_execz .LBB250_10
; %bb.26:                               ;   in Loop: Header=BB250_14 Depth=2
	ds_read_b128 v[52:55], v113 offset:1024
	ds_read_b128 v[60:63], v112 offset:1024
	;; [unrolled: 1-line block ×4, first 2 shown]
	v_cmp_gt_u32_e32 vcc, s20, v97
	v_mov_b32_e32 v45, 0
	v_mov_b32_e32 v44, 0
	;; [unrolled: 1-line block ×16, first 2 shown]
	s_and_saveexec_b64 s[36:37], vcc
	s_cbranch_execz .LBB250_9
; %bb.27:                               ;   in Loop: Header=BB250_14 Depth=2
	ds_read_b128 v[44:47], v113 offset:1536
	ds_read_b128 v[72:75], v112 offset:1536
	;; [unrolled: 1-line block ×4, first 2 shown]
	s_branch .LBB250_9
.LBB250_28:                             ;   in Loop: Header=BB250_7 Depth=1
	v_cmp_le_u32_e32 vcc, s23, v96
                                        ; implicit-def: $vgpr16
	s_and_saveexec_b64 s[6:7], vcc
	s_xor_b64 s[6:7], exec, s[6:7]
; %bb.29:                               ;   in Loop: Header=BB250_7 Depth=1
	v_add_u32_e32 v16, s42, v96
                                        ; implicit-def: $vgpr96
                                        ; implicit-def: $vgpr3
                                        ; implicit-def: $vgpr7
                                        ; implicit-def: $vgpr11
                                        ; implicit-def: $vgpr15
; %bb.30:                               ;   in Loop: Header=BB250_7 Depth=1
	s_andn2_saveexec_b64 s[8:9], s[6:7]
	s_cbranch_execz .LBB250_6
; %bb.31:                               ;   in Loop: Header=BB250_7 Depth=1
	v_cvt_i32_f32_e32 v13, v13
	v_cvt_i32_f32_e32 v14, v14
	;; [unrolled: 1-line block ×4, first 2 shown]
	v_cvt_f32_i32_dpp v13, v13 row_shl:1 row_mask:0xf bank_mask:0xf bound_ctrl:1
	v_cvt_f32_i32_dpp v14, v14 row_shl:2 row_mask:0xf bank_mask:0xf bound_ctrl:1
	v_cvt_i32_f32_e32 v10, v10
	v_cvt_f32_i32_dpp v15, v15 row_shl:3 row_mask:0xf bank_mask:0xf bound_ctrl:1
	v_cvt_i32_f32_e32 v11, v11
	v_cvt_i32_f32_e32 v5, v5
	v_add_f32_e32 v12, v12, v13
	v_cvt_f32_i32_dpp v9, v9 row_shl:1 row_mask:0xf bank_mask:0xf bound_ctrl:1
	v_cvt_i32_f32_e32 v1, v1
	v_add_f32_e32 v12, v12, v14
	v_cvt_f32_i32_dpp v10, v10 row_shl:2 row_mask:0xf bank_mask:0xf bound_ctrl:1
	v_cvt_i32_f32_e32 v6, v6
	v_cvt_i32_f32_e32 v2, v2
	v_add_f32_e32 v12, v12, v15
	v_cvt_f32_i32_dpp v11, v11 row_shl:3 row_mask:0xf bank_mask:0xf bound_ctrl:1
	v_cvt_f32_i32_dpp v5, v5 row_shl:1 row_mask:0xf bank_mask:0xf bound_ctrl:1
	v_cvt_i32_f32_e32 v7, v7
	v_cvt_i32_f32_e32 v3, v3
	;; [unrolled: 1-line block ×3, first 2 shown]
	v_add_f32_e32 v8, v8, v9
	v_cvt_f32_i32_dpp v1, v1 row_shl:1 row_mask:0xf bank_mask:0xf bound_ctrl:1
	v_add_f32_e32 v8, v8, v10
	v_cvt_f32_i32_dpp v6, v6 row_shl:2 row_mask:0xf bank_mask:0xf bound_ctrl:1
	v_cvt_f32_i32_dpp v2, v2 row_shl:2 row_mask:0xf bank_mask:0xf bound_ctrl:1
	v_add_f32_e32 v8, v8, v11
	v_add_f32_e32 v4, v4, v5
	v_cvt_f32_i32_dpp v5, v7 row_shl:3 row_mask:0xf bank_mask:0xf bound_ctrl:1
	v_cvt_f32_i32_dpp v3, v3 row_shl:3 row_mask:0xf bank_mask:0xf bound_ctrl:1
	;; [unrolled: 1-line block ×3, first 2 shown]
	v_cvt_i32_f32_e32 v10, v8
	v_add_f32_e32 v0, v0, v1
	v_add_f32_e32 v4, v4, v6
	;; [unrolled: 1-line block ×6, first 2 shown]
	v_cvt_f32_i32_dpp v10, v10 row_shl:4 row_mask:0xf bank_mask:0xf bound_ctrl:1
	v_cvt_i32_f32_e32 v5, v4
	v_cvt_i32_f32_e32 v1, v0
	;; [unrolled: 1-line block ×3, first 2 shown]
	v_add_f32_e32 v8, v8, v10
	v_cvt_f32_i32_dpp v3, v5 row_shl:4 row_mask:0xf bank_mask:0xf bound_ctrl:1
	v_cvt_f32_i32_dpp v1, v1 row_shl:4 row_mask:0xf bank_mask:0xf bound_ctrl:1
	;; [unrolled: 1-line block ×3, first 2 shown]
	v_cvt_i32_f32_e32 v10, v8
	v_add_f32_e32 v3, v4, v3
	v_add_f32_e32 v0, v0, v1
	;; [unrolled: 1-line block ×3, first 2 shown]
	v_cvt_f32_i32_dpp v2, v10 row_shl:8 row_mask:0xf bank_mask:0xf bound_ctrl:1
	v_cvt_i32_f32_e32 v4, v3
	v_cvt_i32_f32_e32 v1, v0
	;; [unrolled: 1-line block ×3, first 2 shown]
	v_add_f32_e32 v2, v8, v2
	v_cvt_f32_i32_dpp v4, v4 row_shl:8 row_mask:0xf bank_mask:0xf bound_ctrl:1
	v_cvt_f32_i32_dpp v1, v1 row_shl:8 row_mask:0xf bank_mask:0xf bound_ctrl:1
	v_cvt_f32_i32_dpp v5, v9 row_shr:15 row_mask:0xf bank_mask:0xf bound_ctrl:1
	v_cvt_i32_f32_e32 v2, v2
	v_add_f32_e32 v3, v3, v4
	v_add_f32_e32 v0, v0, v1
	v_cvt_i32_f32_e32 v6, v5
	v_cvt_f32_i32_dpp v2, v2 row_shr:15 row_mask:0xf bank_mask:0xf bound_ctrl:1
	v_cvt_i32_f32_e32 v3, v3
	v_cvt_i32_f32_e32 v0, v0
	v_cvt_f32_i32_dpp v1, v6 row_bcast:15 row_mask:0xf bank_mask:0xf bound_ctrl:1
	v_cvt_i32_f32_e32 v4, v2
	v_cvt_f32_i32_dpp v3, v3 row_shr:15 row_mask:0xf bank_mask:0xf bound_ctrl:1
	v_cvt_f32_i32_dpp v0, v0 row_shr:15 row_mask:0xf bank_mask:0xf bound_ctrl:1
	v_add_f32_e32 v8, v5, v1
	v_cvt_f32_i32_dpp v4, v4 row_bcast:15 row_mask:0xf bank_mask:0xf bound_ctrl:1
	v_cvt_i32_f32_e32 v1, v3
	v_cvt_i32_f32_e32 v6, v0
	;; [unrolled: 1-line block ×3, first 2 shown]
	v_add_f32_e32 v5, v2, v4
	v_cvt_f32_i32_dpp v1, v1 row_bcast:15 row_mask:0xf bank_mask:0xf bound_ctrl:1
	v_cvt_f32_i32_dpp v4, v6 row_bcast:15 row_mask:0xf bank_mask:0xf bound_ctrl:1
	v_cvt_i32_f32_e32 v6, v5
	v_mov_b32_dpp v9, v7 row_bcast:31 row_mask:0xf bank_mask:0xf bound_ctrl:1
	v_add_f32_e32 v2, v3, v1
	v_add_f32_e32 v0, v0, v4
	v_cvt_i32_f32_e32 v1, v2
	v_cvt_i32_f32_e32 v3, v0
	v_mov_b32_dpp v7, v6 row_bcast:31 row_mask:0xf bank_mask:0xf bound_ctrl:1
	v_mov_b32_dpp v4, v1 row_bcast:31 row_mask:0xf bank_mask:0xf bound_ctrl:1
	;; [unrolled: 1-line block ×3, first 2 shown]
	s_and_saveexec_b64 s[6:7], s[0:1]
	s_cbranch_execz .LBB250_52
; %bb.32:                               ;   in Loop: Header=BB250_7 Depth=1
	s_andn2_b64 vcc, exec, s[26:27]
	v_mov_b32_e32 v3, 0
	v_mov_b32_e32 v6, 0
	;; [unrolled: 1-line block ×4, first 2 shown]
	s_cbranch_vccnz .LBB250_34
; %bb.33:                               ;   in Loop: Header=BB250_7 Depth=1
	v_mul_hi_u32 v3, v96, v107
	v_mul_lo_u32 v3, v3, s12
	v_sub_u32_e32 v3, v96, v3
	v_subrev_u32_e32 v6, s12, v3
	v_cmp_le_u32_e32 vcc, s12, v3
	v_mov_b32_e32 v11, v99
	s_nop 0
	v_cndmask_b32_e32 v3, v3, v6, vcc
	v_subrev_u32_e32 v6, s12, v3
	v_cmp_le_u32_e32 vcc, s12, v3
	s_nop 1
	v_cndmask_b32_e32 v98, v3, v6, vcc
	v_add_u32_e32 v10, s43, v98
	v_lshl_add_u64 v[12:13], v[98:99], 1, s[18:19]
	v_lshl_add_u64 v[14:15], v[10:11], 1, s[18:19]
	v_add_u32_e32 v10, s44, v98
	v_add_u32_e32 v98, s45, v98
	v_lshl_add_u64 v[16:17], v[10:11], 1, s[18:19]
	v_lshl_add_u64 v[18:19], v[98:99], 1, s[18:19]
	global_load_ushort v11, v[12:13], off
	global_load_ushort v10, v[14:15], off
	;; [unrolled: 1-line block ×4, first 2 shown]
.LBB250_34:                             ;   in Loop: Header=BB250_7 Depth=1
	v_cmp_ne_u32_e32 vcc, 0, v101
	s_and_b64 exec, exec, vcc
	s_cbranch_execz .LBB250_52
; %bb.35:                               ;   in Loop: Header=BB250_7 Depth=1
	v_cvt_f32_i32_e32 v9, v9
	v_add_f32_e32 v8, v8, v9
	s_waitcnt vmcnt(3)
	v_lshlrev_b32_e32 v9, 16, v11
	v_add_f32_e32 v9, v8, v9
	v_and_b32_e32 v8, 0x7f800000, v9
	v_cmp_ne_u32_e32 vcc, s50, v8
                                        ; implicit-def: $vgpr8
	s_and_saveexec_b64 s[28:29], vcc
	s_xor_b64 s[28:29], exec, s[28:29]
; %bb.36:                               ;   in Loop: Header=BB250_7 Depth=1
	v_bfe_u32 v8, v9, 16, 1
	v_add3_u32 v8, v9, v8, s51
                                        ; implicit-def: $vgpr9
; %bb.37:                               ;   in Loop: Header=BB250_7 Depth=1
	s_andn2_saveexec_b64 s[28:29], s[28:29]
; %bb.38:                               ;   in Loop: Header=BB250_7 Depth=1
	v_or_b32_e32 v8, 0x10000, v9
	v_cmp_eq_u32_sdwa vcc, v9, v99 src0_sel:WORD_0 src1_sel:DWORD
	s_nop 1
	v_cndmask_b32_e32 v8, v8, v9, vcc
; %bb.39:                               ;   in Loop: Header=BB250_7 Depth=1
	s_or_b64 exec, exec, s[28:29]
	v_cvt_f32_i32_e32 v7, v7
	v_mov_b32_e32 v97, v99
	s_waitcnt lgkmcnt(0)
	v_lshl_add_u64 v[12:13], v[96:97], 1, s[10:11]
	global_store_short_d16_hi v[12:13], v8, off
	v_add_f32_e32 v5, v5, v7
	s_waitcnt vmcnt(3)
	v_lshlrev_b32_e32 v7, 16, v10
	v_add_f32_e32 v7, v5, v7
	v_and_b32_e32 v5, 0x7f800000, v7
	v_cmp_ne_u32_e32 vcc, s50, v5
                                        ; implicit-def: $vgpr5
	s_and_saveexec_b64 s[28:29], vcc
	s_xor_b64 s[28:29], exec, s[28:29]
; %bb.40:                               ;   in Loop: Header=BB250_7 Depth=1
	v_bfe_u32 v5, v7, 16, 1
	v_add3_u32 v5, v7, v5, s51
                                        ; implicit-def: $vgpr7
; %bb.41:                               ;   in Loop: Header=BB250_7 Depth=1
	s_andn2_saveexec_b64 s[28:29], s[28:29]
; %bb.42:                               ;   in Loop: Header=BB250_7 Depth=1
	v_or_b32_e32 v5, 0x10000, v7
	v_cmp_eq_u32_sdwa vcc, v7, v99 src0_sel:WORD_0 src1_sel:DWORD
	s_nop 1
	v_cndmask_b32_e32 v5, v5, v7, vcc
; %bb.43:                               ;   in Loop: Header=BB250_7 Depth=1
	s_or_b64 exec, exec, s[28:29]
	v_cvt_f32_i32_e32 v4, v4
	v_add_u32_e32 v98, s23, v96
	v_lshl_add_u64 v[8:9], v[98:99], 1, s[10:11]
	global_store_short_d16_hi v[8:9], v5, off
	v_add_f32_e32 v2, v2, v4
	s_waitcnt vmcnt(3)
	v_lshlrev_b32_e32 v4, 16, v6
	v_add_f32_e32 v4, v2, v4
	v_and_b32_e32 v2, 0x7f800000, v4
	v_cmp_ne_u32_e32 vcc, s50, v2
                                        ; implicit-def: $vgpr2
	s_and_saveexec_b64 s[28:29], vcc
	s_xor_b64 s[28:29], exec, s[28:29]
; %bb.44:                               ;   in Loop: Header=BB250_7 Depth=1
	v_bfe_u32 v2, v4, 16, 1
	v_add3_u32 v2, v4, v2, s51
                                        ; implicit-def: $vgpr4
; %bb.45:                               ;   in Loop: Header=BB250_7 Depth=1
	s_andn2_saveexec_b64 s[28:29], s[28:29]
; %bb.46:                               ;   in Loop: Header=BB250_7 Depth=1
	v_or_b32_e32 v2, 0x10000, v4
	v_cmp_eq_u32_sdwa vcc, v4, v99 src0_sel:WORD_0 src1_sel:DWORD
	s_nop 1
	v_cndmask_b32_e32 v2, v2, v4, vcc
; %bb.47:                               ;   in Loop: Header=BB250_7 Depth=1
	s_or_b64 exec, exec, s[28:29]
	v_cvt_f32_i32_e32 v1, v1
	v_add_u32_e32 v98, s23, v98
	v_lshl_add_u64 v[4:5], v[98:99], 1, s[10:11]
	global_store_short_d16_hi v[4:5], v2, off
	v_add_f32_e32 v0, v0, v1
	s_waitcnt vmcnt(3)
	v_lshlrev_b32_e32 v1, 16, v3
	v_add_f32_e32 v1, v0, v1
	v_and_b32_e32 v0, 0x7f800000, v1
	v_cmp_ne_u32_e32 vcc, s50, v0
                                        ; implicit-def: $vgpr0
	s_and_saveexec_b64 s[28:29], vcc
	s_xor_b64 s[28:29], exec, s[28:29]
; %bb.48:                               ;   in Loop: Header=BB250_7 Depth=1
	v_bfe_u32 v0, v1, 16, 1
	v_add3_u32 v0, v1, v0, s51
                                        ; implicit-def: $vgpr1
; %bb.49:                               ;   in Loop: Header=BB250_7 Depth=1
	s_andn2_saveexec_b64 s[28:29], s[28:29]
; %bb.50:                               ;   in Loop: Header=BB250_7 Depth=1
	v_or_b32_e32 v0, 0x10000, v1
	v_cmp_eq_u32_sdwa vcc, v1, v99 src0_sel:WORD_0 src1_sel:DWORD
	s_nop 1
	v_cndmask_b32_e32 v0, v0, v1, vcc
; %bb.51:                               ;   in Loop: Header=BB250_7 Depth=1
	s_or_b64 exec, exec, s[28:29]
	v_add_u32_e32 v98, s23, v98
	v_lshl_add_u64 v[2:3], v[98:99], 1, s[10:11]
	global_store_short_d16_hi v[2:3], v0, off
.LBB250_52:                             ;   in Loop: Header=BB250_7 Depth=1
	s_or_b64 exec, exec, s[6:7]
	v_add_u32_e32 v16, s42, v96
	v_add_u32_e32 v0, 1, v16
	v_cmp_gt_u32_e32 vcc, s23, v16
	v_cmp_le_u32_e64 s[6:7], s23, v0
	s_and_b64 s[28:29], vcc, s[6:7]
	s_and_saveexec_b64 s[6:7], s[28:29]
	s_cbranch_execz .LBB250_5
; %bb.53:                               ;   in Loop: Header=BB250_7 Depth=1
	v_add_u32_e32 v0, s13, v96
	v_cmp_eq_u32_e32 vcc, 1, v0
	v_mov_b32_e32 v16, s41
	s_nop 0
	v_cndmask_b32_e32 v101, 0, v101, vcc
	s_branch .LBB250_5
.LBB250_54:
	s_endpgm
	.section	.rodata,"a",@progbits
	.p2align	6, 0x0
	.amdhsa_kernel _Z16wvSplitK_hf_big_I14__hip_bfloat16Li32ELi1ELi16ELi8ELi4ELi4EEviiiiiiPKT_S3_S3_PS1_ii
		.amdhsa_group_segment_fixed_size 65536
		.amdhsa_private_segment_fixed_size 0
		.amdhsa_kernarg_size 64
		.amdhsa_user_sgpr_count 2
		.amdhsa_user_sgpr_dispatch_ptr 0
		.amdhsa_user_sgpr_queue_ptr 0
		.amdhsa_user_sgpr_kernarg_segment_ptr 1
		.amdhsa_user_sgpr_dispatch_id 0
		.amdhsa_user_sgpr_kernarg_preload_length 0
		.amdhsa_user_sgpr_kernarg_preload_offset 0
		.amdhsa_user_sgpr_private_segment_size 0
		.amdhsa_uses_dynamic_stack 0
		.amdhsa_enable_private_segment 0
		.amdhsa_system_sgpr_workgroup_id_x 1
		.amdhsa_system_sgpr_workgroup_id_y 0
		.amdhsa_system_sgpr_workgroup_id_z 0
		.amdhsa_system_sgpr_workgroup_info 0
		.amdhsa_system_vgpr_workitem_id 1
		.amdhsa_next_free_vgpr 115
		.amdhsa_next_free_sgpr 54
		.amdhsa_accum_offset 116
		.amdhsa_reserve_vcc 1
		.amdhsa_float_round_mode_32 0
		.amdhsa_float_round_mode_16_64 0
		.amdhsa_float_denorm_mode_32 3
		.amdhsa_float_denorm_mode_16_64 3
		.amdhsa_dx10_clamp 1
		.amdhsa_ieee_mode 1
		.amdhsa_fp16_overflow 0
		.amdhsa_tg_split 0
		.amdhsa_exception_fp_ieee_invalid_op 0
		.amdhsa_exception_fp_denorm_src 0
		.amdhsa_exception_fp_ieee_div_zero 0
		.amdhsa_exception_fp_ieee_overflow 0
		.amdhsa_exception_fp_ieee_underflow 0
		.amdhsa_exception_fp_ieee_inexact 0
		.amdhsa_exception_int_div_zero 0
	.end_amdhsa_kernel
	.section	.text._Z16wvSplitK_hf_big_I14__hip_bfloat16Li32ELi1ELi16ELi8ELi4ELi4EEviiiiiiPKT_S3_S3_PS1_ii,"axG",@progbits,_Z16wvSplitK_hf_big_I14__hip_bfloat16Li32ELi1ELi16ELi8ELi4ELi4EEviiiiiiPKT_S3_S3_PS1_ii,comdat
.Lfunc_end250:
	.size	_Z16wvSplitK_hf_big_I14__hip_bfloat16Li32ELi1ELi16ELi8ELi4ELi4EEviiiiiiPKT_S3_S3_PS1_ii, .Lfunc_end250-_Z16wvSplitK_hf_big_I14__hip_bfloat16Li32ELi1ELi16ELi8ELi4ELi4EEviiiiiiPKT_S3_S3_PS1_ii
                                        ; -- End function
	.section	.AMDGPU.csdata,"",@progbits
; Kernel info:
; codeLenInByte = 3640
; NumSgprs: 60
; NumVgprs: 115
; NumAgprs: 0
; TotalNumVgprs: 115
; ScratchSize: 0
; MemoryBound: 0
; FloatMode: 240
; IeeeMode: 1
; LDSByteSize: 65536 bytes/workgroup (compile time only)
; SGPRBlocks: 7
; VGPRBlocks: 14
; NumSGPRsForWavesPerEU: 60
; NumVGPRsForWavesPerEU: 115
; AccumOffset: 116
; Occupancy: 2
; WaveLimiterHint : 0
; COMPUTE_PGM_RSRC2:SCRATCH_EN: 0
; COMPUTE_PGM_RSRC2:USER_SGPR: 2
; COMPUTE_PGM_RSRC2:TRAP_HANDLER: 0
; COMPUTE_PGM_RSRC2:TGID_X_EN: 1
; COMPUTE_PGM_RSRC2:TGID_Y_EN: 0
; COMPUTE_PGM_RSRC2:TGID_Z_EN: 0
; COMPUTE_PGM_RSRC2:TIDIG_COMP_CNT: 1
; COMPUTE_PGM_RSRC3_GFX90A:ACCUM_OFFSET: 28
; COMPUTE_PGM_RSRC3_GFX90A:TG_SPLIT: 0
	.section	.text._Z16wvSplitK_hf_sml_I14__hip_bfloat16Li32ELi2ELi16ELi8ELi2ELi4EEviiiiiiPKT_S3_S3_PS1_ii,"axG",@progbits,_Z16wvSplitK_hf_sml_I14__hip_bfloat16Li32ELi2ELi16ELi8ELi2ELi4EEviiiiiiPKT_S3_S3_PS1_ii,comdat
	.protected	_Z16wvSplitK_hf_sml_I14__hip_bfloat16Li32ELi2ELi16ELi8ELi2ELi4EEviiiiiiPKT_S3_S3_PS1_ii ; -- Begin function _Z16wvSplitK_hf_sml_I14__hip_bfloat16Li32ELi2ELi16ELi8ELi2ELi4EEviiiiiiPKT_S3_S3_PS1_ii
	.globl	_Z16wvSplitK_hf_sml_I14__hip_bfloat16Li32ELi2ELi16ELi8ELi2ELi4EEviiiiiiPKT_S3_S3_PS1_ii
	.p2align	8
	.type	_Z16wvSplitK_hf_sml_I14__hip_bfloat16Li32ELi2ELi16ELi8ELi2ELi4EEviiiiiiPKT_S3_S3_PS1_ii,@function
_Z16wvSplitK_hf_sml_I14__hip_bfloat16Li32ELi2ELi16ELi8ELi2ELi4EEviiiiiiPKT_S3_S3_PS1_ii: ; @_Z16wvSplitK_hf_sml_I14__hip_bfloat16Li32ELi2ELi16ELi8ELi2ELi4EEviiiiiiPKT_S3_S3_PS1_ii
; %bb.0:
	s_load_dwordx4 s[4:7], s[0:1], 0x0
	v_and_b32_e32 v4, 0x3ff, v0
	v_bfe_u32 v5, v0, 10, 10
	v_lshlrev_b32_e32 v88, 3, v4
	v_lshl_add_u32 v6, v5, 8, v88
	s_waitcnt lgkmcnt(0)
	s_lshl_b32 s24, s6, 2
	s_min_u32 s3, s24, 0x8000
	v_cmp_gt_u32_e32 vcc, s3, v6
	s_and_saveexec_b64 s[8:9], vcc
	s_cbranch_execz .LBB251_9
; %bb.1:
	s_load_dwordx2 s[10:11], s[0:1], 0x20
	v_lshlrev_b32_e32 v0, 1, v6
	v_add_u32_e32 v1, 0x1000, v6
	v_cmp_gt_u32_e32 vcc, s3, v1
	s_waitcnt lgkmcnt(0)
	global_load_dwordx4 v[8:11], v0, s[10:11]
	s_waitcnt vmcnt(0)
	ds_write_b128 v0, v[8:11]
	s_and_saveexec_b64 s[12:13], vcc
	s_xor_b64 s[12:13], exec, s[12:13]
	s_cbranch_execz .LBB251_9
; %bb.2:
	v_mov_b32_e32 v1, 0
	v_lshl_add_u64 v[2:3], s[10:11], 0, v[0:1]
	v_add_co_u32_e32 v8, vcc, 0x2000, v2
	v_add_u32_e32 v1, 0x2000, v6
	s_nop 0
	v_addc_co_u32_e32 v9, vcc, 0, v3, vcc
	global_load_dwordx4 v[8:11], v[8:9], off
	v_cmp_gt_u32_e32 vcc, s3, v1
	s_waitcnt vmcnt(0)
	ds_write_b128 v0, v[8:11] offset:8192
	s_and_saveexec_b64 s[10:11], vcc
	s_xor_b64 s[10:11], exec, s[10:11]
	s_cbranch_execz .LBB251_9
; %bb.3:
	v_add_co_u32_e32 v8, vcc, 0x4000, v2
	v_add_u32_e32 v1, 0x3000, v6
	s_nop 0
	v_addc_co_u32_e32 v9, vcc, 0, v3, vcc
	global_load_dwordx4 v[8:11], v[8:9], off
	v_cmp_gt_u32_e32 vcc, s3, v1
	s_waitcnt vmcnt(0)
	ds_write_b128 v0, v[8:11] offset:16384
	s_and_saveexec_b64 s[10:11], vcc
	s_xor_b64 s[10:11], exec, s[10:11]
	s_cbranch_execz .LBB251_9
; %bb.4:
	;; [unrolled: 12-line block ×6, first 2 shown]
	v_add_co_u32_e32 v2, vcc, 0xe000, v2
	s_nop 1
	v_addc_co_u32_e32 v3, vcc, 0, v3, vcc
	global_load_dwordx4 v[6:9], v[2:3], off
	s_waitcnt vmcnt(0)
	ds_write_b128 v0, v[6:9] offset:57344
.LBB251_9:
	s_or_b64 exec, exec, s[8:9]
	s_load_dwordx2 s[16:17], s[0:1], 0x38
	s_waitcnt lgkmcnt(0)
	s_barrier
	v_cmp_gt_u32_e32 vcc, s16, v5
	s_and_saveexec_b64 s[8:9], vcc
	s_cbranch_execz .LBB251_56
; %bb.10:
	s_load_dwordx2 s[12:13], s[0:1], 0x10
	s_mul_i32 s2, s2, s16
	v_add_lshl_u32 v72, s2, v5, 1
	v_cmp_gt_u32_e32 vcc, s7, v72
	s_and_b64 exec, exec, vcc
	s_cbranch_execz .LBB251_56
; %bb.11:
	s_load_dwordx4 s[8:11], s[0:1], 0x28
	s_load_dwordx2 s[14:15], s[0:1], 0x18
	s_cmp_lg_u32 s4, 0
	s_cselect_b64 s[2:3], -1, 0
	s_add_i32 s25, s4, -8
	s_add_i32 s26, s7, -1
	s_waitcnt lgkmcnt(0)
	s_cmp_lg_u64 s[8:9], 0
	s_cselect_b64 s[18:19], -1, 0
	s_abs_i32 s21, s13
	v_cvt_f32_u32_e32 v0, s12
	v_cvt_f32_u32_e32 v1, s21
	s_mul_i32 s20, s16, s17
	s_lshl_b32 s13, s20, 1
	v_rcp_iflag_f32_e32 v0, v0
	v_rcp_iflag_f32_e32 v1, v1
	s_sub_i32 s20, 0, s12
	v_cmp_eq_u32_e64 s[0:1], 31, v4
	v_mul_f32_e32 v0, 0x4f7ffffe, v0
	v_mul_f32_e32 v1, 0x4f7ffffe, v1
	v_cvt_u32_f32_e32 v0, v0
	v_cvt_u32_f32_e32 v1, v1
	s_mov_b64 s[16:17], 0
	v_mov_b32_e32 v75, 0
	v_mul_lo_u32 v2, s20, v0
	s_sub_i32 s20, 0, s21
	v_readfirstlane_b32 s22, v1
	s_mul_i32 s20, s20, s22
	s_mul_hi_u32 s20, s22, s20
	s_add_i32 s22, s22, s20
	s_sub_i32 s20, 1, s21
	s_cmp_lt_u32 s21, 2
	s_cselect_b32 s20, s20, 1
	s_sub_i32 s23, s20, s21
	s_cmp_ge_u32 s20, s21
	s_cselect_b32 s27, s23, s20
	s_lshr_b32 s20, s22, 31
	s_mul_i32 s20, s20, s21
	s_sub_i32 s20, 2, s20
	s_sub_i32 s23, s20, s21
	s_cmp_ge_u32 s20, s21
	s_cselect_b32 s20, s23, s20
	s_sub_i32 s23, s20, s21
	s_cmp_ge_u32 s20, s21
	s_cselect_b32 s28, s23, s20
	s_mul_hi_u32 s20, s22, 3
	s_mul_i32 s20, s20, s21
	s_sub_i32 s20, 3, s20
	s_sub_i32 s22, s20, s21
	s_cmp_ge_u32 s20, s21
	s_cselect_b32 s20, s22, s20
	s_sub_i32 s22, s20, s21
	v_mul_hi_u32 v2, v0, v2
	s_cmp_ge_u32 s20, s21
	v_add_u32_e32 v89, v0, v2
	s_cselect_b32 s29, s22, s20
	v_cndmask_b32_e64 v0, 0, 1, s[2:3]
	s_mul_i32 s27, s27, s12
	s_mul_i32 s28, s28, s12
	;; [unrolled: 1-line block ×4, first 2 shown]
	v_lshlrev_b32_e32 v90, 4, v4
	s_lshl_b32 s6, s6, 1
	v_cmp_ne_u32_e64 s[2:3], 1, v0
	s_mov_b32 s31, 0x7f800000
	s_movk_i32 s33, 0x7fff
	s_branch .LBB251_14
.LBB251_12:                             ;   in Loop: Header=BB251_14 Depth=1
	s_or_b64 exec, exec, s[22:23]
	v_add_u32_e32 v74, 1, v74
	v_lshl_add_u64 v[2:3], v[74:75], 1, s[10:11]
	global_store_short_d16_hi v[2:3], v0, off
.LBB251_13:                             ;   in Loop: Header=BB251_14 Depth=1
	s_or_b64 exec, exec, s[20:21]
	v_add_u32_e32 v72, s13, v72
	v_cmp_le_u32_e32 vcc, s7, v72
	s_or_b64 s[16:17], vcc, s[16:17]
	s_andn2_b64 exec, exec, s[16:17]
	s_cbranch_execz .LBB251_56
.LBB251_14:                             ; =>This Loop Header: Depth=1
                                        ;     Child Loop BB251_18 Depth 2
	s_and_b64 vcc, exec, s[2:3]
	v_mov_b32_e32 v7, v75
	v_mov_b32_e32 v6, v75
	;; [unrolled: 1-line block ×32, first 2 shown]
	s_cbranch_vccnz .LBB251_21
; %bb.15:                               ;   in Loop: Header=BB251_14 Depth=1
	v_min_u32_e32 v0, s26, v72
	v_mul_lo_u32 v74, v0, s5
	v_or_b32_e32 v0, 1, v72
	v_min_u32_e32 v0, s26, v0
	v_mul_lo_u32 v0, v0, s5
	v_mov_b32_e32 v1, v75
	v_mov_b32_e32 v16, 0
	s_mov_b32 s34, 0
	v_lshlrev_b64 v[76:77], 1, v[74:75]
	v_lshlrev_b64 v[78:79], 1, v[0:1]
	v_mov_b32_e32 v73, v90
	v_mov_b32_e32 v17, v16
	;; [unrolled: 1-line block ×32, first 2 shown]
	s_branch .LBB251_18
.LBB251_16:                             ;   in Loop: Header=BB251_18 Depth=2
	s_or_b64 exec, exec, s[22:23]
.LBB251_17:                             ;   in Loop: Header=BB251_18 Depth=2
	s_or_b64 exec, exec, s[20:21]
	s_waitcnt vmcnt(3) lgkmcnt(4)
	v_mfma_f32_4x4x4_16b_bf16 v[28:31], v[68:69], v[48:49], v[28:31]
	s_addk_i32 s34, 0x200
	s_waitcnt vmcnt(2)
	v_mfma_f32_4x4x4_16b_bf16 v[24:27], v[68:69], v[44:45], v[24:27]
	v_add_u32_e32 v73, 0x400, v73
	s_waitcnt lgkmcnt(3)
	v_mfma_f32_4x4x4_16b_bf16 v[20:23], v[64:65], v[48:49], v[20:23]
	s_cmp_ge_u32 s34, s4
	v_mfma_f32_4x4x4_16b_bf16 v[16:19], v[64:65], v[44:45], v[16:19]
	s_waitcnt lgkmcnt(2)
	v_mfma_f32_4x4x4_16b_bf16 v[12:15], v[86:87], v[48:49], v[12:15]
	v_mfma_f32_4x4x4_16b_bf16 v[8:11], v[86:87], v[44:45], v[8:11]
	s_waitcnt lgkmcnt(0)
	v_mfma_f32_4x4x4_16b_bf16 v[0:3], v[52:53], v[48:49], v[0:3]
	v_mfma_f32_4x4x4_16b_bf16 v[4:7], v[52:53], v[44:45], v[4:7]
	;; [unrolled: 1-line block ×10, first 2 shown]
	s_waitcnt vmcnt(1)
	v_mfma_f32_4x4x4_16b_bf16 v[28:31], v[60:61], v[36:37], v[28:31]
	s_waitcnt vmcnt(0)
	v_mfma_f32_4x4x4_16b_bf16 v[24:27], v[60:61], v[32:33], v[24:27]
	v_mfma_f32_4x4x4_16b_bf16 v[20:23], v[56:57], v[36:37], v[20:23]
	;; [unrolled: 1-line block ×15, first 2 shown]
	s_cbranch_scc1 .LBB251_21
.LBB251_18:                             ;   Parent Loop BB251_14 Depth=1
                                        ; =>  This Inner Loop Header: Depth=2
	v_add_u32_e32 v52, s34, v88
	v_min_u32_e32 v74, s25, v52
	v_lshl_add_u64 v[32:33], v[74:75], 1, s[14:15]
	v_add_u32_e32 v91, 0x100, v52
	v_lshl_add_u64 v[34:35], v[32:33], 0, v[76:77]
	v_lshl_add_u64 v[32:33], v[32:33], 0, v[78:79]
	v_min_u32_e32 v74, s25, v91
	global_load_dwordx4 v[48:51], v[34:35], off nt
	global_load_dwordx4 v[44:47], v[32:33], off nt
	v_lshl_add_u64 v[32:33], v[74:75], 1, s[14:15]
	v_lshl_add_u64 v[40:41], v[32:33], 0, v[76:77]
	;; [unrolled: 1-line block ×3, first 2 shown]
	global_load_dwordx4 v[36:39], v[40:41], off nt
	global_load_dwordx4 v[32:35], v[42:43], off nt
	v_cmp_gt_u32_e32 vcc, s4, v52
	v_mov_b32_e32 v42, 0
	v_mov_b32_e32 v43, 0
	;; [unrolled: 1-line block ×32, first 2 shown]
	s_and_saveexec_b64 s[20:21], vcc
	s_cbranch_execz .LBB251_17
; %bb.19:                               ;   in Loop: Header=BB251_18 Depth=2
	v_add_u32_e32 v93, s6, v73
	v_add_u32_e32 v74, s24, v73
	ds_read_b128 v[68:71], v73
	ds_read_b128 v[64:67], v93
	ds_read2_b32 v[86:87], v74 offset1:1
	v_add_u32_e32 v92, s30, v73
	ds_read2_b32 v[84:85], v74 offset0:2 offset1:3
	ds_read_b128 v[52:55], v92
	v_cmp_gt_u32_e32 vcc, s4, v91
	v_mov_b32_e32 v61, 0
	v_mov_b32_e32 v60, 0
	;; [unrolled: 1-line block ×16, first 2 shown]
	s_and_saveexec_b64 s[22:23], vcc
	s_cbranch_execz .LBB251_16
; %bb.20:                               ;   in Loop: Header=BB251_18 Depth=2
	ds_read_b128 v[60:63], v73 offset:512
	ds_read_b128 v[56:59], v93 offset:512
	ds_read2_b32 v[82:83], v74 offset0:128 offset1:129
	ds_read2_b32 v[80:81], v74 offset0:130 offset1:131
	ds_read_b128 v[40:43], v92 offset:512
	s_branch .LBB251_16
.LBB251_21:                             ;   in Loop: Header=BB251_14 Depth=1
	; sched_barrier mask(0x00000000)
	v_cvt_i32_f32_e32 v29, v29
	v_cvt_i32_f32_e32 v30, v30
	;; [unrolled: 1-line block ×4, first 2 shown]
	v_cvt_f32_i32_dpp v29, v29 row_shl:1 row_mask:0xf bank_mask:0xf bound_ctrl:1
	v_cvt_f32_i32_dpp v30, v30 row_shl:2 row_mask:0xf bank_mask:0xf bound_ctrl:1
	;; [unrolled: 1-line block ×3, first 2 shown]
	v_cvt_i32_f32_e32 v26, v26
	v_add_f32_e32 v28, v28, v29
	v_add_f32_e32 v28, v28, v30
	;; [unrolled: 1-line block ×3, first 2 shown]
	v_cvt_i32_f32_e32 v29, v28
	v_cvt_i32_f32_e32 v27, v27
	v_cvt_f32_i32_dpp v25, v25 row_shl:1 row_mask:0xf bank_mask:0xf bound_ctrl:1
	v_cvt_f32_i32_dpp v26, v26 row_shl:2 row_mask:0xf bank_mask:0xf bound_ctrl:1
	;; [unrolled: 1-line block ×4, first 2 shown]
	v_add_f32_e32 v24, v24, v25
	v_cvt_i32_f32_e32 v21, v21
	v_add_f32_e32 v28, v28, v29
	v_cvt_i32_f32_e32 v29, v28
	;; [unrolled: 2-line block ×3, first 2 shown]
	v_add_f32_e32 v24, v24, v27
	v_cvt_f32_i32_dpp v25, v29 row_shl:8 row_mask:0xf bank_mask:0xf bound_ctrl:1
	v_cvt_i32_f32_e32 v23, v23
	v_cvt_i32_f32_e32 v26, v24
	v_cvt_f32_i32_dpp v21, v21 row_shl:1 row_mask:0xf bank_mask:0xf bound_ctrl:1
	v_add_f32_e32 v25, v28, v25
	v_cvt_i32_f32_e32 v25, v25
	v_cvt_f32_i32_dpp v22, v22 row_shl:2 row_mask:0xf bank_mask:0xf bound_ctrl:1
	v_cvt_i32_f32_e32 v17, v17
	v_cvt_f32_i32_dpp v26, v26 row_shl:4 row_mask:0xf bank_mask:0xf bound_ctrl:1
	v_cvt_f32_i32_dpp v23, v23 row_shl:3 row_mask:0xf bank_mask:0xf bound_ctrl:1
	v_cvt_i32_f32_e32 v18, v18
	v_cvt_f32_i32_dpp v25, v25 row_shr:15 row_mask:0xf bank_mask:0xf bound_ctrl:1
	v_cvt_i32_f32_e32 v19, v19
	v_add_f32_e32 v20, v20, v21
	v_add_f32_e32 v20, v20, v22
	v_cvt_f32_i32_dpp v17, v17 row_shl:1 row_mask:0xf bank_mask:0xf bound_ctrl:1
	v_add_f32_e32 v21, v24, v26
	v_add_f32_e32 v22, v20, v23
	v_cvt_f32_i32_dpp v18, v18 row_shl:2 row_mask:0xf bank_mask:0xf bound_ctrl:1
	v_cvt_i32_f32_e32 v24, v21
	v_cvt_i32_f32_e32 v26, v25
	v_cvt_i32_f32_e32 v20, v22
	v_cvt_f32_i32_dpp v19, v19 row_shl:3 row_mask:0xf bank_mask:0xf bound_ctrl:1
	v_add_f32_e32 v16, v16, v17
	v_add_f32_e32 v16, v16, v18
	v_cvt_f32_i32_dpp v23, v24 row_shl:8 row_mask:0xf bank_mask:0xf bound_ctrl:1
	v_cvt_f32_i32_dpp v24, v26 row_bcast:15 row_mask:0xf bank_mask:0xf bound_ctrl:1
	v_cvt_f32_i32_dpp v26, v20 row_shl:4 row_mask:0xf bank_mask:0xf bound_ctrl:1
	v_add_f32_e32 v16, v16, v19
	v_cvt_i32_f32_e32 v17, v16
	v_add_f32_e32 v21, v21, v23
	v_add_f32_e32 v22, v22, v26
	v_cvt_i32_f32_e32 v23, v22
	v_cvt_f32_i32_dpp v17, v17 row_shl:4 row_mask:0xf bank_mask:0xf bound_ctrl:1
	v_cvt_i32_f32_e32 v21, v21
	v_add_f32_e32 v20, v25, v24
	v_cvt_f32_i32_dpp v23, v23 row_shl:8 row_mask:0xf bank_mask:0xf bound_ctrl:1
	v_add_f32_e32 v17, v16, v17
	v_cvt_i32_f32_e32 v16, v17
	v_cvt_f32_i32_dpp v19, v21 row_shr:15 row_mask:0xf bank_mask:0xf bound_ctrl:1
	v_add_f32_e32 v18, v22, v23
	v_cvt_i32_f32_e32 v18, v18
	v_cvt_f32_i32_dpp v24, v16 row_shl:8 row_mask:0xf bank_mask:0xf bound_ctrl:1
	v_cvt_i32_f32_e32 v1, v1
	v_cvt_i32_f32_e32 v13, v13
	;; [unrolled: 1-line block ×7, first 2 shown]
	v_cvt_f32_i32_dpp v23, v18 row_shr:15 row_mask:0xf bank_mask:0xf bound_ctrl:1
	v_add_f32_e32 v17, v17, v24
	v_cvt_f32_i32_dpp v1, v1 row_shl:1 row_mask:0xf bank_mask:0xf bound_ctrl:1
	v_cvt_i32_f32_e32 v17, v17
	v_cvt_f32_i32_dpp v13, v13 row_shl:1 row_mask:0xf bank_mask:0xf bound_ctrl:1
	v_cvt_i32_f32_e32 v9, v9
	;; [unrolled: 2-line block ×5, first 2 shown]
	v_cvt_f32_i32_dpp v22, v22 row_bcast:15 row_mask:0xf bank_mask:0xf bound_ctrl:1
	v_mov_b32_dpp v18, v21 row_bcast:31 row_mask:0xf bank_mask:0xf bound_ctrl:1
	v_cvt_i32_f32_e32 v21, v23
	v_add_f32_e32 v0, v0, v1
	v_cvt_f32_i32_dpp v17, v17 row_shr:15 row_mask:0xf bank_mask:0xf bound_ctrl:1
	v_add_f32_e32 v12, v12, v13
	v_cvt_f32_i32_dpp v9, v9 row_shl:1 row_mask:0xf bank_mask:0xf bound_ctrl:1
	v_add_f32_e32 v0, v0, v2
	v_cvt_f32_i32_dpp v1, v3 row_shl:3 row_mask:0xf bank_mask:0xf bound_ctrl:1
	v_cvt_i32_f32_e32 v2, v5
	v_add_f32_e32 v12, v12, v14
	v_cvt_f32_i32_dpp v10, v10 row_shl:2 row_mask:0xf bank_mask:0xf bound_ctrl:1
	v_cvt_i32_f32_e32 v3, v6
	;; [unrolled: 3-line block ×3, first 2 shown]
	v_add_f32_e32 v16, v19, v22
	v_cvt_f32_i32_dpp v21, v21 row_bcast:15 row_mask:0xf bank_mask:0xf bound_ctrl:1
	v_cvt_i32_f32_e32 v12, v14
	v_cvt_i32_f32_e32 v19, v16
	;; [unrolled: 1-line block ×3, first 2 shown]
	v_add_f32_e32 v8, v8, v9
	v_add_f32_e32 v0, v0, v1
	v_cvt_f32_i32_dpp v1, v2 row_shl:1 row_mask:0xf bank_mask:0xf bound_ctrl:1
	v_add_f32_e32 v8, v8, v10
	v_cvt_f32_i32_dpp v2, v3 row_shl:2 row_mask:0xf bank_mask:0xf bound_ctrl:1
	;; [unrolled: 2-line block ×4, first 2 shown]
	v_cvt_i32_f32_e32 v10, v9
	v_mov_b32_dpp v15, v19 row_bcast:31 row_mask:0xf bank_mask:0xf bound_ctrl:1
	v_cvt_f32_i32_dpp v19, v22 row_bcast:15 row_mask:0xf bank_mask:0xf bound_ctrl:1
	v_add_f32_e32 v1, v4, v1
	v_add_f32_e32 v1, v1, v2
	;; [unrolled: 1-line block ×4, first 2 shown]
	v_cvt_f32_i32_dpp v10, v10 row_shl:4 row_mask:0xf bank_mask:0xf bound_ctrl:1
	v_cvt_i32_f32_e32 v5, v0
	v_cvt_i32_f32_e32 v2, v1
	v_add_f32_e32 v12, v17, v19
	v_cvt_i32_f32_e32 v19, v14
	v_add_f32_e32 v9, v9, v10
	v_cvt_f32_i32_dpp v4, v5 row_shl:4 row_mask:0xf bank_mask:0xf bound_ctrl:1
	v_cvt_f32_i32_dpp v2, v2 row_shl:4 row_mask:0xf bank_mask:0xf bound_ctrl:1
	;; [unrolled: 1-line block ×3, first 2 shown]
	v_cvt_i32_f32_e32 v10, v9
	v_add_f32_e32 v0, v0, v4
	v_add_f32_e32 v1, v1, v2
	;; [unrolled: 1-line block ×3, first 2 shown]
	v_cvt_f32_i32_dpp v3, v10 row_shl:8 row_mask:0xf bank_mask:0xf bound_ctrl:1
	v_cvt_i32_f32_e32 v4, v0
	v_cvt_i32_f32_e32 v2, v1
	;; [unrolled: 1-line block ×3, first 2 shown]
	v_add_f32_e32 v3, v9, v3
	v_cvt_f32_i32_dpp v4, v4 row_shl:8 row_mask:0xf bank_mask:0xf bound_ctrl:1
	v_cvt_f32_i32_dpp v2, v2 row_shl:8 row_mask:0xf bank_mask:0xf bound_ctrl:1
	v_cvt_f32_i32_dpp v5, v14 row_shr:15 row_mask:0xf bank_mask:0xf bound_ctrl:1
	v_cvt_i32_f32_e32 v3, v3
	v_add_f32_e32 v0, v0, v4
	v_add_f32_e32 v1, v1, v2
	v_cvt_i32_f32_e32 v6, v5
	v_cvt_f32_i32_dpp v3, v3 row_shr:15 row_mask:0xf bank_mask:0xf bound_ctrl:1
	v_cvt_i32_f32_e32 v0, v0
	v_cvt_i32_f32_e32 v1, v1
	v_cvt_f32_i32_dpp v2, v6 row_bcast:15 row_mask:0xf bank_mask:0xf bound_ctrl:1
	v_cvt_i32_f32_e32 v4, v3
	v_cvt_f32_i32_dpp v0, v0 row_shr:15 row_mask:0xf bank_mask:0xf bound_ctrl:1
	v_cvt_f32_i32_dpp v1, v1 row_shr:15 row_mask:0xf bank_mask:0xf bound_ctrl:1
	v_add_f32_e32 v10, v5, v2
	v_cvt_f32_i32_dpp v4, v4 row_bcast:15 row_mask:0xf bank_mask:0xf bound_ctrl:1
	v_cvt_i32_f32_e32 v2, v0
	v_cvt_i32_f32_e32 v5, v1
	;; [unrolled: 1-line block ×3, first 2 shown]
	v_add_f32_e32 v6, v3, v4
	v_cvt_f32_i32_dpp v2, v2 row_bcast:15 row_mask:0xf bank_mask:0xf bound_ctrl:1
	v_cvt_f32_i32_dpp v3, v5 row_bcast:15 row_mask:0xf bank_mask:0xf bound_ctrl:1
	v_cvt_i32_f32_e32 v17, v12
	v_cvt_i32_f32_e32 v7, v10
	v_add_f32_e32 v4, v0, v2
	v_add_f32_e32 v2, v1, v3
	v_cvt_i32_f32_e32 v5, v6
	v_cvt_i32_f32_e32 v0, v4
	;; [unrolled: 1-line block ×3, first 2 shown]
	v_mov_b32_dpp v11, v22 row_bcast:31 row_mask:0xf bank_mask:0xf bound_ctrl:1
	v_mov_b32_dpp v8, v17 row_bcast:31 row_mask:0xf bank_mask:0xf bound_ctrl:1
	;; [unrolled: 1-line block ×6, first 2 shown]
	s_and_saveexec_b64 s[20:21], s[0:1]
	s_cbranch_execz .LBB251_13
; %bb.22:                               ;   in Loop: Header=BB251_14 Depth=1
	s_andn2_b64 vcc, exec, s[18:19]
	v_mov_b32_e32 v0, 0
	v_mov_b32_e32 v24, 0
	;; [unrolled: 1-line block ×8, first 2 shown]
	s_cbranch_vccnz .LBB251_24
; %bb.23:                               ;   in Loop: Header=BB251_14 Depth=1
	v_mul_hi_u32 v0, v72, v89
	v_mul_lo_u32 v0, v0, s12
	v_sub_u32_e32 v0, v72, v0
	v_subrev_u32_e32 v1, s12, v0
	v_cmp_le_u32_e32 vcc, s12, v0
	v_mov_b32_e32 v23, v75
	s_nop 0
	v_cndmask_b32_e32 v0, v0, v1, vcc
	v_subrev_u32_e32 v1, s12, v0
	v_cmp_le_u32_e32 vcc, s12, v0
	s_nop 1
	v_cndmask_b32_e32 v74, v0, v1, vcc
	v_or_b32_e32 v0, 1, v72
	v_mul_hi_u32 v1, v0, v89
	v_mul_lo_u32 v1, v1, s12
	v_sub_u32_e32 v0, v0, v1
	v_subrev_u32_e32 v1, s12, v0
	v_cmp_le_u32_e32 vcc, s12, v0
	v_add_u32_e32 v22, s27, v74
	v_lshl_add_u64 v[30:31], v[22:23], 1, s[8:9]
	v_cndmask_b32_e32 v0, v0, v1, vcc
	v_subrev_u32_e32 v1, s12, v0
	v_cmp_le_u32_e32 vcc, s12, v0
	v_lshl_add_u64 v[26:27], v[74:75], 1, s[8:9]
	s_nop 0
	v_cndmask_b32_e32 v0, v0, v1, vcc
	v_add_u32_e32 v22, s27, v0
	v_lshl_add_u64 v[32:33], v[22:23], 1, s[8:9]
	v_add_u32_e32 v22, s28, v74
	v_add_u32_e32 v74, s29, v74
	v_mov_b32_e32 v1, v75
	v_lshl_add_u64 v[34:35], v[22:23], 1, s[8:9]
	v_add_u32_e32 v22, s28, v0
	v_lshl_add_u64 v[38:39], v[74:75], 1, s[8:9]
	v_add_u32_e32 v74, s29, v0
	v_lshl_add_u64 v[28:29], v[0:1], 1, s[8:9]
	v_lshl_add_u64 v[36:37], v[22:23], 1, s[8:9]
	;; [unrolled: 1-line block ×3, first 2 shown]
	global_load_ushort v0, v[26:27], off
	global_load_ushort v24, v[28:29], off
	;; [unrolled: 1-line block ×8, first 2 shown]
.LBB251_24:                             ;   in Loop: Header=BB251_14 Depth=1
	v_cvt_f32_i32_e32 v1, v18
	s_waitcnt vmcnt(7)
	v_lshlrev_b32_e32 v0, 16, v0
                                        ; implicit-def: $vgpr18
	v_add_f32_e32 v1, v20, v1
	v_add_f32_e32 v0, v1, v0
	v_and_b32_e32 v1, 0x7f800000, v0
	v_cmp_ne_u32_e32 vcc, s31, v1
	s_and_saveexec_b64 s[22:23], vcc
	s_xor_b64 s[22:23], exec, s[22:23]
; %bb.25:                               ;   in Loop: Header=BB251_14 Depth=1
	v_bfe_u32 v1, v0, 16, 1
	v_add3_u32 v18, v0, v1, s33
                                        ; implicit-def: $vgpr0
; %bb.26:                               ;   in Loop: Header=BB251_14 Depth=1
	s_andn2_saveexec_b64 s[22:23], s[22:23]
; %bb.27:                               ;   in Loop: Header=BB251_14 Depth=1
	v_or_b32_e32 v1, 0x10000, v0
	v_cmp_eq_u32_sdwa vcc, v0, v75 src0_sel:WORD_0 src1_sel:DWORD
	s_nop 1
	v_cndmask_b32_e32 v18, v1, v0, vcc
; %bb.28:                               ;   in Loop: Header=BB251_14 Depth=1
	s_or_b64 exec, exec, s[22:23]
	v_cvt_f32_i32_e32 v15, v15
	v_mov_b32_e32 v73, v75
	v_lshl_add_u64 v[0:1], v[72:73], 1, s[10:11]
	global_store_short_d16_hi v[0:1], v18, off
	v_add_f32_e32 v15, v16, v15
	s_waitcnt vmcnt(7)
	v_lshlrev_b32_e32 v16, 16, v24
	v_add_f32_e32 v15, v15, v16
	v_and_b32_e32 v16, 0x7f800000, v15
	v_cmp_ne_u32_e32 vcc, s31, v16
                                        ; implicit-def: $vgpr16
	s_and_saveexec_b64 s[22:23], vcc
	s_xor_b64 s[22:23], exec, s[22:23]
; %bb.29:                               ;   in Loop: Header=BB251_14 Depth=1
	v_bfe_u32 v16, v15, 16, 1
	v_add3_u32 v16, v15, v16, s33
                                        ; implicit-def: $vgpr15
; %bb.30:                               ;   in Loop: Header=BB251_14 Depth=1
	s_andn2_saveexec_b64 s[22:23], s[22:23]
; %bb.31:                               ;   in Loop: Header=BB251_14 Depth=1
	v_or_b32_e32 v16, 0x10000, v15
	v_cmp_eq_u32_sdwa vcc, v15, v75 src0_sel:WORD_0 src1_sel:DWORD
	s_nop 1
	v_cndmask_b32_e32 v16, v16, v15, vcc
; %bb.32:                               ;   in Loop: Header=BB251_14 Depth=1
	s_or_b64 exec, exec, s[22:23]
	v_cvt_f32_i32_e32 v11, v11
	global_store_short_d16_hi v[0:1], v16, off offset:2
	s_waitcnt vmcnt(7)
	v_lshlrev_b32_e32 v1, 16, v23
	v_add_f32_e32 v0, v13, v11
	v_add_f32_e32 v1, v0, v1
	v_and_b32_e32 v0, 0x7f800000, v1
	v_cmp_ne_u32_e32 vcc, s31, v0
                                        ; implicit-def: $vgpr0
	s_and_saveexec_b64 s[22:23], vcc
	s_xor_b64 s[22:23], exec, s[22:23]
; %bb.33:                               ;   in Loop: Header=BB251_14 Depth=1
	v_bfe_u32 v0, v1, 16, 1
	v_add3_u32 v0, v1, v0, s33
                                        ; implicit-def: $vgpr1
; %bb.34:                               ;   in Loop: Header=BB251_14 Depth=1
	s_andn2_saveexec_b64 s[22:23], s[22:23]
; %bb.35:                               ;   in Loop: Header=BB251_14 Depth=1
	v_or_b32_e32 v0, 0x10000, v1
	v_cmp_eq_u32_sdwa vcc, v1, v75 src0_sel:WORD_0 src1_sel:DWORD
	s_nop 1
	v_cndmask_b32_e32 v0, v0, v1, vcc
; %bb.36:                               ;   in Loop: Header=BB251_14 Depth=1
	s_or_b64 exec, exec, s[22:23]
	v_cvt_f32_i32_e32 v1, v8
	v_add_u32_e32 v74, s7, v72
	v_lshl_add_u64 v[24:25], v[74:75], 1, s[10:11]
	global_store_short_d16_hi v[24:25], v0, off
	v_add_f32_e32 v0, v12, v1
	s_waitcnt vmcnt(7)
	v_lshlrev_b32_e32 v1, 16, v22
	v_add_f32_e32 v1, v0, v1
	v_and_b32_e32 v0, 0x7f800000, v1
	v_cmp_ne_u32_e32 vcc, s31, v0
                                        ; implicit-def: $vgpr0
	s_and_saveexec_b64 s[22:23], vcc
	s_xor_b64 s[22:23], exec, s[22:23]
; %bb.37:                               ;   in Loop: Header=BB251_14 Depth=1
	v_bfe_u32 v0, v1, 16, 1
	v_add3_u32 v0, v1, v0, s33
                                        ; implicit-def: $vgpr1
; %bb.38:                               ;   in Loop: Header=BB251_14 Depth=1
	s_andn2_saveexec_b64 s[22:23], s[22:23]
; %bb.39:                               ;   in Loop: Header=BB251_14 Depth=1
	v_or_b32_e32 v0, 0x10000, v1
	v_cmp_eq_u32_sdwa vcc, v1, v75 src0_sel:WORD_0 src1_sel:DWORD
	s_nop 1
	v_cndmask_b32_e32 v0, v0, v1, vcc
; %bb.40:                               ;   in Loop: Header=BB251_14 Depth=1
	s_or_b64 exec, exec, s[22:23]
	v_cvt_f32_i32_e32 v1, v17
	v_add_u32_e32 v12, 1, v74
	v_mov_b32_e32 v13, v75
	v_lshl_add_u64 v[12:13], v[12:13], 1, s[10:11]
	v_add_f32_e32 v1, v10, v1
	global_store_short_d16_hi v[12:13], v0, off
	s_waitcnt vmcnt(7)
	v_lshlrev_b32_e32 v0, 16, v21
	v_add_f32_e32 v0, v1, v0
	v_and_b32_e32 v1, 0x7f800000, v0
	v_cmp_ne_u32_e32 vcc, s31, v1
                                        ; implicit-def: $vgpr8
	s_and_saveexec_b64 s[22:23], vcc
	s_xor_b64 s[22:23], exec, s[22:23]
; %bb.41:                               ;   in Loop: Header=BB251_14 Depth=1
	v_bfe_u32 v1, v0, 16, 1
	v_add3_u32 v8, v0, v1, s33
                                        ; implicit-def: $vgpr0
; %bb.42:                               ;   in Loop: Header=BB251_14 Depth=1
	s_andn2_saveexec_b64 s[22:23], s[22:23]
; %bb.43:                               ;   in Loop: Header=BB251_14 Depth=1
	v_or_b32_e32 v1, 0x10000, v0
	v_cmp_eq_u32_sdwa vcc, v0, v75 src0_sel:WORD_0 src1_sel:DWORD
	s_nop 1
	v_cndmask_b32_e32 v8, v1, v0, vcc
; %bb.44:                               ;   in Loop: Header=BB251_14 Depth=1
	s_or_b64 exec, exec, s[22:23]
	v_cvt_f32_i32_e32 v9, v9
	v_add_u32_e32 v74, s7, v74
	v_lshl_add_u64 v[0:1], v[74:75], 1, s[10:11]
	global_store_short_d16_hi v[0:1], v8, off
	v_add_f32_e32 v6, v6, v9
	s_waitcnt vmcnt(7)
	v_lshlrev_b32_e32 v8, 16, v19
	v_add_f32_e32 v6, v6, v8
	v_and_b32_e32 v8, 0x7f800000, v6
	v_cmp_ne_u32_e32 vcc, s31, v8
                                        ; implicit-def: $vgpr8
	s_and_saveexec_b64 s[22:23], vcc
	s_xor_b64 s[22:23], exec, s[22:23]
; %bb.45:                               ;   in Loop: Header=BB251_14 Depth=1
	v_bfe_u32 v8, v6, 16, 1
	v_add3_u32 v8, v6, v8, s33
                                        ; implicit-def: $vgpr6
; %bb.46:                               ;   in Loop: Header=BB251_14 Depth=1
	s_andn2_saveexec_b64 s[22:23], s[22:23]
; %bb.47:                               ;   in Loop: Header=BB251_14 Depth=1
	v_or_b32_e32 v8, 0x10000, v6
	v_cmp_eq_u32_sdwa vcc, v6, v75 src0_sel:WORD_0 src1_sel:DWORD
	s_nop 1
	v_cndmask_b32_e32 v8, v8, v6, vcc
; %bb.48:                               ;   in Loop: Header=BB251_14 Depth=1
	s_or_b64 exec, exec, s[22:23]
	v_cvt_f32_i32_e32 v5, v5
	global_store_short_d16_hi v[0:1], v8, off offset:2
	s_waitcnt vmcnt(7)
	v_lshlrev_b32_e32 v1, 16, v14
	v_add_f32_e32 v0, v4, v5
	v_add_f32_e32 v1, v0, v1
	v_and_b32_e32 v0, 0x7f800000, v1
	v_cmp_ne_u32_e32 vcc, s31, v0
                                        ; implicit-def: $vgpr0
	s_and_saveexec_b64 s[22:23], vcc
	s_xor_b64 s[22:23], exec, s[22:23]
; %bb.49:                               ;   in Loop: Header=BB251_14 Depth=1
	v_bfe_u32 v0, v1, 16, 1
	v_add3_u32 v0, v1, v0, s33
                                        ; implicit-def: $vgpr1
; %bb.50:                               ;   in Loop: Header=BB251_14 Depth=1
	s_andn2_saveexec_b64 s[22:23], s[22:23]
; %bb.51:                               ;   in Loop: Header=BB251_14 Depth=1
	v_or_b32_e32 v0, 0x10000, v1
	v_cmp_eq_u32_sdwa vcc, v1, v75 src0_sel:WORD_0 src1_sel:DWORD
	s_nop 1
	v_cndmask_b32_e32 v0, v0, v1, vcc
; %bb.52:                               ;   in Loop: Header=BB251_14 Depth=1
	s_or_b64 exec, exec, s[22:23]
	v_cvt_f32_i32_e32 v1, v3
	v_add_u32_e32 v74, s7, v74
	v_lshl_add_u64 v[4:5], v[74:75], 1, s[10:11]
	global_store_short_d16_hi v[4:5], v0, off
	v_add_f32_e32 v0, v2, v1
	s_waitcnt vmcnt(7)
	v_lshlrev_b32_e32 v1, 16, v7
	v_add_f32_e32 v1, v0, v1
	v_and_b32_e32 v0, 0x7f800000, v1
	v_cmp_ne_u32_e32 vcc, s31, v0
                                        ; implicit-def: $vgpr0
	s_and_saveexec_b64 s[22:23], vcc
	s_xor_b64 s[22:23], exec, s[22:23]
; %bb.53:                               ;   in Loop: Header=BB251_14 Depth=1
	v_bfe_u32 v0, v1, 16, 1
	v_add3_u32 v0, v1, v0, s33
                                        ; implicit-def: $vgpr1
; %bb.54:                               ;   in Loop: Header=BB251_14 Depth=1
	s_andn2_saveexec_b64 s[22:23], s[22:23]
	s_cbranch_execz .LBB251_12
; %bb.55:                               ;   in Loop: Header=BB251_14 Depth=1
	v_or_b32_e32 v0, 0x10000, v1
	v_cmp_eq_u32_sdwa vcc, v1, v75 src0_sel:WORD_0 src1_sel:DWORD
	s_nop 1
	v_cndmask_b32_e32 v0, v0, v1, vcc
	s_branch .LBB251_12
.LBB251_56:
	s_endpgm
	.section	.rodata,"a",@progbits
	.p2align	6, 0x0
	.amdhsa_kernel _Z16wvSplitK_hf_sml_I14__hip_bfloat16Li32ELi2ELi16ELi8ELi2ELi4EEviiiiiiPKT_S3_S3_PS1_ii
		.amdhsa_group_segment_fixed_size 65536
		.amdhsa_private_segment_fixed_size 0
		.amdhsa_kernarg_size 64
		.amdhsa_user_sgpr_count 2
		.amdhsa_user_sgpr_dispatch_ptr 0
		.amdhsa_user_sgpr_queue_ptr 0
		.amdhsa_user_sgpr_kernarg_segment_ptr 1
		.amdhsa_user_sgpr_dispatch_id 0
		.amdhsa_user_sgpr_kernarg_preload_length 0
		.amdhsa_user_sgpr_kernarg_preload_offset 0
		.amdhsa_user_sgpr_private_segment_size 0
		.amdhsa_uses_dynamic_stack 0
		.amdhsa_enable_private_segment 0
		.amdhsa_system_sgpr_workgroup_id_x 1
		.amdhsa_system_sgpr_workgroup_id_y 0
		.amdhsa_system_sgpr_workgroup_id_z 0
		.amdhsa_system_sgpr_workgroup_info 0
		.amdhsa_system_vgpr_workitem_id 1
		.amdhsa_next_free_vgpr 94
		.amdhsa_next_free_sgpr 35
		.amdhsa_accum_offset 96
		.amdhsa_reserve_vcc 1
		.amdhsa_float_round_mode_32 0
		.amdhsa_float_round_mode_16_64 0
		.amdhsa_float_denorm_mode_32 3
		.amdhsa_float_denorm_mode_16_64 3
		.amdhsa_dx10_clamp 1
		.amdhsa_ieee_mode 1
		.amdhsa_fp16_overflow 0
		.amdhsa_tg_split 0
		.amdhsa_exception_fp_ieee_invalid_op 0
		.amdhsa_exception_fp_denorm_src 0
		.amdhsa_exception_fp_ieee_div_zero 0
		.amdhsa_exception_fp_ieee_overflow 0
		.amdhsa_exception_fp_ieee_underflow 0
		.amdhsa_exception_fp_ieee_inexact 0
		.amdhsa_exception_int_div_zero 0
	.end_amdhsa_kernel
	.section	.text._Z16wvSplitK_hf_sml_I14__hip_bfloat16Li32ELi2ELi16ELi8ELi2ELi4EEviiiiiiPKT_S3_S3_PS1_ii,"axG",@progbits,_Z16wvSplitK_hf_sml_I14__hip_bfloat16Li32ELi2ELi16ELi8ELi2ELi4EEviiiiiiPKT_S3_S3_PS1_ii,comdat
.Lfunc_end251:
	.size	_Z16wvSplitK_hf_sml_I14__hip_bfloat16Li32ELi2ELi16ELi8ELi2ELi4EEviiiiiiPKT_S3_S3_PS1_ii, .Lfunc_end251-_Z16wvSplitK_hf_sml_I14__hip_bfloat16Li32ELi2ELi16ELi8ELi2ELi4EEviiiiiiPKT_S3_S3_PS1_ii
                                        ; -- End function
	.section	.AMDGPU.csdata,"",@progbits
; Kernel info:
; codeLenInByte = 4104
; NumSgprs: 41
; NumVgprs: 94
; NumAgprs: 0
; TotalNumVgprs: 94
; ScratchSize: 0
; MemoryBound: 0
; FloatMode: 240
; IeeeMode: 1
; LDSByteSize: 65536 bytes/workgroup (compile time only)
; SGPRBlocks: 5
; VGPRBlocks: 11
; NumSGPRsForWavesPerEU: 41
; NumVGPRsForWavesPerEU: 94
; AccumOffset: 96
; Occupancy: 2
; WaveLimiterHint : 0
; COMPUTE_PGM_RSRC2:SCRATCH_EN: 0
; COMPUTE_PGM_RSRC2:USER_SGPR: 2
; COMPUTE_PGM_RSRC2:TRAP_HANDLER: 0
; COMPUTE_PGM_RSRC2:TGID_X_EN: 1
; COMPUTE_PGM_RSRC2:TGID_Y_EN: 0
; COMPUTE_PGM_RSRC2:TGID_Z_EN: 0
; COMPUTE_PGM_RSRC2:TIDIG_COMP_CNT: 1
; COMPUTE_PGM_RSRC3_GFX90A:ACCUM_OFFSET: 23
; COMPUTE_PGM_RSRC3_GFX90A:TG_SPLIT: 0
	.section	.text._Z12wvSplitK_hf_I14__hip_bfloat16Li32ELi2ELi16ELi8ELi2ELi4EEviiiiiiPKT_S3_S3_PS1_ii,"axG",@progbits,_Z12wvSplitK_hf_I14__hip_bfloat16Li32ELi2ELi16ELi8ELi2ELi4EEviiiiiiPKT_S3_S3_PS1_ii,comdat
	.protected	_Z12wvSplitK_hf_I14__hip_bfloat16Li32ELi2ELi16ELi8ELi2ELi4EEviiiiiiPKT_S3_S3_PS1_ii ; -- Begin function _Z12wvSplitK_hf_I14__hip_bfloat16Li32ELi2ELi16ELi8ELi2ELi4EEviiiiiiPKT_S3_S3_PS1_ii
	.globl	_Z12wvSplitK_hf_I14__hip_bfloat16Li32ELi2ELi16ELi8ELi2ELi4EEviiiiiiPKT_S3_S3_PS1_ii
	.p2align	8
	.type	_Z12wvSplitK_hf_I14__hip_bfloat16Li32ELi2ELi16ELi8ELi2ELi4EEviiiiiiPKT_S3_S3_PS1_ii,@function
_Z12wvSplitK_hf_I14__hip_bfloat16Li32ELi2ELi16ELi8ELi2ELi4EEviiiiiiPKT_S3_S3_PS1_ii: ; @_Z12wvSplitK_hf_I14__hip_bfloat16Li32ELi2ELi16ELi8ELi2ELi4EEviiiiiiPKT_S3_S3_PS1_ii
; %bb.0:
	s_load_dwordx2 s[4:5], s[0:1], 0x38
	s_load_dwordx2 s[16:17], s[0:1], 0x20
	s_load_dwordx4 s[8:11], s[0:1], 0x0
	s_load_dwordx2 s[18:19], s[0:1], 0x10
	v_bfe_u32 v4, v0, 10, 10
	s_waitcnt lgkmcnt(0)
	s_mul_i32 s2, s2, s4
	v_add_lshl_u32 v82, s2, v4, 1
	s_mov_b32 s6, 1
	v_add_u32_e32 v1, 2, v82
	v_cmp_gt_u32_e32 vcc, s11, v82
	v_cmp_le_u32_e64 s[2:3], s11, v1
	s_mov_b32 s7, s6
	s_and_b64 s[12:13], vcc, s[2:3]
	v_mov_b64_e32 v[80:81], s[6:7]
	s_and_saveexec_b64 s[2:3], s[12:13]
	s_cbranch_execz .LBB252_6
; %bb.1:
	s_add_i32 s22, s11, -2
	v_cmp_ne_u32_e32 vcc, s22, v82
	v_mov_b64_e32 v[80:81], s[6:7]
	s_and_saveexec_b64 s[6:7], vcc
	s_cbranch_execz .LBB252_5
; %bb.2:
	v_subrev_u32_e32 v1, s22, v82
	s_mov_b32 s12, 1
	v_cmp_lt_u32_e32 vcc, 1, v1
	s_mov_b64 s[14:15], 0
	s_mov_b64 s[20:21], 0
	v_cndmask_b32_e32 v2, 1, v1, vcc
	s_mov_b32 s13, s12
.LBB252_3:                              ; =>This Inner Loop Header: Depth=1
	s_cmp_lg_u32 s20, 1
	s_cselect_b32 s13, s13, 0
	s_cmp_lg_u32 s20, 0
	s_cselect_b32 s12, s12, 0
	s_add_u32 s20, s20, 1
	s_addc_u32 s21, s21, 0
	v_cmp_eq_u32_e32 vcc, s20, v2
	s_or_b64 s[14:15], vcc, s[14:15]
	v_mov_b64_e32 v[80:81], s[12:13]
	s_andn2_b64 exec, exec, s[14:15]
	s_cbranch_execnz .LBB252_3
; %bb.4:
	s_or_b64 exec, exec, s[14:15]
	v_mov_b32_e32 v82, s22
.LBB252_5:
	s_or_b64 exec, exec, s[6:7]
.LBB252_6:
	s_or_b64 exec, exec, s[2:3]
	v_and_b32_e32 v5, 0x3ff, v0
	v_lshlrev_b32_e32 v84, 3, v5
	s_lshl_b32 s33, s10, 2
	v_lshl_add_u32 v6, v4, 8, v84
	s_min_u32 s6, s33, 0x8000
	v_cmp_gt_u32_e32 vcc, s6, v6
	s_and_saveexec_b64 s[2:3], vcc
	s_cbranch_execz .LBB252_15
; %bb.7:
	v_lshlrev_b32_e32 v0, 1, v6
	global_load_dwordx4 v[8:11], v0, s[16:17]
	v_add_u32_e32 v1, 0x1000, v6
	v_cmp_gt_u32_e32 vcc, s6, v1
	s_waitcnt vmcnt(0)
	ds_write_b128 v0, v[8:11]
	s_and_saveexec_b64 s[12:13], vcc
	s_xor_b64 s[12:13], exec, s[12:13]
	s_cbranch_execz .LBB252_15
; %bb.8:
	v_mov_b32_e32 v1, 0
	v_lshl_add_u64 v[2:3], s[16:17], 0, v[0:1]
	v_add_co_u32_e32 v8, vcc, 0x2000, v2
	v_add_u32_e32 v1, 0x2000, v6
	s_nop 0
	v_addc_co_u32_e32 v9, vcc, 0, v3, vcc
	global_load_dwordx4 v[8:11], v[8:9], off
	v_cmp_gt_u32_e32 vcc, s6, v1
	s_waitcnt vmcnt(0)
	ds_write_b128 v0, v[8:11] offset:8192
	s_and_saveexec_b64 s[12:13], vcc
	s_xor_b64 s[12:13], exec, s[12:13]
	s_cbranch_execz .LBB252_15
; %bb.9:
	v_add_co_u32_e32 v8, vcc, 0x4000, v2
	v_add_u32_e32 v1, 0x3000, v6
	s_nop 0
	v_addc_co_u32_e32 v9, vcc, 0, v3, vcc
	global_load_dwordx4 v[8:11], v[8:9], off
	v_cmp_gt_u32_e32 vcc, s6, v1
	s_waitcnt vmcnt(0)
	ds_write_b128 v0, v[8:11] offset:16384
	s_and_saveexec_b64 s[12:13], vcc
	s_xor_b64 s[12:13], exec, s[12:13]
	s_cbranch_execz .LBB252_15
; %bb.10:
	v_add_co_u32_e32 v8, vcc, 0x6000, v2
	v_add_u32_e32 v1, 0x4000, v6
	s_nop 0
	v_addc_co_u32_e32 v9, vcc, 0, v3, vcc
	global_load_dwordx4 v[8:11], v[8:9], off
	v_cmp_gt_u32_e32 vcc, s6, v1
	s_waitcnt vmcnt(0)
	ds_write_b128 v0, v[8:11] offset:24576
	s_and_saveexec_b64 s[12:13], vcc
	s_xor_b64 s[12:13], exec, s[12:13]
	s_cbranch_execz .LBB252_15
; %bb.11:
	v_add_co_u32_e32 v8, vcc, 0x8000, v2
	v_add_u32_e32 v1, 0x5000, v6
	s_nop 0
	v_addc_co_u32_e32 v9, vcc, 0, v3, vcc
	global_load_dwordx4 v[8:11], v[8:9], off
	v_cmp_gt_u32_e32 vcc, s6, v1
	s_waitcnt vmcnt(0)
	ds_write_b128 v0, v[8:11] offset:32768
	s_and_saveexec_b64 s[12:13], vcc
	s_xor_b64 s[12:13], exec, s[12:13]
	s_cbranch_execz .LBB252_15
; %bb.12:
	v_add_co_u32_e32 v8, vcc, 0xa000, v2
	v_add_u32_e32 v1, 0x6000, v6
	s_nop 0
	v_addc_co_u32_e32 v9, vcc, 0, v3, vcc
	global_load_dwordx4 v[8:11], v[8:9], off
	v_cmp_gt_u32_e32 vcc, s6, v1
	s_waitcnt vmcnt(0)
	ds_write_b128 v0, v[8:11] offset:40960
	s_and_saveexec_b64 s[12:13], vcc
	s_xor_b64 s[12:13], exec, s[12:13]
	s_cbranch_execz .LBB252_15
; %bb.13:
	v_add_co_u32_e32 v8, vcc, 0xc000, v2
	v_add_u32_e32 v1, 0x7000, v6
	s_nop 0
	v_addc_co_u32_e32 v9, vcc, 0, v3, vcc
	global_load_dwordx4 v[8:11], v[8:9], off
	v_cmp_gt_u32_e32 vcc, s6, v1
	s_waitcnt vmcnt(0)
	ds_write_b128 v0, v[8:11] offset:49152
	s_and_saveexec_b64 s[6:7], vcc
	s_xor_b64 s[6:7], exec, s[6:7]
	s_cbranch_execz .LBB252_15
; %bb.14:
	v_add_co_u32_e32 v2, vcc, 0xe000, v2
	s_nop 1
	v_addc_co_u32_e32 v3, vcc, 0, v3, vcc
	global_load_dwordx4 v[6:9], v[2:3], off
	s_waitcnt vmcnt(0)
	ds_write_b128 v0, v[6:9] offset:57344
.LBB252_15:
	s_or_b64 exec, exec, s[2:3]
	v_cmp_gt_u32_e32 vcc, s4, v4
	v_cmp_gt_u32_e64 s[2:3], s11, v82
	s_and_b64 s[2:3], vcc, s[2:3]
	s_waitcnt lgkmcnt(0)
	s_barrier
	s_and_saveexec_b64 s[6:7], s[2:3]
	s_cbranch_execz .LBB252_114
; %bb.16:
	s_load_dwordx4 s[12:15], s[0:1], 0x28
	s_load_dwordx2 s[20:21], s[0:1], 0x18
	s_cmp_lg_u32 s8, 0
	s_cselect_b64 s[2:3], -1, 0
	s_add_i32 s36, s8, -8
	s_add_i32 s37, s11, -1
	s_mul_i32 s4, s4, s5
	s_waitcnt lgkmcnt(0)
	s_cmp_lg_u64 s[12:13], 0
	s_cselect_b64 s[24:25], -1, 0
	s_lshl_b32 s38, s4, 1
	s_abs_i32 s4, s19
	v_cvt_f32_u32_e32 v0, s18
	v_cvt_f32_u32_e32 v1, s4
	s_sub_i32 s5, 0, s18
	s_add_i32 s19, s11, -2
	v_rcp_iflag_f32_e32 v0, v0
	v_rcp_iflag_f32_e32 v1, v1
	v_cmp_eq_u32_e64 s[0:1], 31, v5
	s_mov_b64 s[22:23], 0
	v_mul_f32_e32 v0, 0x4f7ffffe, v0
	v_mul_f32_e32 v1, 0x4f7ffffe, v1
	v_cvt_u32_f32_e32 v0, v0
	v_cvt_u32_f32_e32 v1, v1
	v_mov_b32_e32 v87, 0
	v_lshlrev_b32_e32 v102, 4, v5
	v_mul_lo_u32 v2, s5, v0
	s_sub_i32 s5, 0, s4
	v_readfirstlane_b32 s6, v1
	s_mul_i32 s5, s5, s6
	s_mul_hi_u32 s5, s6, s5
	s_add_i32 s6, s6, s5
	s_sub_i32 s5, 1, s4
	s_cmp_lt_u32 s4, 2
	s_cselect_b32 s5, s5, 1
	s_sub_i32 s7, s5, s4
	s_cmp_ge_u32 s5, s4
	s_cselect_b32 s39, s7, s5
	s_lshr_b32 s5, s6, 31
	s_mul_i32 s5, s5, s4
	s_sub_i32 s5, 2, s5
	s_sub_i32 s7, s5, s4
	s_cmp_ge_u32 s5, s4
	s_cselect_b32 s5, s7, s5
	s_sub_i32 s7, s5, s4
	s_cmp_ge_u32 s5, s4
	s_cselect_b32 s40, s7, s5
	s_mul_hi_u32 s5, s6, 3
	s_mul_i32 s5, s5, s4
	s_sub_i32 s5, 3, s5
	s_sub_i32 s6, s5, s4
	s_cmp_ge_u32 s5, s4
	s_cselect_b32 s5, s6, s5
	v_mul_hi_u32 v2, v0, v2
	s_sub_i32 s6, s5, s4
	v_add_u32_e32 v85, v0, v2
	s_cmp_ge_u32 s5, s4
	s_cselect_b32 s41, s6, s5
	s_lshl_b32 s42, s10, 1
	v_mad_u64_u32 v[88:89], s[4:5], s10, 3, v[84:85]
	v_cndmask_b32_e64 v0, 0, 1, s[2:3]
	s_mul_i32 s39, s39, s18
	s_mul_i32 s40, s40, s18
	;; [unrolled: 1-line block ×3, first 2 shown]
	v_add_u32_e32 v103, s42, v84
	s_mul_i32 s43, s10, 6
	v_add_u32_e32 v89, s10, v84
	v_cmp_ne_u32_e64 s[2:3], 1, v0
	s_movk_i32 s10, 0x7fff
	s_mov_b32 s44, 0x7f800000
	s_mov_b32 s26, 0
	s_branch .LBB252_19
.LBB252_17:                             ;   in Loop: Header=BB252_19 Depth=1
	s_or_b64 exec, exec, s[28:29]
	v_mov_b32_e32 v82, s19
.LBB252_18:                             ;   in Loop: Header=BB252_19 Depth=1
	s_or_b64 exec, exec, s[6:7]
	v_cmp_le_u32_e32 vcc, s11, v82
	s_or_b64 s[22:23], vcc, s[22:23]
	s_andn2_b64 exec, exec, s[22:23]
	s_cbranch_execz .LBB252_114
.LBB252_19:                             ; =>This Loop Header: Depth=1
                                        ;     Child Loop BB252_24 Depth 2
                                        ;     Child Loop BB252_112 Depth 2
	s_and_b64 vcc, exec, s[2:3]
	v_add_u32_e32 v90, 1, v82
	s_waitcnt vmcnt(1)
	v_mov_b32_e32 v7, v87
	v_mov_b32_e32 v6, v87
	;; [unrolled: 1-line block ×3, first 2 shown]
	s_waitcnt vmcnt(0)
	v_mov_b32_e32 v4, v87
	v_mov_b32_e32 v3, v87
	;; [unrolled: 1-line block ×29, first 2 shown]
	s_cbranch_vccnz .LBB252_58
; %bb.20:                               ;   in Loop: Header=BB252_19 Depth=1
	v_min_u32_e32 v0, s37, v82
	v_mul_lo_u32 v86, v0, s9
	v_min_u32_e32 v0, s37, v90
	v_mul_lo_u32 v0, v0, s9
	v_mov_b32_e32 v1, v87
	v_mov_b32_e32 v16, 0
	s_mov_b32 s4, 0
	v_lshlrev_b64 v[92:93], 1, v[86:87]
	v_lshlrev_b64 v[94:95], 1, v[0:1]
	v_mov_b32_e32 v83, v102
	s_mov_b32 s34, 0
	v_mov_b32_e32 v17, v16
	v_mov_b32_e32 v18, v16
	;; [unrolled: 1-line block ×31, first 2 shown]
	s_branch .LBB252_24
.LBB252_21:                             ;   in Loop: Header=BB252_24 Depth=2
	s_or_b64 exec, exec, s[30:31]
.LBB252_22:                             ;   in Loop: Header=BB252_24 Depth=2
	s_or_b64 exec, exec, s[28:29]
.LBB252_23:                             ;   in Loop: Header=BB252_24 Depth=2
	s_or_b64 exec, exec, s[6:7]
	s_waitcnt vmcnt(0) lgkmcnt(0)
	v_mfma_f32_4x4x4_16b_bf16 v[28:31], v[48:49], v[40:41], v[28:31]
	s_addk_i32 s34, 0x200
	v_mfma_f32_4x4x4_16b_bf16 v[24:27], v[48:49], v[36:37], v[24:27]
	v_add_u32_e32 v83, 0x400, v83
	v_mfma_f32_4x4x4_16b_bf16 v[20:23], v[52:53], v[40:41], v[20:23]
	s_cmp_ge_u32 s34, s8
	v_mfma_f32_4x4x4_16b_bf16 v[16:19], v[52:53], v[36:37], v[16:19]
	v_mfma_f32_4x4x4_16b_bf16 v[12:15], v[56:57], v[40:41], v[12:15]
	;; [unrolled: 1-line block ×29, first 2 shown]
	s_cbranch_scc1 .LBB252_58
.LBB252_24:                             ;   Parent Loop BB252_19 Depth=1
                                        ; =>  This Inner Loop Header: Depth=2
	v_add_u32_e32 v98, s34, v84
	v_min_u32_e32 v86, s36, v98
	v_lshl_add_u64 v[32:33], v[86:87], 1, s[20:21]
	v_add_u32_e32 v96, 0x100, v98
	v_lshl_add_u64 v[34:35], v[32:33], 0, v[92:93]
	v_lshl_add_u64 v[32:33], v[32:33], 0, v[94:95]
	v_min_u32_e32 v86, s36, v96
	global_load_dwordx4 v[40:43], v[34:35], off nt
	global_load_dwordx4 v[36:39], v[32:33], off nt
	v_lshl_add_u64 v[32:33], v[86:87], 1, s[20:21]
	v_lshl_add_u64 v[48:49], v[32:33], 0, v[92:93]
	;; [unrolled: 1-line block ×3, first 2 shown]
	global_load_dwordx4 v[44:47], v[48:49], off nt
	global_load_dwordx4 v[32:35], v[50:51], off nt
	s_mov_b32 s5, s4
	v_cmp_gt_u32_e32 vcc, s8, v98
	v_mov_b64_e32 v[48:49], s[4:5]
	v_mov_b32_e32 v73, 0
	v_mov_b32_e32 v72, 0
	;; [unrolled: 1-line block ×4, first 2 shown]
	v_mov_b64_e32 v[50:51], s[4:5]
	v_mov_b64_e32 v[64:65], s[4:5]
	;; [unrolled: 1-line block ×13, first 2 shown]
	s_and_saveexec_b64 s[6:7], vcc
	s_cbranch_execz .LBB252_23
; %bb.25:                               ;   in Loop: Header=BB252_24 Depth=2
	v_cmp_lt_u32_e32 vcc, s10, v98
                                        ; implicit-def: $vgpr48_vgpr49
	s_and_saveexec_b64 s[28:29], vcc
	s_xor_b64 s[28:29], exec, s[28:29]
	s_cbranch_execz .LBB252_27
; %bb.26:                               ;   in Loop: Header=BB252_24 Depth=2
	v_mov_b32_e32 v99, v87
	v_lshl_add_u64 v[48:49], v[98:99], 1, s[16:17]
	global_load_dwordx4 v[48:51], v[48:49], off
.LBB252_27:                             ;   in Loop: Header=BB252_24 Depth=2
	s_andn2_saveexec_b64 s[28:29], s[28:29]
	s_cbranch_execz .LBB252_29
; %bb.28:                               ;   in Loop: Header=BB252_24 Depth=2
	s_waitcnt vmcnt(0)
	ds_read_b128 v[48:51], v83
.LBB252_29:                             ;   in Loop: Header=BB252_24 Depth=2
	s_or_b64 exec, exec, s[28:29]
	v_add_u32_e32 v86, s34, v89
	v_cmp_lt_u32_e32 vcc, s10, v86
                                        ; implicit-def: $vgpr52_vgpr53
	s_and_saveexec_b64 s[28:29], vcc
	s_xor_b64 s[28:29], exec, s[28:29]
	s_cbranch_execz .LBB252_31
; %bb.30:                               ;   in Loop: Header=BB252_24 Depth=2
	v_lshl_add_u64 v[52:53], v[86:87], 1, s[16:17]
	global_load_dwordx4 v[52:55], v[52:53], off
.LBB252_31:                             ;   in Loop: Header=BB252_24 Depth=2
	s_andn2_saveexec_b64 s[28:29], s[28:29]
	s_cbranch_execz .LBB252_33
; %bb.32:                               ;   in Loop: Header=BB252_24 Depth=2
	s_waitcnt vmcnt(0)
	v_add_u32_e32 v52, s42, v83
	ds_read_b128 v[52:55], v52
.LBB252_33:                             ;   in Loop: Header=BB252_24 Depth=2
	s_or_b64 exec, exec, s[28:29]
	v_add_u32_e32 v100, s34, v103
	v_cmp_lt_u32_e32 vcc, s10, v100
                                        ; implicit-def: $vgpr56_vgpr57
	s_and_saveexec_b64 s[28:29], vcc
	s_xor_b64 s[28:29], exec, s[28:29]
	s_cbranch_execz .LBB252_35
; %bb.34:                               ;   in Loop: Header=BB252_24 Depth=2
	v_mov_b32_e32 v101, v87
	v_lshl_add_u64 v[56:57], v[100:101], 1, s[16:17]
	global_load_dwordx4 v[56:59], v[56:57], off
.LBB252_35:                             ;   in Loop: Header=BB252_24 Depth=2
	s_andn2_saveexec_b64 s[28:29], s[28:29]
	s_cbranch_execz .LBB252_37
; %bb.36:                               ;   in Loop: Header=BB252_24 Depth=2
	s_waitcnt vmcnt(0)
	v_add_u32_e32 v58, s33, v83
	ds_read2_b32 v[56:57], v58 offset1:1
	ds_read2_b32 v[58:59], v58 offset0:2 offset1:3
.LBB252_37:                             ;   in Loop: Header=BB252_24 Depth=2
	s_or_b64 exec, exec, s[28:29]
	v_add_u32_e32 v98, s34, v88
	v_cmp_lt_u32_e32 vcc, s10, v98
                                        ; implicit-def: $vgpr60_vgpr61
	s_and_saveexec_b64 s[28:29], vcc
	s_xor_b64 s[28:29], exec, s[28:29]
	s_cbranch_execz .LBB252_39
; %bb.38:                               ;   in Loop: Header=BB252_24 Depth=2
	v_mov_b32_e32 v99, v87
	v_lshl_add_u64 v[60:61], v[98:99], 1, s[16:17]
	global_load_dwordx4 v[60:63], v[60:61], off
.LBB252_39:                             ;   in Loop: Header=BB252_24 Depth=2
	s_andn2_saveexec_b64 s[28:29], s[28:29]
	s_cbranch_execz .LBB252_41
; %bb.40:                               ;   in Loop: Header=BB252_24 Depth=2
	s_waitcnt vmcnt(0)
	v_add_u32_e32 v60, s43, v83
	ds_read_b128 v[60:63], v60
.LBB252_41:                             ;   in Loop: Header=BB252_24 Depth=2
	s_or_b64 exec, exec, s[28:29]
	s_mov_b32 s27, s26
	v_cmp_gt_u32_e32 vcc, s8, v96
	v_mov_b32_e32 v73, 0
	v_mov_b64_e32 v[64:65], s[26:27]
	v_mov_b32_e32 v72, 0
	v_mov_b32_e32 v75, 0
	;; [unrolled: 1-line block ×3, first 2 shown]
	v_mov_b64_e32 v[66:67], s[26:27]
	v_mov_b64_e32 v[68:69], s[26:27]
	;; [unrolled: 1-line block ×5, first 2 shown]
	s_and_saveexec_b64 s[28:29], vcc
	s_cbranch_execz .LBB252_22
; %bb.42:                               ;   in Loop: Header=BB252_24 Depth=2
	v_cmp_lt_u32_e32 vcc, s10, v96
                                        ; implicit-def: $vgpr64_vgpr65
	s_and_saveexec_b64 s[30:31], vcc
	s_xor_b64 s[30:31], exec, s[30:31]
	s_cbranch_execz .LBB252_44
; %bb.43:                               ;   in Loop: Header=BB252_24 Depth=2
	v_mov_b32_e32 v97, v87
	v_lshl_add_u64 v[64:65], v[96:97], 1, s[16:17]
	global_load_dwordx4 v[64:67], v[64:65], off
.LBB252_44:                             ;   in Loop: Header=BB252_24 Depth=2
	s_andn2_saveexec_b64 s[30:31], s[30:31]
	s_cbranch_execz .LBB252_46
; %bb.45:                               ;   in Loop: Header=BB252_24 Depth=2
	s_waitcnt vmcnt(0)
	ds_read_b128 v[64:67], v83 offset:512
.LBB252_46:                             ;   in Loop: Header=BB252_24 Depth=2
	s_or_b64 exec, exec, s[30:31]
	v_add_u32_e32 v86, 0x100, v86
	v_cmp_lt_u32_e32 vcc, s10, v86
                                        ; implicit-def: $vgpr68_vgpr69
	s_and_saveexec_b64 s[30:31], vcc
	s_xor_b64 s[30:31], exec, s[30:31]
	s_cbranch_execz .LBB252_48
; %bb.47:                               ;   in Loop: Header=BB252_24 Depth=2
	v_lshl_add_u64 v[68:69], v[86:87], 1, s[16:17]
	global_load_dwordx4 v[68:71], v[68:69], off
.LBB252_48:                             ;   in Loop: Header=BB252_24 Depth=2
	s_andn2_saveexec_b64 s[30:31], s[30:31]
	s_cbranch_execz .LBB252_50
; %bb.49:                               ;   in Loop: Header=BB252_24 Depth=2
	s_waitcnt vmcnt(0)
	v_add_u32_e32 v68, s42, v83
	ds_read_b128 v[68:71], v68 offset:512
.LBB252_50:                             ;   in Loop: Header=BB252_24 Depth=2
	s_or_b64 exec, exec, s[30:31]
	v_add_u32_e32 v86, 0x100, v100
	v_cmp_lt_u32_e32 vcc, s10, v86
                                        ; implicit-def: $vgpr76_vgpr77
	s_and_saveexec_b64 s[30:31], vcc
	s_xor_b64 s[30:31], exec, s[30:31]
	s_cbranch_execz .LBB252_52
; %bb.51:                               ;   in Loop: Header=BB252_24 Depth=2
	v_lshl_add_u64 v[72:73], v[86:87], 1, s[16:17]
	global_load_dwordx4 v[76:79], v[72:73], off
.LBB252_52:                             ;   in Loop: Header=BB252_24 Depth=2
	s_andn2_saveexec_b64 s[30:31], s[30:31]
	s_cbranch_execz .LBB252_54
; %bb.53:                               ;   in Loop: Header=BB252_24 Depth=2
	v_add_u32_e32 v72, s33, v83
	s_waitcnt vmcnt(0)
	ds_read2_b32 v[76:77], v72 offset0:128 offset1:129
	ds_read2_b32 v[78:79], v72 offset0:130 offset1:131
.LBB252_54:                             ;   in Loop: Header=BB252_24 Depth=2
	s_or_b64 exec, exec, s[30:31]
	v_add_u32_e32 v86, 0x100, v98
	v_cmp_lt_u32_e32 vcc, s10, v86
                                        ; implicit-def: $vgpr73
	s_and_saveexec_b64 s[30:31], vcc
	s_xor_b64 s[30:31], exec, s[30:31]
	s_cbranch_execz .LBB252_56
; %bb.55:                               ;   in Loop: Header=BB252_24 Depth=2
	v_lshl_add_u64 v[72:73], v[86:87], 1, s[16:17]
	global_load_dwordx4 v[72:75], v[72:73], off
.LBB252_56:                             ;   in Loop: Header=BB252_24 Depth=2
	s_andn2_saveexec_b64 s[30:31], s[30:31]
	s_cbranch_execz .LBB252_21
; %bb.57:                               ;   in Loop: Header=BB252_24 Depth=2
	s_waitcnt vmcnt(0)
	v_add_u32_e32 v72, s43, v83
	ds_read_b128 v[72:75], v72 offset:512
	s_branch .LBB252_21
.LBB252_58:                             ;   in Loop: Header=BB252_19 Depth=1
	v_cvt_i32_f32_e32 v29, v29
	v_cvt_i32_f32_e32 v30, v30
	v_cvt_i32_f32_e32 v31, v31
	v_cvt_i32_f32_e32 v25, v25
	v_cvt_f32_i32_dpp v29, v29 row_shl:1 row_mask:0xf bank_mask:0xf bound_ctrl:1
	v_cvt_f32_i32_dpp v30, v30 row_shl:2 row_mask:0xf bank_mask:0xf bound_ctrl:1
	;; [unrolled: 1-line block ×3, first 2 shown]
	v_cvt_i32_f32_e32 v26, v26
	v_add_f32_e32 v28, v28, v29
	v_add_f32_e32 v28, v28, v30
	;; [unrolled: 1-line block ×3, first 2 shown]
	v_cvt_i32_f32_e32 v29, v28
	v_cvt_i32_f32_e32 v27, v27
	v_cvt_f32_i32_dpp v25, v25 row_shl:1 row_mask:0xf bank_mask:0xf bound_ctrl:1
	v_cvt_f32_i32_dpp v26, v26 row_shl:2 row_mask:0xf bank_mask:0xf bound_ctrl:1
	;; [unrolled: 1-line block ×4, first 2 shown]
	v_add_f32_e32 v24, v24, v25
	v_cvt_i32_f32_e32 v21, v21
	v_add_f32_e32 v28, v28, v29
	v_cvt_i32_f32_e32 v29, v28
	;; [unrolled: 2-line block ×3, first 2 shown]
	v_add_f32_e32 v24, v24, v27
	v_cvt_f32_i32_dpp v25, v29 row_shl:8 row_mask:0xf bank_mask:0xf bound_ctrl:1
	v_cvt_i32_f32_e32 v23, v23
	v_cvt_i32_f32_e32 v26, v24
	v_cvt_f32_i32_dpp v21, v21 row_shl:1 row_mask:0xf bank_mask:0xf bound_ctrl:1
	v_add_f32_e32 v25, v28, v25
	v_cvt_i32_f32_e32 v25, v25
	v_cvt_f32_i32_dpp v22, v22 row_shl:2 row_mask:0xf bank_mask:0xf bound_ctrl:1
	v_cvt_f32_i32_dpp v26, v26 row_shl:4 row_mask:0xf bank_mask:0xf bound_ctrl:1
	;; [unrolled: 1-line block ×3, first 2 shown]
	v_cvt_f32_i32_dpp v25, v25 row_shr:15 row_mask:0xf bank_mask:0xf bound_ctrl:1
	v_add_f32_e32 v20, v20, v21
	v_add_f32_e32 v20, v20, v22
	;; [unrolled: 1-line block ×4, first 2 shown]
	v_cvt_i32_f32_e32 v24, v21
	v_cvt_i32_f32_e32 v26, v25
	;; [unrolled: 1-line block ×4, first 2 shown]
	v_cvt_f32_i32_dpp v23, v24 row_shl:8 row_mask:0xf bank_mask:0xf bound_ctrl:1
	v_cvt_f32_i32_dpp v24, v26 row_bcast:15 row_mask:0xf bank_mask:0xf bound_ctrl:1
	v_cvt_f32_i32_dpp v26, v20 row_shl:4 row_mask:0xf bank_mask:0xf bound_ctrl:1
	v_cvt_i32_f32_e32 v18, v18
	v_add_f32_e32 v21, v21, v23
	v_cvt_i32_f32_e32 v19, v19
	v_add_f32_e32 v22, v22, v26
	v_cvt_i32_f32_e32 v23, v22
	v_cvt_f32_i32_dpp v17, v17 row_shl:1 row_mask:0xf bank_mask:0xf bound_ctrl:1
	v_cvt_f32_i32_dpp v18, v18 row_shl:2 row_mask:0xf bank_mask:0xf bound_ctrl:1
	;; [unrolled: 1-line block ×4, first 2 shown]
	v_add_f32_e32 v16, v16, v17
	v_add_f32_e32 v16, v16, v18
	v_add_f32_e32 v16, v16, v19
	v_add_f32_e32 v19, v22, v23
	v_cvt_i32_f32_e32 v21, v21
	v_cvt_i32_f32_e32 v17, v16
	;; [unrolled: 1-line block ×7, first 2 shown]
	v_add_f32_e32 v20, v25, v24
	v_cvt_i32_f32_e32 v15, v15
	v_cvt_f32_i32_dpp v18, v21 row_shr:15 row_mask:0xf bank_mask:0xf bound_ctrl:1
	v_cvt_f32_i32_dpp v17, v17 row_shl:4 row_mask:0xf bank_mask:0xf bound_ctrl:1
	v_cvt_i32_f32_e32 v21, v20
	v_cvt_f32_i32_dpp v19, v19 row_shr:15 row_mask:0xf bank_mask:0xf bound_ctrl:1
	v_cvt_f32_i32_dpp v1, v1 row_shl:1 row_mask:0xf bank_mask:0xf bound_ctrl:1
	v_cvt_f32_i32_dpp v13, v13 row_shl:1 row_mask:0xf bank_mask:0xf bound_ctrl:1
	v_cvt_i32_f32_e32 v9, v9
	v_cvt_f32_i32_dpp v2, v2 row_shl:2 row_mask:0xf bank_mask:0xf bound_ctrl:1
	v_cvt_i32_f32_e32 v3, v3
	;; [unrolled: 2-line block ×4, first 2 shown]
	v_add_f32_e32 v23, v16, v17
	v_mov_b32_dpp v17, v21 row_bcast:31 row_mask:0xf bank_mask:0xf bound_ctrl:1
	v_cvt_i32_f32_e32 v21, v19
	v_add_f32_e32 v0, v0, v1
	v_add_f32_e32 v12, v12, v13
	v_cvt_f32_i32_dpp v9, v9 row_shl:1 row_mask:0xf bank_mask:0xf bound_ctrl:1
	v_add_f32_e32 v0, v0, v2
	v_cvt_f32_i32_dpp v1, v3 row_shl:3 row_mask:0xf bank_mask:0xf bound_ctrl:1
	v_cvt_i32_f32_e32 v2, v5
	v_add_f32_e32 v12, v12, v14
	v_cvt_f32_i32_dpp v10, v10 row_shl:2 row_mask:0xf bank_mask:0xf bound_ctrl:1
	v_cvt_i32_f32_e32 v3, v6
	;; [unrolled: 3-line block ×3, first 2 shown]
	v_cvt_f32_i32_dpp v21, v21 row_bcast:15 row_mask:0xf bank_mask:0xf bound_ctrl:1
	v_cvt_i32_f32_e32 v12, v14
	v_add_f32_e32 v8, v8, v9
	v_add_f32_e32 v0, v0, v1
	v_cvt_f32_i32_dpp v1, v2 row_shl:1 row_mask:0xf bank_mask:0xf bound_ctrl:1
	v_add_f32_e32 v8, v8, v10
	v_cvt_f32_i32_dpp v2, v3 row_shl:2 row_mask:0xf bank_mask:0xf bound_ctrl:1
	;; [unrolled: 2-line block ×4, first 2 shown]
	v_cvt_i32_f32_e32 v10, v9
	v_add_f32_e32 v1, v4, v1
	v_add_f32_e32 v1, v1, v2
	;; [unrolled: 1-line block ×4, first 2 shown]
	v_cvt_f32_i32_dpp v10, v10 row_shl:4 row_mask:0xf bank_mask:0xf bound_ctrl:1
	v_cvt_i32_f32_e32 v5, v0
	v_cvt_i32_f32_e32 v2, v1
	;; [unrolled: 1-line block ×3, first 2 shown]
	v_add_f32_e32 v9, v9, v10
	v_cvt_f32_i32_dpp v4, v5 row_shl:4 row_mask:0xf bank_mask:0xf bound_ctrl:1
	v_cvt_f32_i32_dpp v2, v2 row_shl:4 row_mask:0xf bank_mask:0xf bound_ctrl:1
	;; [unrolled: 1-line block ×3, first 2 shown]
	v_cvt_i32_f32_e32 v10, v9
	v_add_f32_e32 v0, v0, v4
	v_add_f32_e32 v1, v1, v2
	v_cvt_i32_f32_e32 v22, v18
	v_cvt_i32_f32_e32 v16, v23
	v_add_f32_e32 v14, v14, v19
	v_cvt_f32_i32_dpp v3, v10 row_shl:8 row_mask:0xf bank_mask:0xf bound_ctrl:1
	v_cvt_i32_f32_e32 v4, v0
	v_cvt_i32_f32_e32 v2, v1
	;; [unrolled: 1-line block ×3, first 2 shown]
	v_cvt_f32_i32_dpp v22, v22 row_bcast:15 row_mask:0xf bank_mask:0xf bound_ctrl:1
	v_cvt_f32_i32_dpp v24, v16 row_shl:8 row_mask:0xf bank_mask:0xf bound_ctrl:1
	v_add_f32_e32 v3, v9, v3
	v_cvt_f32_i32_dpp v4, v4 row_shl:8 row_mask:0xf bank_mask:0xf bound_ctrl:1
	v_cvt_f32_i32_dpp v2, v2 row_shl:8 row_mask:0xf bank_mask:0xf bound_ctrl:1
	v_cvt_f32_i32_dpp v5, v14 row_shr:15 row_mask:0xf bank_mask:0xf bound_ctrl:1
	v_cvt_i32_f32_e32 v3, v3
	v_add_f32_e32 v16, v18, v22
	v_add_f32_e32 v22, v23, v24
	;; [unrolled: 1-line block ×4, first 2 shown]
	v_cvt_i32_f32_e32 v22, v22
	v_cvt_i32_f32_e32 v6, v5
	v_cvt_f32_i32_dpp v3, v3 row_shr:15 row_mask:0xf bank_mask:0xf bound_ctrl:1
	v_cvt_i32_f32_e32 v0, v0
	v_cvt_i32_f32_e32 v1, v1
	v_cvt_f32_i32_dpp v22, v22 row_shr:15 row_mask:0xf bank_mask:0xf bound_ctrl:1
	v_cvt_f32_i32_dpp v2, v6 row_bcast:15 row_mask:0xf bank_mask:0xf bound_ctrl:1
	v_cvt_f32_i32_dpp v0, v0 row_shr:15 row_mask:0xf bank_mask:0xf bound_ctrl:1
	v_cvt_i32_f32_e32 v4, v3
	v_cvt_f32_i32_dpp v1, v1 row_shr:15 row_mask:0xf bank_mask:0xf bound_ctrl:1
	v_cvt_i32_f32_e32 v18, v16
	v_cvt_i32_f32_e32 v23, v22
	v_add_f32_e32 v9, v5, v2
	v_cvt_i32_f32_e32 v2, v0
	v_cvt_f32_i32_dpp v4, v4 row_bcast:15 row_mask:0xf bank_mask:0xf bound_ctrl:1
	v_cvt_i32_f32_e32 v6, v1
	v_mov_b32_dpp v15, v18 row_bcast:31 row_mask:0xf bank_mask:0xf bound_ctrl:1
	v_cvt_f32_i32_dpp v18, v23 row_bcast:15 row_mask:0xf bank_mask:0xf bound_ctrl:1
	v_cvt_f32_i32_dpp v2, v2 row_bcast:15 row_mask:0xf bank_mask:0xf bound_ctrl:1
	v_add_f32_e32 v5, v3, v4
	v_cvt_f32_i32_dpp v3, v6 row_bcast:15 row_mask:0xf bank_mask:0xf bound_ctrl:1
	v_add_f32_e32 v12, v22, v18
	v_add_f32_e32 v2, v0, v2
	v_cvt_i32_f32_e32 v21, v13
	v_add_f32_e32 v0, v1, v3
	v_cvt_i32_f32_e32 v18, v12
	v_cvt_i32_f32_e32 v7, v9
	;; [unrolled: 1-line block ×5, first 2 shown]
	v_mov_b32_dpp v11, v21 row_bcast:31 row_mask:0xf bank_mask:0xf bound_ctrl:1
	v_mov_b32_dpp v8, v18 row_bcast:31 row_mask:0xf bank_mask:0xf bound_ctrl:1
	;; [unrolled: 1-line block ×6, first 2 shown]
	s_and_saveexec_b64 s[28:29], s[0:1]
	s_cbranch_execz .LBB252_109
; %bb.59:                               ;   in Loop: Header=BB252_19 Depth=1
	s_andn2_b64 vcc, exec, s[24:25]
	v_mov_b32_e32 v23, 0
	v_mov_b32_e32 v22, 0
	v_mov_b32_e32 v21, 0
	v_mov_b32_e32 v19, 0
	v_mov_b32_e32 v18, 0
	v_mov_b32_e32 v14, 0
	v_mov_b32_e32 v7, 0
	v_mov_b32_e32 v4, 0
	s_cbranch_vccnz .LBB252_61
; %bb.60:                               ;   in Loop: Header=BB252_19 Depth=1
	v_mul_hi_u32 v4, v82, v85
	v_mul_lo_u32 v4, v4, s18
	v_sub_u32_e32 v4, v82, v4
	v_subrev_u32_e32 v7, s18, v4
	v_cmp_le_u32_e32 vcc, s18, v4
	v_mov_b32_e32 v23, v87
	v_mov_b32_e32 v19, v87
	v_cndmask_b32_e32 v4, v4, v7, vcc
	v_subrev_u32_e32 v7, s18, v4
	v_cmp_le_u32_e32 vcc, s18, v4
	s_nop 1
	v_cndmask_b32_e32 v86, v4, v7, vcc
	v_mul_hi_u32 v4, v90, v85
	v_mul_lo_u32 v4, v4, s18
	v_sub_u32_e32 v4, v90, v4
	v_subrev_u32_e32 v7, s18, v4
	v_cmp_le_u32_e32 vcc, s18, v4
	v_add_u32_e32 v22, s39, v86
	v_lshl_add_u64 v[28:29], v[22:23], 1, s[12:13]
	v_cndmask_b32_e32 v4, v4, v7, vcc
	v_subrev_u32_e32 v7, s18, v4
	v_cmp_le_u32_e32 vcc, s18, v4
	v_lshl_add_u64 v[24:25], v[86:87], 1, s[12:13]
	s_nop 0
	v_cndmask_b32_e32 v18, v4, v7, vcc
	v_add_u32_e32 v22, s39, v18
	v_lshl_add_u64 v[30:31], v[22:23], 1, s[12:13]
	v_add_u32_e32 v22, s40, v86
	v_add_u32_e32 v86, s41, v86
	v_lshl_add_u64 v[32:33], v[22:23], 1, s[12:13]
	v_add_u32_e32 v22, s40, v18
	v_lshl_add_u64 v[36:37], v[86:87], 1, s[12:13]
	;; [unrolled: 2-line block ×3, first 2 shown]
	v_lshl_add_u64 v[34:35], v[22:23], 1, s[12:13]
	v_lshl_add_u64 v[38:39], v[86:87], 1, s[12:13]
	global_load_ushort v23, v[24:25], off
	global_load_ushort v22, v[26:27], off
	;; [unrolled: 1-line block ×8, first 2 shown]
.LBB252_61:                             ;   in Loop: Header=BB252_19 Depth=1
	v_cmp_ne_u32_e32 vcc, 0, v80
	s_and_saveexec_b64 s[6:7], vcc
	s_cbranch_execnz .LBB252_69
; %bb.62:                               ;   in Loop: Header=BB252_19 Depth=1
	s_or_b64 exec, exec, s[6:7]
	v_cmp_ne_u32_e64 s[4:5], 0, v81
	s_and_saveexec_b64 s[30:31], s[4:5]
	s_cbranch_execnz .LBB252_74
.LBB252_63:                             ;   in Loop: Header=BB252_19 Depth=1
	s_or_b64 exec, exec, s[30:31]
	v_add_u32_e32 v86, s11, v82
	s_and_saveexec_b64 s[30:31], vcc
	s_cbranch_execnz .LBB252_79
.LBB252_64:                             ;   in Loop: Header=BB252_19 Depth=1
	s_or_b64 exec, exec, s[30:31]
	s_and_saveexec_b64 s[30:31], s[4:5]
	s_cbranch_execnz .LBB252_84
.LBB252_65:                             ;   in Loop: Header=BB252_19 Depth=1
	s_or_b64 exec, exec, s[30:31]
	v_add_u32_e32 v86, s11, v86
	s_and_saveexec_b64 s[30:31], vcc
	s_cbranch_execnz .LBB252_89
.LBB252_66:                             ;   in Loop: Header=BB252_19 Depth=1
	s_or_b64 exec, exec, s[30:31]
	s_and_saveexec_b64 s[30:31], s[4:5]
	s_cbranch_execnz .LBB252_94
.LBB252_67:                             ;   in Loop: Header=BB252_19 Depth=1
	s_or_b64 exec, exec, s[30:31]
	v_add_u32_e32 v86, s11, v86
	s_and_saveexec_b64 s[6:7], vcc
	s_cbranch_execnz .LBB252_99
.LBB252_68:                             ;   in Loop: Header=BB252_19 Depth=1
	s_or_b64 exec, exec, s[6:7]
	s_and_b64 exec, exec, s[4:5]
	s_cbranch_execnz .LBB252_104
	s_branch .LBB252_109
.LBB252_69:                             ;   in Loop: Header=BB252_19 Depth=1
	v_cvt_f32_i32_e32 v17, v17
	v_add_f32_e32 v17, v20, v17
	s_waitcnt vmcnt(7)
	v_lshlrev_b32_e32 v20, 16, v23
	v_add_f32_e32 v20, v17, v20
	v_and_b32_e32 v17, 0x7f800000, v20
	v_cmp_ne_u32_e64 s[4:5], s44, v17
                                        ; implicit-def: $vgpr17
	s_and_saveexec_b64 s[30:31], s[4:5]
	s_xor_b64 s[4:5], exec, s[30:31]
; %bb.70:                               ;   in Loop: Header=BB252_19 Depth=1
	v_bfe_u32 v17, v20, 16, 1
	v_add3_u32 v17, v20, v17, s10
                                        ; implicit-def: $vgpr20
; %bb.71:                               ;   in Loop: Header=BB252_19 Depth=1
	s_andn2_saveexec_b64 s[30:31], s[4:5]
; %bb.72:                               ;   in Loop: Header=BB252_19 Depth=1
	v_or_b32_e32 v17, 0x10000, v20
	v_cmp_eq_u32_sdwa s[4:5], v20, v87 src0_sel:WORD_0 src1_sel:DWORD
	s_nop 1
	v_cndmask_b32_e64 v17, v17, v20, s[4:5]
; %bb.73:                               ;   in Loop: Header=BB252_19 Depth=1
	s_or_b64 exec, exec, s[30:31]
	v_mov_b32_e32 v83, v87
	v_lshl_add_u64 v[24:25], v[82:83], 1, s[14:15]
	global_store_short_d16_hi v[24:25], v17, off
	s_or_b64 exec, exec, s[6:7]
	v_cmp_ne_u32_e64 s[4:5], 0, v81
	s_and_saveexec_b64 s[30:31], s[4:5]
	s_cbranch_execz .LBB252_63
.LBB252_74:                             ;   in Loop: Header=BB252_19 Depth=1
	v_cvt_f32_i32_e32 v15, v15
	v_add_f32_e32 v15, v16, v15
	s_waitcnt vmcnt(6)
	v_lshlrev_b32_e32 v16, 16, v22
	v_add_f32_e32 v16, v15, v16
	v_and_b32_e32 v15, 0x7f800000, v16
	v_cmp_ne_u32_e64 s[6:7], s44, v15
                                        ; implicit-def: $vgpr15
	s_and_saveexec_b64 s[34:35], s[6:7]
	s_xor_b64 s[6:7], exec, s[34:35]
; %bb.75:                               ;   in Loop: Header=BB252_19 Depth=1
	v_bfe_u32 v15, v16, 16, 1
	v_add3_u32 v15, v16, v15, s10
                                        ; implicit-def: $vgpr16
; %bb.76:                               ;   in Loop: Header=BB252_19 Depth=1
	s_andn2_saveexec_b64 s[34:35], s[6:7]
; %bb.77:                               ;   in Loop: Header=BB252_19 Depth=1
	v_or_b32_e32 v15, 0x10000, v16
	v_cmp_eq_u32_sdwa s[6:7], v16, v87 src0_sel:WORD_0 src1_sel:DWORD
	s_nop 1
	v_cndmask_b32_e64 v15, v15, v16, s[6:7]
; %bb.78:                               ;   in Loop: Header=BB252_19 Depth=1
	s_or_b64 exec, exec, s[34:35]
	v_mov_b32_e32 v91, v87
	v_lshl_add_u64 v[16:17], v[90:91], 1, s[14:15]
	global_store_short_d16_hi v[16:17], v15, off
	s_or_b64 exec, exec, s[30:31]
	v_add_u32_e32 v86, s11, v82
	s_and_saveexec_b64 s[30:31], vcc
	s_cbranch_execz .LBB252_64
.LBB252_79:                             ;   in Loop: Header=BB252_19 Depth=1
	v_cvt_f32_i32_e32 v11, v11
	v_add_f32_e32 v11, v13, v11
	s_waitcnt vmcnt(5)
	v_lshlrev_b32_e32 v13, 16, v21
	v_add_f32_e32 v13, v11, v13
	v_and_b32_e32 v11, 0x7f800000, v13
	v_cmp_ne_u32_e64 s[6:7], s44, v11
                                        ; implicit-def: $vgpr11
	s_and_saveexec_b64 s[34:35], s[6:7]
	s_xor_b64 s[6:7], exec, s[34:35]
; %bb.80:                               ;   in Loop: Header=BB252_19 Depth=1
	v_bfe_u32 v11, v13, 16, 1
	v_add3_u32 v11, v13, v11, s10
                                        ; implicit-def: $vgpr13
; %bb.81:                               ;   in Loop: Header=BB252_19 Depth=1
	s_andn2_saveexec_b64 s[34:35], s[6:7]
; %bb.82:                               ;   in Loop: Header=BB252_19 Depth=1
	v_or_b32_e32 v11, 0x10000, v13
	v_cmp_eq_u32_sdwa s[6:7], v13, v87 src0_sel:WORD_0 src1_sel:DWORD
	s_nop 1
	v_cndmask_b32_e64 v11, v11, v13, s[6:7]
; %bb.83:                               ;   in Loop: Header=BB252_19 Depth=1
	s_or_b64 exec, exec, s[34:35]
	v_lshl_add_u64 v[16:17], v[86:87], 1, s[14:15]
	global_store_short_d16_hi v[16:17], v11, off
	s_or_b64 exec, exec, s[30:31]
	s_and_saveexec_b64 s[30:31], s[4:5]
	s_cbranch_execz .LBB252_65
.LBB252_84:                             ;   in Loop: Header=BB252_19 Depth=1
	v_cvt_f32_i32_e32 v8, v8
	s_waitcnt vmcnt(4)
	v_lshlrev_b32_e32 v11, 16, v19
	v_add_f32_e32 v8, v12, v8
	v_add_f32_e32 v11, v8, v11
	v_and_b32_e32 v8, 0x7f800000, v11
	v_cmp_ne_u32_e64 s[6:7], s44, v8
                                        ; implicit-def: $vgpr8
	s_and_saveexec_b64 s[34:35], s[6:7]
	s_xor_b64 s[6:7], exec, s[34:35]
; %bb.85:                               ;   in Loop: Header=BB252_19 Depth=1
	v_bfe_u32 v8, v11, 16, 1
	v_add3_u32 v8, v11, v8, s10
                                        ; implicit-def: $vgpr11
; %bb.86:                               ;   in Loop: Header=BB252_19 Depth=1
	s_andn2_saveexec_b64 s[34:35], s[6:7]
; %bb.87:                               ;   in Loop: Header=BB252_19 Depth=1
	v_or_b32_e32 v8, 0x10000, v11
	v_cmp_eq_u32_sdwa s[6:7], v11, v87 src0_sel:WORD_0 src1_sel:DWORD
	s_nop 1
	v_cndmask_b32_e64 v8, v8, v11, s[6:7]
; %bb.88:                               ;   in Loop: Header=BB252_19 Depth=1
	s_or_b64 exec, exec, s[34:35]
	v_add_u32_e32 v12, 1, v86
	v_mov_b32_e32 v13, v87
	v_lshl_add_u64 v[12:13], v[12:13], 1, s[14:15]
	global_store_short_d16_hi v[12:13], v8, off
	s_or_b64 exec, exec, s[30:31]
	v_add_u32_e32 v86, s11, v86
	s_and_saveexec_b64 s[30:31], vcc
	s_cbranch_execz .LBB252_66
.LBB252_89:                             ;   in Loop: Header=BB252_19 Depth=1
	v_cvt_f32_i32_e32 v8, v10
	v_add_f32_e32 v8, v9, v8
	s_waitcnt vmcnt(3)
	v_lshlrev_b32_e32 v9, 16, v18
	v_add_f32_e32 v9, v8, v9
	v_and_b32_e32 v8, 0x7f800000, v9
	v_cmp_ne_u32_e64 s[6:7], s44, v8
                                        ; implicit-def: $vgpr8
	s_and_saveexec_b64 s[34:35], s[6:7]
	s_xor_b64 s[6:7], exec, s[34:35]
; %bb.90:                               ;   in Loop: Header=BB252_19 Depth=1
	v_bfe_u32 v8, v9, 16, 1
	v_add3_u32 v8, v9, v8, s10
                                        ; implicit-def: $vgpr9
; %bb.91:                               ;   in Loop: Header=BB252_19 Depth=1
	s_andn2_saveexec_b64 s[34:35], s[6:7]
; %bb.92:                               ;   in Loop: Header=BB252_19 Depth=1
	v_or_b32_e32 v8, 0x10000, v9
	v_cmp_eq_u32_sdwa s[6:7], v9, v87 src0_sel:WORD_0 src1_sel:DWORD
	s_nop 1
	v_cndmask_b32_e64 v8, v8, v9, s[6:7]
; %bb.93:                               ;   in Loop: Header=BB252_19 Depth=1
	s_or_b64 exec, exec, s[34:35]
	v_lshl_add_u64 v[10:11], v[86:87], 1, s[14:15]
	global_store_short_d16_hi v[10:11], v8, off
	s_or_b64 exec, exec, s[30:31]
	s_and_saveexec_b64 s[30:31], s[4:5]
	s_cbranch_execz .LBB252_67
.LBB252_94:                             ;   in Loop: Header=BB252_19 Depth=1
	v_cvt_f32_i32_e32 v6, v6
	v_add_f32_e32 v5, v5, v6
	s_waitcnt vmcnt(2)
	v_lshlrev_b32_e32 v6, 16, v14
	v_add_f32_e32 v6, v5, v6
	v_and_b32_e32 v5, 0x7f800000, v6
	v_cmp_ne_u32_e64 s[6:7], s44, v5
                                        ; implicit-def: $vgpr5
	s_and_saveexec_b64 s[34:35], s[6:7]
	s_xor_b64 s[6:7], exec, s[34:35]
; %bb.95:                               ;   in Loop: Header=BB252_19 Depth=1
	v_bfe_u32 v5, v6, 16, 1
	v_add3_u32 v5, v6, v5, s10
                                        ; implicit-def: $vgpr6
; %bb.96:                               ;   in Loop: Header=BB252_19 Depth=1
	s_andn2_saveexec_b64 s[34:35], s[6:7]
; %bb.97:                               ;   in Loop: Header=BB252_19 Depth=1
	v_or_b32_e32 v5, 0x10000, v6
	v_cmp_eq_u32_sdwa s[6:7], v6, v87 src0_sel:WORD_0 src1_sel:DWORD
	s_nop 1
	v_cndmask_b32_e64 v5, v5, v6, s[6:7]
; %bb.98:                               ;   in Loop: Header=BB252_19 Depth=1
	s_or_b64 exec, exec, s[34:35]
	v_add_u32_e32 v8, 1, v86
	v_mov_b32_e32 v9, v87
	v_lshl_add_u64 v[8:9], v[8:9], 1, s[14:15]
	global_store_short_d16_hi v[8:9], v5, off
	s_or_b64 exec, exec, s[30:31]
	v_add_u32_e32 v86, s11, v86
	s_and_saveexec_b64 s[6:7], vcc
	s_cbranch_execz .LBB252_68
.LBB252_99:                             ;   in Loop: Header=BB252_19 Depth=1
	v_cvt_f32_i32_e32 v3, v3
	v_add_f32_e32 v2, v2, v3
	s_waitcnt vmcnt(1)
	v_lshlrev_b32_e32 v3, 16, v7
	v_add_f32_e32 v3, v2, v3
	v_and_b32_e32 v2, 0x7f800000, v3
	v_cmp_ne_u32_e32 vcc, s44, v2
                                        ; implicit-def: $vgpr2
	s_and_saveexec_b64 s[30:31], vcc
	s_xor_b64 s[30:31], exec, s[30:31]
; %bb.100:                              ;   in Loop: Header=BB252_19 Depth=1
	v_bfe_u32 v2, v3, 16, 1
	v_add3_u32 v2, v3, v2, s10
                                        ; implicit-def: $vgpr3
; %bb.101:                              ;   in Loop: Header=BB252_19 Depth=1
	s_andn2_saveexec_b64 s[30:31], s[30:31]
; %bb.102:                              ;   in Loop: Header=BB252_19 Depth=1
	v_or_b32_e32 v2, 0x10000, v3
	v_cmp_eq_u32_sdwa vcc, v3, v87 src0_sel:WORD_0 src1_sel:DWORD
	s_nop 1
	v_cndmask_b32_e32 v2, v2, v3, vcc
; %bb.103:                              ;   in Loop: Header=BB252_19 Depth=1
	s_or_b64 exec, exec, s[30:31]
	v_lshl_add_u64 v[6:7], v[86:87], 1, s[14:15]
	global_store_short_d16_hi v[6:7], v2, off
	s_or_b64 exec, exec, s[6:7]
	s_and_b64 exec, exec, s[4:5]
	s_cbranch_execz .LBB252_109
.LBB252_104:                            ;   in Loop: Header=BB252_19 Depth=1
	v_cvt_f32_i32_e32 v1, v1
	v_add_f32_e32 v0, v0, v1
	s_waitcnt vmcnt(0)
	v_lshlrev_b32_e32 v1, 16, v4
	v_add_f32_e32 v1, v0, v1
	v_and_b32_e32 v0, 0x7f800000, v1
	v_cmp_ne_u32_e32 vcc, s44, v0
                                        ; implicit-def: $vgpr0
	s_and_saveexec_b64 s[4:5], vcc
	s_xor_b64 s[4:5], exec, s[4:5]
; %bb.105:                              ;   in Loop: Header=BB252_19 Depth=1
	v_bfe_u32 v0, v1, 16, 1
	v_add3_u32 v0, v1, v0, s10
                                        ; implicit-def: $vgpr1
; %bb.106:                              ;   in Loop: Header=BB252_19 Depth=1
	s_andn2_saveexec_b64 s[4:5], s[4:5]
; %bb.107:                              ;   in Loop: Header=BB252_19 Depth=1
	v_or_b32_e32 v0, 0x10000, v1
	v_cmp_eq_u32_sdwa vcc, v1, v87 src0_sel:WORD_0 src1_sel:DWORD
	s_nop 1
	v_cndmask_b32_e32 v0, v0, v1, vcc
; %bb.108:                              ;   in Loop: Header=BB252_19 Depth=1
	s_or_b64 exec, exec, s[4:5]
	v_add_u32_e32 v86, 1, v86
	v_lshl_add_u64 v[2:3], v[86:87], 1, s[14:15]
	global_store_short_d16_hi v[2:3], v0, off
.LBB252_109:                            ;   in Loop: Header=BB252_19 Depth=1
	s_or_b64 exec, exec, s[28:29]
	v_add_u32_e32 v82, s38, v82
	v_add_u32_e32 v0, 2, v82
	v_cmp_gt_u32_e32 vcc, s11, v82
	v_cmp_le_u32_e64 s[4:5], s11, v0
	s_and_b64 s[4:5], vcc, s[4:5]
	s_and_saveexec_b64 s[6:7], s[4:5]
	s_cbranch_execz .LBB252_18
; %bb.110:                              ;   in Loop: Header=BB252_19 Depth=1
	v_cmp_ne_u32_e32 vcc, s19, v82
	s_and_saveexec_b64 s[28:29], vcc
	s_cbranch_execz .LBB252_17
; %bb.111:                              ;   in Loop: Header=BB252_19 Depth=1
	v_subrev_u32_e32 v0, s19, v82
	v_cmp_lt_u32_e32 vcc, 1, v0
	s_mov_b64 s[30:31], 0
	s_mov_b64 s[34:35], 0
	v_cndmask_b32_e32 v0, 1, v0, vcc
.LBB252_112:                            ;   Parent Loop BB252_19 Depth=1
                                        ; =>  This Inner Loop Header: Depth=2
	s_cmp_lg_u32 s34, 1
	s_cselect_b64 vcc, -1, 0
	s_cmp_lg_u32 s34, 0
	v_cndmask_b32_e32 v81, 0, v81, vcc
	s_cselect_b64 vcc, -1, 0
	s_add_u32 s34, s34, 1
	s_addc_u32 s35, s35, 0
	v_cmp_eq_u32_e64 s[4:5], s34, v0
	s_or_b64 s[30:31], s[4:5], s[30:31]
	v_cndmask_b32_e32 v80, 0, v80, vcc
	s_andn2_b64 exec, exec, s[30:31]
	s_cbranch_execnz .LBB252_112
; %bb.113:                              ;   in Loop: Header=BB252_19 Depth=1
	s_or_b64 exec, exec, s[30:31]
	s_branch .LBB252_17
.LBB252_114:
	s_endpgm
	.section	.rodata,"a",@progbits
	.p2align	6, 0x0
	.amdhsa_kernel _Z12wvSplitK_hf_I14__hip_bfloat16Li32ELi2ELi16ELi8ELi2ELi4EEviiiiiiPKT_S3_S3_PS1_ii
		.amdhsa_group_segment_fixed_size 65536
		.amdhsa_private_segment_fixed_size 0
		.amdhsa_kernarg_size 64
		.amdhsa_user_sgpr_count 2
		.amdhsa_user_sgpr_dispatch_ptr 0
		.amdhsa_user_sgpr_queue_ptr 0
		.amdhsa_user_sgpr_kernarg_segment_ptr 1
		.amdhsa_user_sgpr_dispatch_id 0
		.amdhsa_user_sgpr_kernarg_preload_length 0
		.amdhsa_user_sgpr_kernarg_preload_offset 0
		.amdhsa_user_sgpr_private_segment_size 0
		.amdhsa_uses_dynamic_stack 0
		.amdhsa_enable_private_segment 0
		.amdhsa_system_sgpr_workgroup_id_x 1
		.amdhsa_system_sgpr_workgroup_id_y 0
		.amdhsa_system_sgpr_workgroup_id_z 0
		.amdhsa_system_sgpr_workgroup_info 0
		.amdhsa_system_vgpr_workitem_id 1
		.amdhsa_next_free_vgpr 104
		.amdhsa_next_free_sgpr 45
		.amdhsa_accum_offset 104
		.amdhsa_reserve_vcc 1
		.amdhsa_float_round_mode_32 0
		.amdhsa_float_round_mode_16_64 0
		.amdhsa_float_denorm_mode_32 3
		.amdhsa_float_denorm_mode_16_64 3
		.amdhsa_dx10_clamp 1
		.amdhsa_ieee_mode 1
		.amdhsa_fp16_overflow 0
		.amdhsa_tg_split 0
		.amdhsa_exception_fp_ieee_invalid_op 0
		.amdhsa_exception_fp_denorm_src 0
		.amdhsa_exception_fp_ieee_div_zero 0
		.amdhsa_exception_fp_ieee_overflow 0
		.amdhsa_exception_fp_ieee_underflow 0
		.amdhsa_exception_fp_ieee_inexact 0
		.amdhsa_exception_int_div_zero 0
	.end_amdhsa_kernel
	.section	.text._Z12wvSplitK_hf_I14__hip_bfloat16Li32ELi2ELi16ELi8ELi2ELi4EEviiiiiiPKT_S3_S3_PS1_ii,"axG",@progbits,_Z12wvSplitK_hf_I14__hip_bfloat16Li32ELi2ELi16ELi8ELi2ELi4EEviiiiiiPKT_S3_S3_PS1_ii,comdat
.Lfunc_end252:
	.size	_Z12wvSplitK_hf_I14__hip_bfloat16Li32ELi2ELi16ELi8ELi2ELi4EEviiiiiiPKT_S3_S3_PS1_ii, .Lfunc_end252-_Z12wvSplitK_hf_I14__hip_bfloat16Li32ELi2ELi16ELi8ELi2ELi4EEviiiiiiPKT_S3_S3_PS1_ii
                                        ; -- End function
	.section	.AMDGPU.csdata,"",@progbits
; Kernel info:
; codeLenInByte = 5040
; NumSgprs: 51
; NumVgprs: 104
; NumAgprs: 0
; TotalNumVgprs: 104
; ScratchSize: 0
; MemoryBound: 1
; FloatMode: 240
; IeeeMode: 1
; LDSByteSize: 65536 bytes/workgroup (compile time only)
; SGPRBlocks: 6
; VGPRBlocks: 12
; NumSGPRsForWavesPerEU: 51
; NumVGPRsForWavesPerEU: 104
; AccumOffset: 104
; Occupancy: 2
; WaveLimiterHint : 0
; COMPUTE_PGM_RSRC2:SCRATCH_EN: 0
; COMPUTE_PGM_RSRC2:USER_SGPR: 2
; COMPUTE_PGM_RSRC2:TRAP_HANDLER: 0
; COMPUTE_PGM_RSRC2:TGID_X_EN: 1
; COMPUTE_PGM_RSRC2:TGID_Y_EN: 0
; COMPUTE_PGM_RSRC2:TGID_Z_EN: 0
; COMPUTE_PGM_RSRC2:TIDIG_COMP_CNT: 1
; COMPUTE_PGM_RSRC3_GFX90A:ACCUM_OFFSET: 25
; COMPUTE_PGM_RSRC3_GFX90A:TG_SPLIT: 0
	.section	.text._Z16wvSplitK_hf_big_I14__hip_bfloat16Li32ELi2ELi16ELi8ELi2ELi4EEviiiiiiPKT_S3_S3_PS1_ii,"axG",@progbits,_Z16wvSplitK_hf_big_I14__hip_bfloat16Li32ELi2ELi16ELi8ELi2ELi4EEviiiiiiPKT_S3_S3_PS1_ii,comdat
	.protected	_Z16wvSplitK_hf_big_I14__hip_bfloat16Li32ELi2ELi16ELi8ELi2ELi4EEviiiiiiPKT_S3_S3_PS1_ii ; -- Begin function _Z16wvSplitK_hf_big_I14__hip_bfloat16Li32ELi2ELi16ELi8ELi2ELi4EEviiiiiiPKT_S3_S3_PS1_ii
	.globl	_Z16wvSplitK_hf_big_I14__hip_bfloat16Li32ELi2ELi16ELi8ELi2ELi4EEviiiiiiPKT_S3_S3_PS1_ii
	.p2align	8
	.type	_Z16wvSplitK_hf_big_I14__hip_bfloat16Li32ELi2ELi16ELi8ELi2ELi4EEviiiiiiPKT_S3_S3_PS1_ii,@function
_Z16wvSplitK_hf_big_I14__hip_bfloat16Li32ELi2ELi16ELi8ELi2ELi4EEviiiiiiPKT_S3_S3_PS1_ii: ; @_Z16wvSplitK_hf_big_I14__hip_bfloat16Li32ELi2ELi16ELi8ELi2ELi4EEviiiiiiPKT_S3_S3_PS1_ii
; %bb.0:
	s_load_dwordx2 s[4:5], s[0:1], 0x38
	v_bfe_u32 v1, v0, 10, 10
	s_waitcnt lgkmcnt(0)
	v_cmp_gt_u32_e32 vcc, s4, v1
	s_and_saveexec_b64 s[6:7], vcc
	s_cbranch_execz .LBB253_88
; %bb.1:
	s_load_dwordx4 s[20:23], s[0:1], 0x0
	s_mul_i32 s2, s2, s4
	v_add_lshl_u32 v82, s2, v1, 1
	s_mov_b32 s6, 1
	v_add_u32_e32 v2, 2, v82
	s_waitcnt lgkmcnt(0)
	v_cmp_gt_u32_e32 vcc, s23, v82
	v_cmp_le_u32_e64 s[2:3], s23, v2
	s_mov_b32 s7, s6
	s_and_b64 s[8:9], vcc, s[2:3]
	v_mov_b64_e32 v[80:81], s[6:7]
	s_and_saveexec_b64 s[2:3], s[8:9]
	s_cbranch_execz .LBB253_7
; %bb.2:
	s_add_i32 s14, s23, -2
	v_cmp_ne_u32_e32 vcc, s14, v82
	v_mov_b64_e32 v[80:81], s[6:7]
	s_and_saveexec_b64 s[6:7], vcc
	s_cbranch_execz .LBB253_6
; %bb.3:
	v_subrev_u32_e32 v2, s14, v82
	s_mov_b32 s8, 1
	v_cmp_lt_u32_e32 vcc, 1, v2
	s_mov_b64 s[10:11], 0
	s_mov_b64 s[12:13], 0
	v_cndmask_b32_e32 v2, 1, v2, vcc
	s_mov_b32 s9, s8
.LBB253_4:                              ; =>This Inner Loop Header: Depth=1
	s_cmp_lg_u32 s12, 1
	s_cselect_b32 s9, s9, 0
	s_cmp_lg_u32 s12, 0
	s_cselect_b32 s8, s8, 0
	s_add_u32 s12, s12, 1
	s_addc_u32 s13, s13, 0
	v_cmp_eq_u32_e32 vcc, s12, v2
	s_or_b64 s[10:11], vcc, s[10:11]
	v_mov_b64_e32 v[80:81], s[8:9]
	s_andn2_b64 exec, exec, s[10:11]
	s_cbranch_execnz .LBB253_4
; %bb.5:
	s_or_b64 exec, exec, s[10:11]
	v_mov_b32_e32 v82, s14
.LBB253_6:
	s_or_b64 exec, exec, s[6:7]
.LBB253_7:
	s_or_b64 exec, exec, s[2:3]
	s_lshl_b32 s2, s4, 1
	s_abs_i32 s3, s2
	v_cvt_f32_u32_e32 v2, s3
	s_sub_i32 s8, 0, s3
	s_abs_i32 s7, s23
	s_ashr_i32 s6, s23, 31
	v_rcp_iflag_f32_e32 v2, v2
	s_nop 0
	v_mul_f32_e32 v2, 0x4f7ffffe, v2
	v_cvt_u32_f32_e32 v2, v2
	s_nop 0
	v_readfirstlane_b32 s9, v2
	s_mul_i32 s8, s8, s9
	s_mul_hi_u32 s8, s9, s8
	s_add_i32 s9, s9, s8
	s_mul_hi_u32 s8, s7, s9
	s_mul_i32 s8, s8, s3
	s_sub_i32 s7, s7, s8
	s_sub_i32 s8, s7, s3
	s_cmp_ge_u32 s7, s3
	s_cselect_b32 s7, s8, s7
	s_sub_i32 s8, s7, s3
	s_cmp_ge_u32 s7, s3
	s_cselect_b32 s3, s8, s7
	s_xor_b32 s3, s3, s6
	s_sub_i32 s3, s3, s6
	s_add_i32 s2, s2, s23
	s_sub_i32 s2, s2, s3
	s_cmp_eq_u32 s3, 0
	s_cselect_b32 s33, s23, s2
	v_cmp_gt_u32_e32 vcc, s33, v82
	s_and_b64 exec, exec, vcc
	s_cbranch_execz .LBB253_88
; %bb.8:
	s_load_dwordx8 s[12:19], s[0:1], 0x10
	s_min_u32 s40, s22, 0x2000
	s_cmp_lg_u32 s20, 0
	s_load_dwordx2 s[10:11], s[0:1], 0x30
	s_cselect_b64 s[2:3], -1, 0
	s_cmp_lg_u32 s22, 0
	s_mul_i32 s0, s5, s4
	s_cselect_b64 s[6:7], -1, 0
	s_lshl_b32 s41, s4, 8
	s_add_i32 s42, s20, -8
	s_add_i32 s43, s23, -1
	s_lshl_b32 s44, s0, 1
	s_waitcnt lgkmcnt(0)
	s_cmp_lg_u64 s[18:19], 0
	s_cselect_b64 s[26:27], -1, 0
	s_abs_i32 s5, s13
	v_cvt_f32_u32_e32 v2, s12
	v_cvt_f32_u32_e32 v3, s5
	s_sub_i32 s8, 0, s12
	s_add_i32 s13, s23, -2
	v_rcp_iflag_f32_e32 v2, v2
	v_rcp_iflag_f32_e32 v3, v3
	v_and_b32_e32 v0, 0x3ff, v0
	v_lshlrev_b32_e32 v87, 3, v0
	v_mul_f32_e32 v2, 0x4f7ffffe, v2
	v_mul_f32_e32 v3, 0x4f7ffffe, v3
	v_cvt_u32_f32_e32 v2, v2
	v_cvt_u32_f32_e32 v3, v3
	v_cmp_eq_u32_e64 s[0:1], 31, v0
	v_lshlrev_b32_e32 v0, 4, v0
	v_mul_lo_u32 v4, s8, v2
	s_sub_i32 s8, 0, s5
	v_readfirstlane_b32 s9, v3
	s_mul_i32 s8, s8, s9
	s_mul_hi_u32 s8, s9, s8
	s_add_i32 s9, s9, s8
	s_sub_i32 s8, 1, s5
	s_cmp_lt_u32 s5, 2
	s_cselect_b32 s8, s8, 1
	s_sub_i32 s28, s8, s5
	s_cmp_ge_u32 s8, s5
	s_cselect_b32 s45, s28, s8
	s_lshr_b32 s8, s9, 31
	s_mul_i32 s8, s8, s5
	s_sub_i32 s8, 2, s8
	s_sub_i32 s28, s8, s5
	s_cmp_ge_u32 s8, s5
	s_cselect_b32 s8, s28, s8
	s_sub_i32 s28, s8, s5
	s_cmp_ge_u32 s8, s5
	s_cselect_b32 s46, s28, s8
	s_mul_hi_u32 s8, s9, 3
	s_mul_i32 s8, s8, s5
	s_sub_i32 s8, 3, s8
	s_sub_i32 s9, s8, s5
	s_cmp_ge_u32 s8, s5
	s_cselect_b32 s8, s9, s8
	s_sub_i32 s9, s8, s5
	s_cmp_ge_u32 s8, s5
	s_cselect_b32 s47, s9, s8
	s_add_u32 s28, s10, 2
	v_lshl_add_u32 v95, v1, 9, v0
	v_lshl_add_u32 v86, v1, 8, v87
	v_cndmask_b32_e64 v0, 0, 1, s[2:3]
	v_mul_hi_u32 v4, v2, v4
	s_addc_u32 s29, s11, 0
	s_lshl_b32 s49, s4, 9
	v_mad_u64_u32 v[88:89], s[4:5], s22, 3, v[86:87]
	v_cmp_ne_u32_e64 s[2:3], 1, v0
	v_cndmask_b32_e64 v0, 0, 1, s[6:7]
	s_mov_b64 s[24:25], 0
	v_add_u32_e32 v94, v2, v4
	v_mov_b32_e32 v85, 0
	s_mul_i32 s45, s45, s12
	s_mul_i32 s46, s46, s12
	;; [unrolled: 1-line block ×4, first 2 shown]
	s_lshl_b32 s50, s40, 2
	s_lshl_b32 s51, s40, 1
	v_lshl_add_u32 v96, s22, 1, v86
	v_add_u32_e32 v89, s22, v86
	v_cmp_ne_u32_e64 s[4:5], 1, v0
	s_mov_b32 s52, 0x7f800000
	s_movk_i32 s53, 0x7fff
	s_branch .LBB253_12
.LBB253_9:                              ;   in Loop: Header=BB253_12 Depth=1
	s_or_b64 exec, exec, s[34:35]
	v_mov_b32_e32 v82, s13
.LBB253_10:                             ;   in Loop: Header=BB253_12 Depth=1
	s_or_b64 exec, exec, s[8:9]
.LBB253_11:                             ;   in Loop: Header=BB253_12 Depth=1
	s_or_b64 exec, exec, s[30:31]
	v_cmp_le_u32_e32 vcc, s33, v82
	s_or_b64 s[24:25], vcc, s[24:25]
	s_andn2_b64 exec, exec, s[24:25]
	s_cbranch_execz .LBB253_88
.LBB253_12:                             ; =>This Loop Header: Depth=1
                                        ;     Child Loop BB253_17 Depth 2
                                        ;       Child Loop BB253_22 Depth 3
                                        ;     Child Loop BB253_86 Depth 2
	s_and_b64 vcc, exec, s[2:3]
	v_mov_b32_e32 v3, v85
	v_mov_b32_e32 v2, v85
	;; [unrolled: 1-line block ×4, first 2 shown]
	s_waitcnt vmcnt(1)
	v_mov_b32_e32 v7, v85
	v_mov_b32_e32 v6, v85
	;; [unrolled: 1-line block ×3, first 2 shown]
	s_waitcnt vmcnt(0)
	v_mov_b32_e32 v4, v85
	v_mov_b32_e32 v11, v85
	v_mov_b32_e32 v10, v85
	v_mov_b32_e32 v9, v85
	v_mov_b32_e32 v8, v85
	v_mov_b32_e32 v15, v85
	v_mov_b32_e32 v14, v85
	v_mov_b32_e32 v13, v85
	v_mov_b32_e32 v12, v85
	v_mov_b32_e32 v31, v85
	v_mov_b32_e32 v30, v85
	v_mov_b32_e32 v29, v85
	v_mov_b32_e32 v28, v85
	v_mov_b32_e32 v27, v85
	v_mov_b32_e32 v26, v85
	v_mov_b32_e32 v25, v85
	v_mov_b32_e32 v24, v85
	v_mov_b32_e32 v23, v85
	v_mov_b32_e32 v22, v85
	v_mov_b32_e32 v21, v85
	v_mov_b32_e32 v20, v85
	v_mov_b32_e32 v19, v85
	v_mov_b32_e32 v18, v85
	v_mov_b32_e32 v17, v85
	v_mov_b32_e32 v16, v85
	s_cbranch_vccnz .LBB253_29
; %bb.13:                               ;   in Loop: Header=BB253_12 Depth=1
	v_min_u32_e32 v0, s43, v82
	v_mul_lo_u32 v84, v0, s21
	v_add_u32_e32 v0, 1, v82
	v_min_u32_e32 v0, s43, v0
	v_mul_lo_u32 v0, v0, s21
	v_mov_b32_e32 v1, v85
	v_mov_b32_e32 v16, 0
	v_cmp_gt_u32_e64 s[6:7], s23, v82
	s_mov_b32 s36, 0
	v_lshlrev_b64 v[90:91], 1, v[84:85]
	v_lshlrev_b64 v[92:93], 1, v[0:1]
	s_mov_b32 s37, 0
	v_mov_b32_e32 v17, v16
	v_mov_b32_e32 v18, v16
	;; [unrolled: 1-line block ×31, first 2 shown]
	s_branch .LBB253_17
.LBB253_14:                             ;   in Loop: Header=BB253_17 Depth=2
	s_or_b64 exec, exec, s[34:35]
.LBB253_15:                             ;   in Loop: Header=BB253_17 Depth=2
	s_or_b64 exec, exec, s[30:31]
	s_waitcnt vmcnt(3) lgkmcnt(3)
	v_mfma_f32_4x4x4_16b_bf16 v[28:31], v[76:77], v[44:45], v[28:31]
	s_waitcnt vmcnt(2)
	v_mfma_f32_4x4x4_16b_bf16 v[24:27], v[76:77], v[40:41], v[24:27]
	s_waitcnt lgkmcnt(2)
	v_mfma_f32_4x4x4_16b_bf16 v[20:23], v[72:73], v[44:45], v[20:23]
	v_mfma_f32_4x4x4_16b_bf16 v[16:19], v[72:73], v[40:41], v[16:19]
	s_waitcnt lgkmcnt(1)
	v_mfma_f32_4x4x4_16b_bf16 v[12:15], v[68:69], v[44:45], v[12:15]
	;; [unrolled: 3-line block ×3, first 2 shown]
	v_mfma_f32_4x4x4_16b_bf16 v[0:3], v[56:57], v[40:41], v[0:3]
	v_mfma_f32_4x4x4_16b_bf16 v[28:31], v[78:79], v[46:47], v[28:31]
	;; [unrolled: 1-line block ×9, first 2 shown]
	s_waitcnt vmcnt(1)
	v_mfma_f32_4x4x4_16b_bf16 v[28:31], v[64:65], v[36:37], v[28:31]
	s_waitcnt vmcnt(0)
	v_mfma_f32_4x4x4_16b_bf16 v[24:27], v[64:65], v[32:33], v[24:27]
	v_mfma_f32_4x4x4_16b_bf16 v[20:23], v[60:61], v[36:37], v[20:23]
	;; [unrolled: 1-line block ×15, first 2 shown]
.LBB253_16:                             ;   in Loop: Header=BB253_17 Depth=2
	s_or_b64 exec, exec, s[8:9]
	s_addk_i32 s37, 0x200
	s_cmp_ge_u32 s37, s20
	s_cbranch_scc1 .LBB253_29
.LBB253_17:                             ;   Parent Loop BB253_12 Depth=1
                                        ; =>  This Loop Header: Depth=2
                                        ;       Child Loop BB253_22 Depth 3
	s_cmp_eq_u32 s37, 0
	s_cselect_b64 s[8:9], -1, 0
	s_add_i32 s30, s36, s40
	s_cmp_eq_u32 s37, s30
	s_cselect_b64 s[34:35], -1, 0
	s_or_b64 s[34:35], s[8:9], s[34:35]
	s_andn2_b64 vcc, exec, s[34:35]
	s_cbranch_vccz .LBB253_19
; %bb.18:                               ;   in Loop: Header=BB253_17 Depth=2
	s_and_saveexec_b64 s[8:9], s[6:7]
	s_cbranch_execz .LBB253_16
	s_branch .LBB253_26
.LBB253_19:                             ;   in Loop: Header=BB253_17 Depth=2
	s_and_b64 s[8:9], s[8:9], exec
	s_cselect_b32 s36, s36, s30
	s_and_b64 vcc, exec, s[4:5]
	s_barrier
	s_cbranch_vccnz .LBB253_25
; %bb.20:                               ;   in Loop: Header=BB253_17 Depth=2
	v_add_u32_e32 v32, s36, v96
	v_add_u32_e32 v33, s36, v88
	;; [unrolled: 1-line block ×4, first 2 shown]
	s_mov_b32 s38, 0
	s_mov_b64 s[30:31], 0
	v_mov_b32_e32 v36, v95
                                        ; implicit-def: $sgpr34_sgpr35
	s_branch .LBB253_22
.LBB253_21:                             ;   in Loop: Header=BB253_22 Depth=3
	s_or_b64 exec, exec, s[8:9]
	s_and_b64 s[8:9], exec, s[34:35]
	s_or_b64 s[30:31], s[8:9], s[30:31]
	s_andn2_b64 exec, exec, s[30:31]
	s_cbranch_execz .LBB253_24
.LBB253_22:                             ;   Parent Loop BB253_12 Depth=1
                                        ;     Parent Loop BB253_17 Depth=2
                                        ; =>    This Inner Loop Header: Depth=3
	v_add_u32_e32 v37, s38, v86
	v_add_u32_e32 v84, s38, v35
	v_cmp_gt_u32_e32 vcc, s22, v84
	v_cmp_gt_u32_e64 s[8:9], s40, v37
	s_and_b64 s[54:55], s[8:9], vcc
	s_or_b64 s[34:35], s[34:35], exec
	s_and_saveexec_b64 s[8:9], s[54:55]
	s_cbranch_execz .LBB253_21
; %bb.23:                               ;   in Loop: Header=BB253_22 Depth=3
	v_lshl_add_u64 v[38:39], v[84:85], 1, s[16:17]
	v_add_u32_e32 v84, s38, v34
	v_lshl_add_u64 v[42:43], v[84:85], 1, s[16:17]
	v_add_u32_e32 v84, s38, v32
	global_load_dwordx4 v[38:41], v[38:39], off
	s_nop 0
	global_load_dwordx4 v[42:45], v[42:43], off
	v_lshl_add_u64 v[46:47], v[84:85], 1, s[16:17]
	v_add_u32_e32 v84, s38, v33
	global_load_dwordx4 v[46:49], v[46:47], off
	v_lshl_add_u64 v[50:51], v[84:85], 1, s[16:17]
	global_load_dwordx4 v[50:53], v[50:51], off
	s_add_i32 s38, s38, s41
	s_cmp_ge_u32 s38, s40
	s_cselect_b64 s[54:55], -1, 0
	s_andn2_b64 s[34:35], s[34:35], exec
	s_and_b64 s[54:55], s[54:55], exec
	v_add_u32_e32 v37, s51, v36
	v_add_u32_e32 v54, s50, v36
	;; [unrolled: 1-line block ×3, first 2 shown]
	s_or_b64 s[34:35], s[34:35], s[54:55]
	s_waitcnt vmcnt(3)
	ds_write_b128 v36, v[38:41]
	v_add_u32_e32 v36, s49, v36
	s_waitcnt vmcnt(2)
	ds_write2_b64 v37, v[42:43], v[44:45] offset1:1
	s_waitcnt vmcnt(1)
	ds_write2_b32 v54, v46, v47 offset1:1
	ds_write2_b32 v54, v48, v49 offset0:2 offset1:3
	s_waitcnt vmcnt(0)
	ds_write2_b64 v55, v[50:51], v[52:53] offset1:1
	s_branch .LBB253_21
.LBB253_24:                             ;   in Loop: Header=BB253_17 Depth=2
	s_or_b64 exec, exec, s[30:31]
.LBB253_25:                             ;   in Loop: Header=BB253_17 Depth=2
	s_waitcnt lgkmcnt(0)
	s_barrier
	s_and_saveexec_b64 s[8:9], s[6:7]
	s_cbranch_execz .LBB253_16
.LBB253_26:                             ;   in Loop: Header=BB253_17 Depth=2
	v_add_u32_e32 v83, s37, v87
	v_min_u32_e32 v84, s42, v83
	v_lshl_add_u64 v[32:33], v[84:85], 1, s[14:15]
	v_add_u32_e32 v97, 0x100, v83
	v_lshl_add_u64 v[34:35], v[32:33], 0, v[90:91]
	v_lshl_add_u64 v[32:33], v[32:33], 0, v[92:93]
	v_min_u32_e32 v84, s42, v97
	global_load_dwordx4 v[44:47], v[34:35], off nt
	global_load_dwordx4 v[40:43], v[32:33], off nt
	v_lshl_add_u64 v[32:33], v[84:85], 1, s[14:15]
	v_lshl_add_u64 v[48:49], v[32:33], 0, v[90:91]
	;; [unrolled: 1-line block ×3, first 2 shown]
	global_load_dwordx4 v[36:39], v[48:49], off nt
	global_load_dwordx4 v[32:35], v[50:51], off nt
	v_cmp_gt_u32_e32 vcc, s20, v83
	v_mov_b32_e32 v50, 0
	v_mov_b32_e32 v51, 0
	;; [unrolled: 1-line block ×32, first 2 shown]
	s_and_saveexec_b64 s[30:31], vcc
	s_cbranch_execz .LBB253_15
; %bb.27:                               ;   in Loop: Header=BB253_17 Depth=2
	v_subrev_u32_e32 v48, s36, v83
	v_lshlrev_b32_e32 v99, 1, v48
	v_add_u32_e32 v98, s51, v99
	v_add_u32_e32 v84, s51, v98
	ds_read_b128 v[76:79], v99
	ds_read_b128 v[72:75], v98
	v_add_u32_e32 v83, s51, v84
	ds_read_b128 v[68:71], v84
	ds_read_b128 v[56:59], v83
	v_cmp_gt_u32_e32 vcc, s20, v97
	v_mov_b32_e32 v65, 0
	v_mov_b32_e32 v64, 0
	;; [unrolled: 1-line block ×16, first 2 shown]
	s_and_saveexec_b64 s[34:35], vcc
	s_cbranch_execz .LBB253_14
; %bb.28:                               ;   in Loop: Header=BB253_17 Depth=2
	ds_read_b128 v[64:67], v99 offset:512
	ds_read_b128 v[60:63], v98 offset:512
	;; [unrolled: 1-line block ×4, first 2 shown]
	s_branch .LBB253_14
.LBB253_29:                             ;   in Loop: Header=BB253_12 Depth=1
	v_cmp_le_u32_e32 vcc, s23, v82
	s_and_saveexec_b64 s[6:7], vcc
	s_xor_b64 s[6:7], exec, s[6:7]
; %bb.30:                               ;   in Loop: Header=BB253_12 Depth=1
	v_add_u32_e32 v82, s44, v82
                                        ; implicit-def: $vgpr3
                                        ; implicit-def: $vgpr7
                                        ; implicit-def: $vgpr11
                                        ; implicit-def: $vgpr15
                                        ; implicit-def: $vgpr31
                                        ; implicit-def: $vgpr27
                                        ; implicit-def: $vgpr23
                                        ; implicit-def: $vgpr19
; %bb.31:                               ;   in Loop: Header=BB253_12 Depth=1
	s_andn2_saveexec_b64 s[30:31], s[6:7]
	s_cbranch_execz .LBB253_11
; %bb.32:                               ;   in Loop: Header=BB253_12 Depth=1
	v_cvt_i32_f32_e32 v29, v29
	v_cvt_i32_f32_e32 v30, v30
	;; [unrolled: 1-line block ×4, first 2 shown]
	v_cvt_f32_i32_dpp v29, v29 row_shl:1 row_mask:0xf bank_mask:0xf bound_ctrl:1
	v_cvt_f32_i32_dpp v30, v30 row_shl:2 row_mask:0xf bank_mask:0xf bound_ctrl:1
	;; [unrolled: 1-line block ×3, first 2 shown]
	v_cvt_i32_f32_e32 v26, v26
	v_add_f32_e32 v28, v28, v29
	v_add_f32_e32 v28, v28, v30
	;; [unrolled: 1-line block ×3, first 2 shown]
	v_cvt_i32_f32_e32 v29, v28
	v_cvt_i32_f32_e32 v27, v27
	v_cvt_f32_i32_dpp v25, v25 row_shl:1 row_mask:0xf bank_mask:0xf bound_ctrl:1
	v_cvt_f32_i32_dpp v26, v26 row_shl:2 row_mask:0xf bank_mask:0xf bound_ctrl:1
	;; [unrolled: 1-line block ×4, first 2 shown]
	v_add_f32_e32 v24, v24, v25
	v_cvt_i32_f32_e32 v21, v21
	v_add_f32_e32 v28, v28, v29
	v_cvt_i32_f32_e32 v29, v28
	v_add_f32_e32 v24, v24, v26
	v_cvt_i32_f32_e32 v22, v22
	v_add_f32_e32 v24, v24, v27
	v_cvt_f32_i32_dpp v25, v29 row_shl:8 row_mask:0xf bank_mask:0xf bound_ctrl:1
	v_cvt_i32_f32_e32 v23, v23
	v_cvt_i32_f32_e32 v26, v24
	v_cvt_f32_i32_dpp v21, v21 row_shl:1 row_mask:0xf bank_mask:0xf bound_ctrl:1
	v_add_f32_e32 v25, v28, v25
	v_cvt_i32_f32_e32 v25, v25
	v_cvt_f32_i32_dpp v22, v22 row_shl:2 row_mask:0xf bank_mask:0xf bound_ctrl:1
	v_cvt_f32_i32_dpp v26, v26 row_shl:4 row_mask:0xf bank_mask:0xf bound_ctrl:1
	;; [unrolled: 1-line block ×3, first 2 shown]
	v_cvt_f32_i32_dpp v25, v25 row_shr:15 row_mask:0xf bank_mask:0xf bound_ctrl:1
	v_add_f32_e32 v20, v20, v21
	v_add_f32_e32 v20, v20, v22
	;; [unrolled: 1-line block ×4, first 2 shown]
	v_cvt_i32_f32_e32 v24, v21
	v_cvt_i32_f32_e32 v26, v25
	v_cvt_i32_f32_e32 v20, v22
	v_cvt_i32_f32_e32 v17, v17
	v_cvt_f32_i32_dpp v23, v24 row_shl:8 row_mask:0xf bank_mask:0xf bound_ctrl:1
	v_cvt_f32_i32_dpp v24, v26 row_bcast:15 row_mask:0xf bank_mask:0xf bound_ctrl:1
	v_cvt_f32_i32_dpp v26, v20 row_shl:4 row_mask:0xf bank_mask:0xf bound_ctrl:1
	v_cvt_i32_f32_e32 v18, v18
	v_add_f32_e32 v21, v21, v23
	v_cvt_i32_f32_e32 v19, v19
	v_add_f32_e32 v22, v22, v26
	v_cvt_i32_f32_e32 v23, v22
	v_cvt_f32_i32_dpp v17, v17 row_shl:1 row_mask:0xf bank_mask:0xf bound_ctrl:1
	v_cvt_f32_i32_dpp v18, v18 row_shl:2 row_mask:0xf bank_mask:0xf bound_ctrl:1
	;; [unrolled: 1-line block ×4, first 2 shown]
	v_add_f32_e32 v16, v16, v17
	v_add_f32_e32 v16, v16, v18
	;; [unrolled: 1-line block ×4, first 2 shown]
	v_cvt_i32_f32_e32 v21, v21
	v_cvt_i32_f32_e32 v17, v16
	;; [unrolled: 1-line block ×5, first 2 shown]
	v_add_f32_e32 v20, v25, v24
	v_cvt_i32_f32_e32 v15, v15
	v_cvt_f32_i32_dpp v18, v21 row_shr:15 row_mask:0xf bank_mask:0xf bound_ctrl:1
	v_cvt_f32_i32_dpp v17, v17 row_shl:4 row_mask:0xf bank_mask:0xf bound_ctrl:1
	v_cvt_i32_f32_e32 v21, v20
	v_cvt_f32_i32_dpp v19, v19 row_shr:15 row_mask:0xf bank_mask:0xf bound_ctrl:1
	v_cvt_f32_i32_dpp v13, v13 row_shl:1 row_mask:0xf bank_mask:0xf bound_ctrl:1
	v_cvt_i32_f32_e32 v9, v9
	v_cvt_f32_i32_dpp v14, v14 row_shl:2 row_mask:0xf bank_mask:0xf bound_ctrl:1
	v_cvt_i32_f32_e32 v10, v10
	;; [unrolled: 2-line block ×3, first 2 shown]
	v_cvt_i32_f32_e32 v5, v5
	v_add_f32_e32 v23, v16, v17
	v_mov_b32_dpp v17, v21 row_bcast:31 row_mask:0xf bank_mask:0xf bound_ctrl:1
	v_cvt_i32_f32_e32 v21, v19
	v_add_f32_e32 v12, v12, v13
	v_cvt_f32_i32_dpp v9, v9 row_shl:1 row_mask:0xf bank_mask:0xf bound_ctrl:1
	v_cvt_i32_f32_e32 v1, v1
	v_add_f32_e32 v12, v12, v14
	v_cvt_f32_i32_dpp v10, v10 row_shl:2 row_mask:0xf bank_mask:0xf bound_ctrl:1
	v_cvt_i32_f32_e32 v6, v6
	v_cvt_i32_f32_e32 v2, v2
	v_add_f32_e32 v14, v12, v15
	v_cvt_f32_i32_dpp v11, v11 row_shl:3 row_mask:0xf bank_mask:0xf bound_ctrl:1
	v_cvt_f32_i32_dpp v5, v5 row_shl:1 row_mask:0xf bank_mask:0xf bound_ctrl:1
	v_cvt_i32_f32_e32 v7, v7
	v_cvt_i32_f32_e32 v3, v3
	v_cvt_f32_i32_dpp v21, v21 row_bcast:15 row_mask:0xf bank_mask:0xf bound_ctrl:1
	v_cvt_i32_f32_e32 v12, v14
	v_add_f32_e32 v8, v8, v9
	v_cvt_f32_i32_dpp v1, v1 row_shl:1 row_mask:0xf bank_mask:0xf bound_ctrl:1
	v_add_f32_e32 v8, v8, v10
	v_cvt_f32_i32_dpp v6, v6 row_shl:2 row_mask:0xf bank_mask:0xf bound_ctrl:1
	v_cvt_f32_i32_dpp v2, v2 row_shl:2 row_mask:0xf bank_mask:0xf bound_ctrl:1
	v_add_f32_e32 v9, v8, v11
	v_add_f32_e32 v4, v4, v5
	v_cvt_f32_i32_dpp v5, v7 row_shl:3 row_mask:0xf bank_mask:0xf bound_ctrl:1
	v_cvt_f32_i32_dpp v3, v3 row_shl:3 row_mask:0xf bank_mask:0xf bound_ctrl:1
	v_add_f32_e32 v13, v19, v21
	v_cvt_f32_i32_dpp v19, v12 row_shl:4 row_mask:0xf bank_mask:0xf bound_ctrl:1
	v_cvt_i32_f32_e32 v10, v9
	v_add_f32_e32 v0, v0, v1
	v_add_f32_e32 v4, v4, v6
	;; [unrolled: 1-line block ×6, first 2 shown]
	v_cvt_f32_i32_dpp v10, v10 row_shl:4 row_mask:0xf bank_mask:0xf bound_ctrl:1
	v_cvt_i32_f32_e32 v5, v4
	v_cvt_i32_f32_e32 v1, v0
	;; [unrolled: 1-line block ×3, first 2 shown]
	v_add_f32_e32 v9, v9, v10
	v_cvt_f32_i32_dpp v3, v5 row_shl:4 row_mask:0xf bank_mask:0xf bound_ctrl:1
	v_cvt_f32_i32_dpp v1, v1 row_shl:4 row_mask:0xf bank_mask:0xf bound_ctrl:1
	v_cvt_f32_i32_dpp v19, v19 row_shl:8 row_mask:0xf bank_mask:0xf bound_ctrl:1
	v_cvt_i32_f32_e32 v10, v9
	v_add_f32_e32 v3, v4, v3
	v_add_f32_e32 v0, v0, v1
	v_cvt_i32_f32_e32 v22, v18
	v_cvt_i32_f32_e32 v16, v23
	v_add_f32_e32 v14, v14, v19
	v_cvt_f32_i32_dpp v2, v10 row_shl:8 row_mask:0xf bank_mask:0xf bound_ctrl:1
	v_cvt_i32_f32_e32 v4, v3
	v_cvt_i32_f32_e32 v1, v0
	v_cvt_i32_f32_e32 v14, v14
	v_cvt_f32_i32_dpp v22, v22 row_bcast:15 row_mask:0xf bank_mask:0xf bound_ctrl:1
	v_cvt_f32_i32_dpp v24, v16 row_shl:8 row_mask:0xf bank_mask:0xf bound_ctrl:1
	v_add_f32_e32 v2, v9, v2
	v_cvt_f32_i32_dpp v4, v4 row_shl:8 row_mask:0xf bank_mask:0xf bound_ctrl:1
	v_cvt_f32_i32_dpp v1, v1 row_shl:8 row_mask:0xf bank_mask:0xf bound_ctrl:1
	v_cvt_f32_i32_dpp v5, v14 row_shr:15 row_mask:0xf bank_mask:0xf bound_ctrl:1
	v_cvt_i32_f32_e32 v2, v2
	v_add_f32_e32 v16, v18, v22
	v_add_f32_e32 v22, v23, v24
	;; [unrolled: 1-line block ×4, first 2 shown]
	v_cvt_i32_f32_e32 v22, v22
	v_cvt_i32_f32_e32 v6, v5
	v_cvt_f32_i32_dpp v2, v2 row_shr:15 row_mask:0xf bank_mask:0xf bound_ctrl:1
	v_cvt_i32_f32_e32 v3, v3
	v_cvt_i32_f32_e32 v0, v0
	v_cvt_f32_i32_dpp v22, v22 row_shr:15 row_mask:0xf bank_mask:0xf bound_ctrl:1
	v_cvt_f32_i32_dpp v1, v6 row_bcast:15 row_mask:0xf bank_mask:0xf bound_ctrl:1
	v_cvt_f32_i32_dpp v3, v3 row_shr:15 row_mask:0xf bank_mask:0xf bound_ctrl:1
	v_cvt_i32_f32_e32 v4, v2
	v_cvt_f32_i32_dpp v0, v0 row_shr:15 row_mask:0xf bank_mask:0xf bound_ctrl:1
	v_cvt_i32_f32_e32 v18, v16
	v_cvt_i32_f32_e32 v23, v22
	v_add_f32_e32 v9, v5, v1
	v_cvt_i32_f32_e32 v1, v3
	v_cvt_f32_i32_dpp v4, v4 row_bcast:15 row_mask:0xf bank_mask:0xf bound_ctrl:1
	v_cvt_i32_f32_e32 v6, v0
	v_mov_b32_dpp v15, v18 row_bcast:31 row_mask:0xf bank_mask:0xf bound_ctrl:1
	v_cvt_f32_i32_dpp v18, v23 row_bcast:15 row_mask:0xf bank_mask:0xf bound_ctrl:1
	v_cvt_f32_i32_dpp v1, v1 row_bcast:15 row_mask:0xf bank_mask:0xf bound_ctrl:1
	v_add_f32_e32 v5, v2, v4
	v_cvt_f32_i32_dpp v4, v6 row_bcast:15 row_mask:0xf bank_mask:0xf bound_ctrl:1
	v_add_f32_e32 v12, v22, v18
	v_add_f32_e32 v2, v3, v1
	v_cvt_i32_f32_e32 v21, v13
	v_add_f32_e32 v0, v0, v4
	v_cvt_i32_f32_e32 v18, v12
	v_cvt_i32_f32_e32 v7, v9
	;; [unrolled: 1-line block ×5, first 2 shown]
	v_mov_b32_dpp v11, v21 row_bcast:31 row_mask:0xf bank_mask:0xf bound_ctrl:1
	v_mov_b32_dpp v8, v18 row_bcast:31 row_mask:0xf bank_mask:0xf bound_ctrl:1
	v_mov_b32_dpp v10, v7 row_bcast:31 row_mask:0xf bank_mask:0xf bound_ctrl:1
	v_mov_b32_dpp v6, v6 row_bcast:31 row_mask:0xf bank_mask:0xf bound_ctrl:1
	v_mov_b32_dpp v3, v1 row_bcast:31 row_mask:0xf bank_mask:0xf bound_ctrl:1
	v_mov_b32_dpp v1, v4 row_bcast:31 row_mask:0xf bank_mask:0xf bound_ctrl:1
	s_and_saveexec_b64 s[34:35], s[0:1]
	s_cbranch_execz .LBB253_83
; %bb.33:                               ;   in Loop: Header=BB253_12 Depth=1
	s_andn2_b64 vcc, exec, s[26:27]
	v_mov_b32_e32 v23, 0
	v_mov_b32_e32 v22, 0
	;; [unrolled: 1-line block ×8, first 2 shown]
	s_cbranch_vccnz .LBB253_35
; %bb.34:                               ;   in Loop: Header=BB253_12 Depth=1
	v_mul_hi_u32 v4, v82, v94
	v_mul_lo_u32 v4, v4, s12
	v_sub_u32_e32 v4, v82, v4
	v_subrev_u32_e32 v7, s12, v4
	v_cmp_le_u32_e32 vcc, s12, v4
	v_mov_b32_e32 v23, v85
	v_mov_b32_e32 v19, v85
	v_cndmask_b32_e32 v4, v4, v7, vcc
	v_subrev_u32_e32 v7, s12, v4
	v_cmp_le_u32_e32 vcc, s12, v4
	s_nop 1
	v_cndmask_b32_e32 v84, v4, v7, vcc
	v_add_u32_e32 v4, 1, v82
	v_mul_hi_u32 v7, v4, v94
	v_mul_lo_u32 v7, v7, s12
	v_sub_u32_e32 v4, v4, v7
	v_subrev_u32_e32 v7, s12, v4
	v_cmp_le_u32_e32 vcc, s12, v4
	v_add_u32_e32 v22, s45, v84
	v_lshl_add_u64 v[28:29], v[22:23], 1, s[18:19]
	v_cndmask_b32_e32 v4, v4, v7, vcc
	v_subrev_u32_e32 v7, s12, v4
	v_cmp_le_u32_e32 vcc, s12, v4
	v_lshl_add_u64 v[24:25], v[84:85], 1, s[18:19]
	s_nop 0
	v_cndmask_b32_e32 v18, v4, v7, vcc
	v_add_u32_e32 v22, s45, v18
	v_lshl_add_u64 v[30:31], v[22:23], 1, s[18:19]
	v_add_u32_e32 v22, s46, v84
	v_add_u32_e32 v84, s47, v84
	v_lshl_add_u64 v[32:33], v[22:23], 1, s[18:19]
	v_add_u32_e32 v22, s46, v18
	v_lshl_add_u64 v[36:37], v[84:85], 1, s[18:19]
	;; [unrolled: 2-line block ×3, first 2 shown]
	v_lshl_add_u64 v[34:35], v[22:23], 1, s[18:19]
	v_lshl_add_u64 v[38:39], v[84:85], 1, s[18:19]
	global_load_ushort v23, v[24:25], off
	global_load_ushort v22, v[26:27], off
	;; [unrolled: 1-line block ×8, first 2 shown]
.LBB253_35:                             ;   in Loop: Header=BB253_12 Depth=1
	v_cmp_ne_u32_e32 vcc, 0, v80
	s_and_saveexec_b64 s[8:9], vcc
	s_cbranch_execnz .LBB253_43
; %bb.36:                               ;   in Loop: Header=BB253_12 Depth=1
	s_or_b64 exec, exec, s[8:9]
	v_cmp_ne_u32_e64 s[6:7], 0, v81
	s_and_saveexec_b64 s[36:37], s[6:7]
	s_cbranch_execnz .LBB253_48
.LBB253_37:                             ;   in Loop: Header=BB253_12 Depth=1
	s_or_b64 exec, exec, s[36:37]
	v_add_u32_e32 v84, s23, v82
	s_and_saveexec_b64 s[36:37], vcc
	s_cbranch_execnz .LBB253_53
.LBB253_38:                             ;   in Loop: Header=BB253_12 Depth=1
	s_or_b64 exec, exec, s[36:37]
	s_and_saveexec_b64 s[36:37], s[6:7]
	s_cbranch_execnz .LBB253_58
.LBB253_39:                             ;   in Loop: Header=BB253_12 Depth=1
	s_or_b64 exec, exec, s[36:37]
	v_add_u32_e32 v84, s23, v84
	s_and_saveexec_b64 s[36:37], vcc
	s_cbranch_execnz .LBB253_63
.LBB253_40:                             ;   in Loop: Header=BB253_12 Depth=1
	s_or_b64 exec, exec, s[36:37]
	s_and_saveexec_b64 s[36:37], s[6:7]
	s_cbranch_execnz .LBB253_68
.LBB253_41:                             ;   in Loop: Header=BB253_12 Depth=1
	s_or_b64 exec, exec, s[36:37]
	v_add_u32_e32 v84, s23, v84
	s_and_saveexec_b64 s[8:9], vcc
	s_cbranch_execnz .LBB253_73
.LBB253_42:                             ;   in Loop: Header=BB253_12 Depth=1
	s_or_b64 exec, exec, s[8:9]
	s_and_b64 exec, exec, s[6:7]
	s_cbranch_execnz .LBB253_78
	s_branch .LBB253_83
.LBB253_43:                             ;   in Loop: Header=BB253_12 Depth=1
	v_cvt_f32_i32_e32 v17, v17
	v_add_f32_e32 v17, v20, v17
	s_waitcnt vmcnt(7)
	v_lshlrev_b32_e32 v20, 16, v23
	v_add_f32_e32 v20, v17, v20
	v_and_b32_e32 v17, 0x7f800000, v20
	v_cmp_ne_u32_e64 s[6:7], s52, v17
                                        ; implicit-def: $vgpr17
	s_and_saveexec_b64 s[36:37], s[6:7]
	s_xor_b64 s[6:7], exec, s[36:37]
; %bb.44:                               ;   in Loop: Header=BB253_12 Depth=1
	v_bfe_u32 v17, v20, 16, 1
	v_add3_u32 v17, v20, v17, s53
                                        ; implicit-def: $vgpr20
; %bb.45:                               ;   in Loop: Header=BB253_12 Depth=1
	s_andn2_saveexec_b64 s[36:37], s[6:7]
; %bb.46:                               ;   in Loop: Header=BB253_12 Depth=1
	v_or_b32_e32 v17, 0x10000, v20
	v_cmp_eq_u32_sdwa s[6:7], v20, v85 src0_sel:WORD_0 src1_sel:DWORD
	s_nop 1
	v_cndmask_b32_e64 v17, v17, v20, s[6:7]
; %bb.47:                               ;   in Loop: Header=BB253_12 Depth=1
	s_or_b64 exec, exec, s[36:37]
	v_mov_b32_e32 v83, v85
	v_lshl_add_u64 v[24:25], v[82:83], 1, s[10:11]
	global_store_short_d16_hi v[24:25], v17, off
	s_or_b64 exec, exec, s[8:9]
	v_cmp_ne_u32_e64 s[6:7], 0, v81
	s_and_saveexec_b64 s[36:37], s[6:7]
	s_cbranch_execz .LBB253_37
.LBB253_48:                             ;   in Loop: Header=BB253_12 Depth=1
	v_cvt_f32_i32_e32 v15, v15
	v_add_f32_e32 v15, v16, v15
	s_waitcnt vmcnt(6)
	v_lshlrev_b32_e32 v16, 16, v22
	v_add_f32_e32 v16, v15, v16
	v_and_b32_e32 v15, 0x7f800000, v16
	v_cmp_ne_u32_e64 s[8:9], s52, v15
                                        ; implicit-def: $vgpr15
	s_and_saveexec_b64 s[38:39], s[8:9]
	s_xor_b64 s[8:9], exec, s[38:39]
; %bb.49:                               ;   in Loop: Header=BB253_12 Depth=1
	v_bfe_u32 v15, v16, 16, 1
	v_add3_u32 v15, v16, v15, s53
                                        ; implicit-def: $vgpr16
; %bb.50:                               ;   in Loop: Header=BB253_12 Depth=1
	s_andn2_saveexec_b64 s[38:39], s[8:9]
; %bb.51:                               ;   in Loop: Header=BB253_12 Depth=1
	v_or_b32_e32 v15, 0x10000, v16
	v_cmp_eq_u32_sdwa s[8:9], v16, v85 src0_sel:WORD_0 src1_sel:DWORD
	s_nop 1
	v_cndmask_b32_e64 v15, v15, v16, s[8:9]
; %bb.52:                               ;   in Loop: Header=BB253_12 Depth=1
	s_or_b64 exec, exec, s[38:39]
	v_mov_b32_e32 v83, v85
	v_lshl_add_u64 v[16:17], v[82:83], 1, s[28:29]
	global_store_short_d16_hi v[16:17], v15, off
	s_or_b64 exec, exec, s[36:37]
	v_add_u32_e32 v84, s23, v82
	s_and_saveexec_b64 s[36:37], vcc
	s_cbranch_execz .LBB253_38
.LBB253_53:                             ;   in Loop: Header=BB253_12 Depth=1
	v_cvt_f32_i32_e32 v11, v11
	v_add_f32_e32 v11, v13, v11
	s_waitcnt vmcnt(5)
	v_lshlrev_b32_e32 v13, 16, v21
	v_add_f32_e32 v13, v11, v13
	v_and_b32_e32 v11, 0x7f800000, v13
	v_cmp_ne_u32_e64 s[8:9], s52, v11
                                        ; implicit-def: $vgpr11
	s_and_saveexec_b64 s[38:39], s[8:9]
	s_xor_b64 s[8:9], exec, s[38:39]
; %bb.54:                               ;   in Loop: Header=BB253_12 Depth=1
	v_bfe_u32 v11, v13, 16, 1
	v_add3_u32 v11, v13, v11, s53
                                        ; implicit-def: $vgpr13
; %bb.55:                               ;   in Loop: Header=BB253_12 Depth=1
	s_andn2_saveexec_b64 s[38:39], s[8:9]
; %bb.56:                               ;   in Loop: Header=BB253_12 Depth=1
	v_or_b32_e32 v11, 0x10000, v13
	v_cmp_eq_u32_sdwa s[8:9], v13, v85 src0_sel:WORD_0 src1_sel:DWORD
	s_nop 1
	v_cndmask_b32_e64 v11, v11, v13, s[8:9]
; %bb.57:                               ;   in Loop: Header=BB253_12 Depth=1
	s_or_b64 exec, exec, s[38:39]
	v_lshl_add_u64 v[16:17], v[84:85], 1, s[10:11]
	global_store_short_d16_hi v[16:17], v11, off
	s_or_b64 exec, exec, s[36:37]
	s_and_saveexec_b64 s[36:37], s[6:7]
	s_cbranch_execz .LBB253_39
.LBB253_58:                             ;   in Loop: Header=BB253_12 Depth=1
	v_cvt_f32_i32_e32 v8, v8
	s_waitcnt vmcnt(4)
	v_lshlrev_b32_e32 v11, 16, v19
	v_add_f32_e32 v8, v12, v8
	v_add_f32_e32 v11, v8, v11
	v_and_b32_e32 v8, 0x7f800000, v11
	v_cmp_ne_u32_e64 s[8:9], s52, v8
                                        ; implicit-def: $vgpr8
	s_and_saveexec_b64 s[38:39], s[8:9]
	s_xor_b64 s[8:9], exec, s[38:39]
; %bb.59:                               ;   in Loop: Header=BB253_12 Depth=1
	v_bfe_u32 v8, v11, 16, 1
	v_add3_u32 v8, v11, v8, s53
                                        ; implicit-def: $vgpr11
; %bb.60:                               ;   in Loop: Header=BB253_12 Depth=1
	s_andn2_saveexec_b64 s[38:39], s[8:9]
; %bb.61:                               ;   in Loop: Header=BB253_12 Depth=1
	v_or_b32_e32 v8, 0x10000, v11
	v_cmp_eq_u32_sdwa s[8:9], v11, v85 src0_sel:WORD_0 src1_sel:DWORD
	s_nop 1
	v_cndmask_b32_e64 v8, v8, v11, s[8:9]
; %bb.62:                               ;   in Loop: Header=BB253_12 Depth=1
	s_or_b64 exec, exec, s[38:39]
	v_add_u32_e32 v12, 1, v84
	v_mov_b32_e32 v13, v85
	v_lshl_add_u64 v[12:13], v[12:13], 1, s[10:11]
	global_store_short_d16_hi v[12:13], v8, off
	s_or_b64 exec, exec, s[36:37]
	v_add_u32_e32 v84, s23, v84
	s_and_saveexec_b64 s[36:37], vcc
	s_cbranch_execz .LBB253_40
.LBB253_63:                             ;   in Loop: Header=BB253_12 Depth=1
	v_cvt_f32_i32_e32 v8, v10
	v_add_f32_e32 v8, v9, v8
	s_waitcnt vmcnt(3)
	v_lshlrev_b32_e32 v9, 16, v18
	v_add_f32_e32 v9, v8, v9
	v_and_b32_e32 v8, 0x7f800000, v9
	v_cmp_ne_u32_e64 s[8:9], s52, v8
                                        ; implicit-def: $vgpr8
	s_and_saveexec_b64 s[38:39], s[8:9]
	s_xor_b64 s[8:9], exec, s[38:39]
; %bb.64:                               ;   in Loop: Header=BB253_12 Depth=1
	v_bfe_u32 v8, v9, 16, 1
	v_add3_u32 v8, v9, v8, s53
                                        ; implicit-def: $vgpr9
; %bb.65:                               ;   in Loop: Header=BB253_12 Depth=1
	s_andn2_saveexec_b64 s[38:39], s[8:9]
; %bb.66:                               ;   in Loop: Header=BB253_12 Depth=1
	v_or_b32_e32 v8, 0x10000, v9
	v_cmp_eq_u32_sdwa s[8:9], v9, v85 src0_sel:WORD_0 src1_sel:DWORD
	s_nop 1
	v_cndmask_b32_e64 v8, v8, v9, s[8:9]
; %bb.67:                               ;   in Loop: Header=BB253_12 Depth=1
	s_or_b64 exec, exec, s[38:39]
	v_lshl_add_u64 v[10:11], v[84:85], 1, s[10:11]
	global_store_short_d16_hi v[10:11], v8, off
	s_or_b64 exec, exec, s[36:37]
	s_and_saveexec_b64 s[36:37], s[6:7]
	s_cbranch_execz .LBB253_41
.LBB253_68:                             ;   in Loop: Header=BB253_12 Depth=1
	v_cvt_f32_i32_e32 v6, v6
	v_add_f32_e32 v5, v5, v6
	s_waitcnt vmcnt(2)
	v_lshlrev_b32_e32 v6, 16, v14
	v_add_f32_e32 v6, v5, v6
	v_and_b32_e32 v5, 0x7f800000, v6
	v_cmp_ne_u32_e64 s[8:9], s52, v5
                                        ; implicit-def: $vgpr5
	s_and_saveexec_b64 s[38:39], s[8:9]
	s_xor_b64 s[8:9], exec, s[38:39]
; %bb.69:                               ;   in Loop: Header=BB253_12 Depth=1
	v_bfe_u32 v5, v6, 16, 1
	v_add3_u32 v5, v6, v5, s53
                                        ; implicit-def: $vgpr6
; %bb.70:                               ;   in Loop: Header=BB253_12 Depth=1
	s_andn2_saveexec_b64 s[38:39], s[8:9]
; %bb.71:                               ;   in Loop: Header=BB253_12 Depth=1
	v_or_b32_e32 v5, 0x10000, v6
	v_cmp_eq_u32_sdwa s[8:9], v6, v85 src0_sel:WORD_0 src1_sel:DWORD
	s_nop 1
	v_cndmask_b32_e64 v5, v5, v6, s[8:9]
; %bb.72:                               ;   in Loop: Header=BB253_12 Depth=1
	s_or_b64 exec, exec, s[38:39]
	v_add_u32_e32 v8, 1, v84
	v_mov_b32_e32 v9, v85
	v_lshl_add_u64 v[8:9], v[8:9], 1, s[10:11]
	global_store_short_d16_hi v[8:9], v5, off
	s_or_b64 exec, exec, s[36:37]
	v_add_u32_e32 v84, s23, v84
	s_and_saveexec_b64 s[8:9], vcc
	s_cbranch_execz .LBB253_42
.LBB253_73:                             ;   in Loop: Header=BB253_12 Depth=1
	v_cvt_f32_i32_e32 v3, v3
	v_add_f32_e32 v2, v2, v3
	s_waitcnt vmcnt(1)
	v_lshlrev_b32_e32 v3, 16, v7
	v_add_f32_e32 v3, v2, v3
	v_and_b32_e32 v2, 0x7f800000, v3
	v_cmp_ne_u32_e32 vcc, s52, v2
                                        ; implicit-def: $vgpr2
	s_and_saveexec_b64 s[36:37], vcc
	s_xor_b64 s[36:37], exec, s[36:37]
; %bb.74:                               ;   in Loop: Header=BB253_12 Depth=1
	v_bfe_u32 v2, v3, 16, 1
	v_add3_u32 v2, v3, v2, s53
                                        ; implicit-def: $vgpr3
; %bb.75:                               ;   in Loop: Header=BB253_12 Depth=1
	s_andn2_saveexec_b64 s[36:37], s[36:37]
; %bb.76:                               ;   in Loop: Header=BB253_12 Depth=1
	v_or_b32_e32 v2, 0x10000, v3
	v_cmp_eq_u32_sdwa vcc, v3, v85 src0_sel:WORD_0 src1_sel:DWORD
	s_nop 1
	v_cndmask_b32_e32 v2, v2, v3, vcc
; %bb.77:                               ;   in Loop: Header=BB253_12 Depth=1
	s_or_b64 exec, exec, s[36:37]
	v_lshl_add_u64 v[6:7], v[84:85], 1, s[10:11]
	global_store_short_d16_hi v[6:7], v2, off
	s_or_b64 exec, exec, s[8:9]
	s_and_b64 exec, exec, s[6:7]
	s_cbranch_execz .LBB253_83
.LBB253_78:                             ;   in Loop: Header=BB253_12 Depth=1
	v_cvt_f32_i32_e32 v1, v1
	v_add_f32_e32 v0, v0, v1
	s_waitcnt vmcnt(0)
	v_lshlrev_b32_e32 v1, 16, v4
	v_add_f32_e32 v1, v0, v1
	v_and_b32_e32 v0, 0x7f800000, v1
	v_cmp_ne_u32_e32 vcc, s52, v0
                                        ; implicit-def: $vgpr0
	s_and_saveexec_b64 s[6:7], vcc
	s_xor_b64 s[6:7], exec, s[6:7]
; %bb.79:                               ;   in Loop: Header=BB253_12 Depth=1
	v_bfe_u32 v0, v1, 16, 1
	v_add3_u32 v0, v1, v0, s53
                                        ; implicit-def: $vgpr1
; %bb.80:                               ;   in Loop: Header=BB253_12 Depth=1
	s_andn2_saveexec_b64 s[6:7], s[6:7]
; %bb.81:                               ;   in Loop: Header=BB253_12 Depth=1
	v_or_b32_e32 v0, 0x10000, v1
	v_cmp_eq_u32_sdwa vcc, v1, v85 src0_sel:WORD_0 src1_sel:DWORD
	s_nop 1
	v_cndmask_b32_e32 v0, v0, v1, vcc
; %bb.82:                               ;   in Loop: Header=BB253_12 Depth=1
	s_or_b64 exec, exec, s[6:7]
	v_add_u32_e32 v84, 1, v84
	v_lshl_add_u64 v[2:3], v[84:85], 1, s[10:11]
	global_store_short_d16_hi v[2:3], v0, off
.LBB253_83:                             ;   in Loop: Header=BB253_12 Depth=1
	s_or_b64 exec, exec, s[34:35]
	v_add_u32_e32 v82, s44, v82
	v_add_u32_e32 v0, 2, v82
	v_cmp_gt_u32_e32 vcc, s23, v82
	v_cmp_le_u32_e64 s[6:7], s23, v0
	s_and_b64 s[6:7], vcc, s[6:7]
	s_and_saveexec_b64 s[8:9], s[6:7]
	s_cbranch_execz .LBB253_10
; %bb.84:                               ;   in Loop: Header=BB253_12 Depth=1
	v_cmp_ne_u32_e32 vcc, s13, v82
	s_and_saveexec_b64 s[34:35], vcc
	s_cbranch_execz .LBB253_9
; %bb.85:                               ;   in Loop: Header=BB253_12 Depth=1
	v_subrev_u32_e32 v0, s13, v82
	v_cmp_lt_u32_e32 vcc, 1, v0
	s_mov_b64 s[36:37], 0
	s_mov_b64 s[38:39], 0
	v_cndmask_b32_e32 v0, 1, v0, vcc
.LBB253_86:                             ;   Parent Loop BB253_12 Depth=1
                                        ; =>  This Inner Loop Header: Depth=2
	s_cmp_lg_u32 s38, 1
	s_cselect_b64 vcc, -1, 0
	s_cmp_lg_u32 s38, 0
	v_cndmask_b32_e32 v81, 0, v81, vcc
	s_cselect_b64 vcc, -1, 0
	s_add_u32 s38, s38, 1
	s_addc_u32 s39, s39, 0
	v_cmp_eq_u32_e64 s[6:7], s38, v0
	s_or_b64 s[36:37], s[6:7], s[36:37]
	v_cndmask_b32_e32 v80, 0, v80, vcc
	s_andn2_b64 exec, exec, s[36:37]
	s_cbranch_execnz .LBB253_86
; %bb.87:                               ;   in Loop: Header=BB253_12 Depth=1
	s_or_b64 exec, exec, s[36:37]
	s_branch .LBB253_9
.LBB253_88:
	s_endpgm
	.section	.rodata,"a",@progbits
	.p2align	6, 0x0
	.amdhsa_kernel _Z16wvSplitK_hf_big_I14__hip_bfloat16Li32ELi2ELi16ELi8ELi2ELi4EEviiiiiiPKT_S3_S3_PS1_ii
		.amdhsa_group_segment_fixed_size 65536
		.amdhsa_private_segment_fixed_size 0
		.amdhsa_kernarg_size 64
		.amdhsa_user_sgpr_count 2
		.amdhsa_user_sgpr_dispatch_ptr 0
		.amdhsa_user_sgpr_queue_ptr 0
		.amdhsa_user_sgpr_kernarg_segment_ptr 1
		.amdhsa_user_sgpr_dispatch_id 0
		.amdhsa_user_sgpr_kernarg_preload_length 0
		.amdhsa_user_sgpr_kernarg_preload_offset 0
		.amdhsa_user_sgpr_private_segment_size 0
		.amdhsa_uses_dynamic_stack 0
		.amdhsa_enable_private_segment 0
		.amdhsa_system_sgpr_workgroup_id_x 1
		.amdhsa_system_sgpr_workgroup_id_y 0
		.amdhsa_system_sgpr_workgroup_id_z 0
		.amdhsa_system_sgpr_workgroup_info 0
		.amdhsa_system_vgpr_workitem_id 1
		.amdhsa_next_free_vgpr 100
		.amdhsa_next_free_sgpr 56
		.amdhsa_accum_offset 100
		.amdhsa_reserve_vcc 1
		.amdhsa_float_round_mode_32 0
		.amdhsa_float_round_mode_16_64 0
		.amdhsa_float_denorm_mode_32 3
		.amdhsa_float_denorm_mode_16_64 3
		.amdhsa_dx10_clamp 1
		.amdhsa_ieee_mode 1
		.amdhsa_fp16_overflow 0
		.amdhsa_tg_split 0
		.amdhsa_exception_fp_ieee_invalid_op 0
		.amdhsa_exception_fp_denorm_src 0
		.amdhsa_exception_fp_ieee_div_zero 0
		.amdhsa_exception_fp_ieee_overflow 0
		.amdhsa_exception_fp_ieee_underflow 0
		.amdhsa_exception_fp_ieee_inexact 0
		.amdhsa_exception_int_div_zero 0
	.end_amdhsa_kernel
	.section	.text._Z16wvSplitK_hf_big_I14__hip_bfloat16Li32ELi2ELi16ELi8ELi2ELi4EEviiiiiiPKT_S3_S3_PS1_ii,"axG",@progbits,_Z16wvSplitK_hf_big_I14__hip_bfloat16Li32ELi2ELi16ELi8ELi2ELi4EEviiiiiiPKT_S3_S3_PS1_ii,comdat
.Lfunc_end253:
	.size	_Z16wvSplitK_hf_big_I14__hip_bfloat16Li32ELi2ELi16ELi8ELi2ELi4EEviiiiiiPKT_S3_S3_PS1_ii, .Lfunc_end253-_Z16wvSplitK_hf_big_I14__hip_bfloat16Li32ELi2ELi16ELi8ELi2ELi4EEviiiiiiPKT_S3_S3_PS1_ii
                                        ; -- End function
	.section	.AMDGPU.csdata,"",@progbits
; Kernel info:
; codeLenInByte = 4744
; NumSgprs: 62
; NumVgprs: 100
; NumAgprs: 0
; TotalNumVgprs: 100
; ScratchSize: 0
; MemoryBound: 0
; FloatMode: 240
; IeeeMode: 1
; LDSByteSize: 65536 bytes/workgroup (compile time only)
; SGPRBlocks: 7
; VGPRBlocks: 12
; NumSGPRsForWavesPerEU: 62
; NumVGPRsForWavesPerEU: 100
; AccumOffset: 100
; Occupancy: 2
; WaveLimiterHint : 0
; COMPUTE_PGM_RSRC2:SCRATCH_EN: 0
; COMPUTE_PGM_RSRC2:USER_SGPR: 2
; COMPUTE_PGM_RSRC2:TRAP_HANDLER: 0
; COMPUTE_PGM_RSRC2:TGID_X_EN: 1
; COMPUTE_PGM_RSRC2:TGID_Y_EN: 0
; COMPUTE_PGM_RSRC2:TGID_Z_EN: 0
; COMPUTE_PGM_RSRC2:TIDIG_COMP_CNT: 1
; COMPUTE_PGM_RSRC3_GFX90A:ACCUM_OFFSET: 24
; COMPUTE_PGM_RSRC3_GFX90A:TG_SPLIT: 0
	.section	.text._Z16wvSplitK_hf_sml_I14__hip_bfloat16Li32ELi3ELi16ELi8ELi2ELi4EEviiiiiiPKT_S3_S3_PS1_ii,"axG",@progbits,_Z16wvSplitK_hf_sml_I14__hip_bfloat16Li32ELi3ELi16ELi8ELi2ELi4EEviiiiiiPKT_S3_S3_PS1_ii,comdat
	.protected	_Z16wvSplitK_hf_sml_I14__hip_bfloat16Li32ELi3ELi16ELi8ELi2ELi4EEviiiiiiPKT_S3_S3_PS1_ii ; -- Begin function _Z16wvSplitK_hf_sml_I14__hip_bfloat16Li32ELi3ELi16ELi8ELi2ELi4EEviiiiiiPKT_S3_S3_PS1_ii
	.globl	_Z16wvSplitK_hf_sml_I14__hip_bfloat16Li32ELi3ELi16ELi8ELi2ELi4EEviiiiiiPKT_S3_S3_PS1_ii
	.p2align	8
	.type	_Z16wvSplitK_hf_sml_I14__hip_bfloat16Li32ELi3ELi16ELi8ELi2ELi4EEviiiiiiPKT_S3_S3_PS1_ii,@function
_Z16wvSplitK_hf_sml_I14__hip_bfloat16Li32ELi3ELi16ELi8ELi2ELi4EEviiiiiiPKT_S3_S3_PS1_ii: ; @_Z16wvSplitK_hf_sml_I14__hip_bfloat16Li32ELi3ELi16ELi8ELi2ELi4EEviiiiiiPKT_S3_S3_PS1_ii
; %bb.0:
	s_load_dwordx4 s[4:7], s[0:1], 0x0
	v_and_b32_e32 v4, 0x3ff, v0
	v_bfe_u32 v5, v0, 10, 10
	v_lshlrev_b32_e32 v116, 3, v4
	v_lshl_add_u32 v6, v5, 8, v116
	s_waitcnt lgkmcnt(0)
	s_lshl_b32 s24, s6, 2
	s_min_u32 s3, s24, 0x8000
	v_cmp_gt_u32_e32 vcc, s3, v6
	s_and_saveexec_b64 s[8:9], vcc
	s_cbranch_execz .LBB254_9
; %bb.1:
	s_load_dwordx2 s[10:11], s[0:1], 0x20
	v_lshlrev_b32_e32 v0, 1, v6
	v_add_u32_e32 v1, 0x1000, v6
	v_cmp_gt_u32_e32 vcc, s3, v1
	s_waitcnt lgkmcnt(0)
	global_load_dwordx4 v[8:11], v0, s[10:11]
	s_waitcnt vmcnt(0)
	ds_write_b128 v0, v[8:11]
	s_and_saveexec_b64 s[12:13], vcc
	s_xor_b64 s[12:13], exec, s[12:13]
	s_cbranch_execz .LBB254_9
; %bb.2:
	v_mov_b32_e32 v1, 0
	v_lshl_add_u64 v[2:3], s[10:11], 0, v[0:1]
	v_add_co_u32_e32 v8, vcc, 0x2000, v2
	v_add_u32_e32 v1, 0x2000, v6
	s_nop 0
	v_addc_co_u32_e32 v9, vcc, 0, v3, vcc
	global_load_dwordx4 v[8:11], v[8:9], off
	v_cmp_gt_u32_e32 vcc, s3, v1
	s_waitcnt vmcnt(0)
	ds_write_b128 v0, v[8:11] offset:8192
	s_and_saveexec_b64 s[10:11], vcc
	s_xor_b64 s[10:11], exec, s[10:11]
	s_cbranch_execz .LBB254_9
; %bb.3:
	v_add_co_u32_e32 v8, vcc, 0x4000, v2
	v_add_u32_e32 v1, 0x3000, v6
	s_nop 0
	v_addc_co_u32_e32 v9, vcc, 0, v3, vcc
	global_load_dwordx4 v[8:11], v[8:9], off
	v_cmp_gt_u32_e32 vcc, s3, v1
	s_waitcnt vmcnt(0)
	ds_write_b128 v0, v[8:11] offset:16384
	s_and_saveexec_b64 s[10:11], vcc
	s_xor_b64 s[10:11], exec, s[10:11]
	s_cbranch_execz .LBB254_9
; %bb.4:
	;; [unrolled: 12-line block ×6, first 2 shown]
	v_add_co_u32_e32 v2, vcc, 0xe000, v2
	s_nop 1
	v_addc_co_u32_e32 v3, vcc, 0, v3, vcc
	global_load_dwordx4 v[6:9], v[2:3], off
	s_waitcnt vmcnt(0)
	ds_write_b128 v0, v[6:9] offset:57344
.LBB254_9:
	s_or_b64 exec, exec, s[8:9]
	s_load_dwordx2 s[16:17], s[0:1], 0x38
	s_waitcnt lgkmcnt(0)
	s_barrier
	v_cmp_gt_u32_e32 vcc, s16, v5
	s_and_saveexec_b64 s[8:9], vcc
	s_cbranch_execz .LBB254_72
; %bb.10:
	s_load_dwordx2 s[12:13], s[0:1], 0x10
	s_mul_i32 s2, s2, s16
	v_add_u32_e32 v0, s2, v5
	v_lshl_add_u32 v96, v0, 1, v0
	v_cmp_gt_u32_e32 vcc, s7, v96
	s_and_b64 exec, exec, vcc
	s_cbranch_execz .LBB254_72
; %bb.11:
	s_load_dwordx4 s[8:11], s[0:1], 0x28
	s_load_dwordx2 s[14:15], s[0:1], 0x18
	s_cmp_lg_u32 s4, 0
	s_cselect_b64 s[2:3], -1, 0
	s_add_i32 s25, s4, -8
	s_add_i32 s26, s7, -1
	s_waitcnt lgkmcnt(0)
	s_cmp_lg_u64 s[8:9], 0
	s_cselect_b64 s[18:19], -1, 0
	s_abs_i32 s21, s13
	v_cvt_f32_u32_e32 v0, s12
	v_cvt_f32_u32_e32 v1, s21
	s_mul_i32 s20, s16, s17
	s_mul_i32 s13, s20, 3
	v_rcp_iflag_f32_e32 v0, v0
	v_rcp_iflag_f32_e32 v1, v1
	s_sub_i32 s20, 0, s12
	v_cmp_eq_u32_e64 s[0:1], 31, v4
	v_mul_f32_e32 v0, 0x4f7ffffe, v0
	v_mul_f32_e32 v1, 0x4f7ffffe, v1
	v_cvt_u32_f32_e32 v0, v0
	v_cvt_u32_f32_e32 v1, v1
	s_mov_b64 s[16:17], 0
	v_mov_b32_e32 v99, 0
	v_mul_lo_u32 v2, s20, v0
	s_sub_i32 s20, 0, s21
	v_readfirstlane_b32 s22, v1
	s_mul_i32 s20, s20, s22
	s_mul_hi_u32 s20, s22, s20
	s_add_i32 s22, s22, s20
	s_sub_i32 s20, 1, s21
	s_cmp_lt_u32 s21, 2
	s_cselect_b32 s20, s20, 1
	s_sub_i32 s23, s20, s21
	s_cmp_ge_u32 s20, s21
	s_cselect_b32 s27, s23, s20
	s_lshr_b32 s20, s22, 31
	s_mul_i32 s20, s20, s21
	s_sub_i32 s20, 2, s20
	s_sub_i32 s23, s20, s21
	s_cmp_ge_u32 s20, s21
	s_cselect_b32 s20, s23, s20
	s_sub_i32 s23, s20, s21
	s_cmp_ge_u32 s20, s21
	s_cselect_b32 s28, s23, s20
	s_mul_hi_u32 s20, s22, 3
	s_mul_i32 s20, s20, s21
	s_sub_i32 s20, 3, s20
	s_sub_i32 s22, s20, s21
	s_cmp_ge_u32 s20, s21
	s_cselect_b32 s20, s22, s20
	s_sub_i32 s22, s20, s21
	v_mul_hi_u32 v2, v0, v2
	s_cmp_ge_u32 s20, s21
	v_add_u32_e32 v117, v0, v2
	s_cselect_b32 s29, s22, s20
	v_cndmask_b32_e64 v0, 0, 1, s[2:3]
	s_mul_i32 s27, s27, s12
	s_mul_i32 s28, s28, s12
	;; [unrolled: 1-line block ×4, first 2 shown]
	v_lshlrev_b32_e32 v118, 4, v4
	s_lshl_b32 s6, s6, 1
	v_cmp_ne_u32_e64 s[2:3], 1, v0
	s_mov_b32 s31, 0x7f800000
	s_movk_i32 s33, 0x7fff
	s_branch .LBB254_14
.LBB254_12:                             ;   in Loop: Header=BB254_14 Depth=1
	s_or_b64 exec, exec, s[22:23]
	v_add_u32_e32 v98, 2, v98
	v_lshl_add_u64 v[2:3], v[98:99], 1, s[10:11]
	global_store_short_d16_hi v[2:3], v0, off
.LBB254_13:                             ;   in Loop: Header=BB254_14 Depth=1
	s_or_b64 exec, exec, s[20:21]
	v_add_u32_e32 v96, s13, v96
	v_cmp_le_u32_e32 vcc, s7, v96
	s_or_b64 s[16:17], vcc, s[16:17]
	s_andn2_b64 exec, exec, s[16:17]
	s_cbranch_execz .LBB254_72
.LBB254_14:                             ; =>This Loop Header: Depth=1
                                        ;     Child Loop BB254_18 Depth 2
	s_and_b64 vcc, exec, s[2:3]
	v_add_u32_e32 v100, 2, v96
	v_mov_b32_e32 v7, v99
	v_mov_b32_e32 v6, v99
	;; [unrolled: 1-line block ×48, first 2 shown]
	s_cbranch_vccnz .LBB254_21
; %bb.15:                               ;   in Loop: Header=BB254_14 Depth=1
	v_min_u32_e32 v0, s26, v96
	v_mul_lo_u32 v98, v0, s5
	v_add_u32_e32 v0, 1, v96
	v_min_u32_e32 v0, s26, v0
	v_min_u32_e32 v2, s26, v100
	v_mul_lo_u32 v0, v0, s5
	v_mov_b32_e32 v1, v99
	v_mul_lo_u32 v2, v2, s5
	v_mov_b32_e32 v3, v99
	v_mov_b32_e32 v24, 0
	s_mov_b32 s34, 0
	v_lshlrev_b64 v[102:103], 1, v[98:99]
	v_lshlrev_b64 v[104:105], 1, v[0:1]
	v_lshlrev_b64 v[106:107], 1, v[2:3]
	v_mov_b32_e32 v97, v118
	v_mov_b32_e32 v25, v24
	;; [unrolled: 1-line block ×48, first 2 shown]
	s_branch .LBB254_18
.LBB254_16:                             ;   in Loop: Header=BB254_18 Depth=2
	s_or_b64 exec, exec, s[22:23]
.LBB254_17:                             ;   in Loop: Header=BB254_18 Depth=2
	s_or_b64 exec, exec, s[20:21]
	s_waitcnt vmcnt(5) lgkmcnt(4)
	v_mfma_f32_4x4x4_16b_bf16 v[44:47], v[92:93], v[68:69], v[44:47]
	s_addk_i32 s34, 0x200
	s_waitcnt vmcnt(4)
	v_mfma_f32_4x4x4_16b_bf16 v[40:43], v[92:93], v[64:65], v[40:43]
	v_add_u32_e32 v97, 0x400, v97
	s_waitcnt vmcnt(3)
	v_mfma_f32_4x4x4_16b_bf16 v[36:39], v[92:93], v[72:73], v[36:39]
	s_cmp_ge_u32 s34, s4
	s_waitcnt lgkmcnt(3)
	v_mfma_f32_4x4x4_16b_bf16 v[32:35], v[88:89], v[68:69], v[32:35]
	v_mfma_f32_4x4x4_16b_bf16 v[28:31], v[88:89], v[64:65], v[28:31]
	v_mfma_f32_4x4x4_16b_bf16 v[24:27], v[88:89], v[72:73], v[24:27]
	s_waitcnt lgkmcnt(2)
	v_mfma_f32_4x4x4_16b_bf16 v[20:23], v[114:115], v[68:69], v[20:23]
	v_mfma_f32_4x4x4_16b_bf16 v[16:19], v[114:115], v[64:65], v[16:19]
	v_mfma_f32_4x4x4_16b_bf16 v[12:15], v[114:115], v[72:73], v[12:15]
	s_waitcnt lgkmcnt(0)
	v_mfma_f32_4x4x4_16b_bf16 v[8:11], v[84:85], v[68:69], v[8:11]
	v_mfma_f32_4x4x4_16b_bf16 v[0:3], v[84:85], v[64:65], v[0:3]
	v_mfma_f32_4x4x4_16b_bf16 v[4:7], v[84:85], v[72:73], v[4:7]
	v_mfma_f32_4x4x4_16b_bf16 v[44:47], v[94:95], v[70:71], v[44:47]
	v_mfma_f32_4x4x4_16b_bf16 v[40:43], v[94:95], v[66:67], v[40:43]
	;; [unrolled: 1-line block ×12, first 2 shown]
	s_waitcnt vmcnt(2)
	v_mfma_f32_4x4x4_16b_bf16 v[44:47], v[80:81], v[56:57], v[44:47]
	s_waitcnt vmcnt(1)
	v_mfma_f32_4x4x4_16b_bf16 v[40:43], v[80:81], v[60:61], v[40:43]
	;; [unrolled: 2-line block ×3, first 2 shown]
	v_mfma_f32_4x4x4_16b_bf16 v[32:35], v[76:77], v[56:57], v[32:35]
	v_mfma_f32_4x4x4_16b_bf16 v[28:31], v[76:77], v[60:61], v[28:31]
	;; [unrolled: 1-line block ×21, first 2 shown]
	s_cbranch_scc1 .LBB254_21
.LBB254_18:                             ;   Parent Loop BB254_14 Depth=1
                                        ; =>  This Inner Loop Header: Depth=2
	v_add_u32_e32 v76, s34, v116
	v_min_u32_e32 v98, s25, v76
	v_lshl_add_u64 v[48:49], v[98:99], 1, s[14:15]
	v_add_u32_e32 v101, 0x100, v76
	v_lshl_add_u64 v[50:51], v[48:49], 0, v[102:103]
	v_min_u32_e32 v98, s25, v101
	v_lshl_add_u64 v[52:53], v[48:49], 0, v[104:105]
	global_load_dwordx4 v[68:71], v[50:51], off nt
	global_load_dwordx4 v[64:67], v[52:53], off nt
	v_lshl_add_u64 v[50:51], v[98:99], 1, s[14:15]
	v_lshl_add_u64 v[48:49], v[48:49], 0, v[106:107]
	;; [unrolled: 1-line block ×3, first 2 shown]
	global_load_dwordx4 v[72:75], v[48:49], off nt
	global_load_dwordx4 v[56:59], v[52:53], off nt
	v_lshl_add_u64 v[52:53], v[50:51], 0, v[104:105]
	v_lshl_add_u64 v[54:55], v[50:51], 0, v[106:107]
	global_load_dwordx4 v[60:63], v[52:53], off nt
	global_load_dwordx4 v[48:51], v[54:55], off nt
	v_cmp_gt_u32_e32 vcc, s4, v76
	v_mov_b32_e32 v54, 0
	v_mov_b32_e32 v55, 0
	;; [unrolled: 1-line block ×32, first 2 shown]
	s_and_saveexec_b64 s[20:21], vcc
	s_cbranch_execz .LBB254_17
; %bb.19:                               ;   in Loop: Header=BB254_18 Depth=2
	v_add_u32_e32 v120, s6, v97
	v_add_u32_e32 v98, s24, v97
	ds_read_b128 v[92:95], v97
	ds_read_b128 v[88:91], v120
	ds_read2_b32 v[114:115], v98 offset1:1
	v_add_u32_e32 v119, s30, v97
	ds_read2_b32 v[112:113], v98 offset0:2 offset1:3
	ds_read_b128 v[84:87], v119
	v_cmp_gt_u32_e32 vcc, s4, v101
	v_mov_b32_e32 v81, 0
	v_mov_b32_e32 v80, 0
	;; [unrolled: 1-line block ×16, first 2 shown]
	s_and_saveexec_b64 s[22:23], vcc
	s_cbranch_execz .LBB254_16
; %bb.20:                               ;   in Loop: Header=BB254_18 Depth=2
	ds_read_b128 v[80:83], v97 offset:512
	ds_read_b128 v[76:79], v120 offset:512
	ds_read2_b32 v[110:111], v98 offset0:128 offset1:129
	ds_read2_b32 v[108:109], v98 offset0:130 offset1:131
	ds_read_b128 v[52:55], v119 offset:512
	s_branch .LBB254_16
.LBB254_21:                             ;   in Loop: Header=BB254_14 Depth=1
	; sched_barrier mask(0x00000000)
	v_cvt_i32_f32_e32 v41, v41
	v_cvt_i32_f32_e32 v42, v42
	;; [unrolled: 1-line block ×6, first 2 shown]
	v_cvt_f32_i32_dpp v41, v41 row_shl:1 row_mask:0xf bank_mask:0xf bound_ctrl:1
	v_cvt_f32_i32_dpp v42, v42 row_shl:2 row_mask:0xf bank_mask:0xf bound_ctrl:1
	;; [unrolled: 1-line block ×6, first 2 shown]
	v_add_f32_e32 v40, v40, v41
	v_add_f32_e32 v40, v40, v42
	;; [unrolled: 1-line block ×5, first 2 shown]
	v_cvt_i32_f32_e32 v41, v40
	v_add_f32_e32 v44, v44, v47
	v_cvt_i32_f32_e32 v45, v44
	v_cvt_i32_f32_e32 v37, v37
	v_cvt_f32_i32_dpp v41, v41 row_shl:4 row_mask:0xf bank_mask:0xf bound_ctrl:1
	v_cvt_i32_f32_e32 v38, v38
	v_cvt_f32_i32_dpp v45, v45 row_shl:4 row_mask:0xf bank_mask:0xf bound_ctrl:1
	v_cvt_i32_f32_e32 v39, v39
	v_add_f32_e32 v40, v40, v41
	v_cvt_i32_f32_e32 v41, v40
	v_add_f32_e32 v42, v44, v45
	v_cvt_i32_f32_e32 v43, v42
	v_cvt_f32_i32_dpp v37, v37 row_shl:1 row_mask:0xf bank_mask:0xf bound_ctrl:1
	v_cvt_f32_i32_dpp v38, v38 row_shl:2 row_mask:0xf bank_mask:0xf bound_ctrl:1
	;; [unrolled: 1-line block ×5, first 2 shown]
	v_add_f32_e32 v36, v36, v37
	v_add_f32_e32 v36, v36, v38
	;; [unrolled: 1-line block ×4, first 2 shown]
	v_cvt_i32_f32_e32 v40, v40
	v_cvt_i32_f32_e32 v36, v37
	v_add_f32_e32 v42, v42, v43
	v_cvt_i32_f32_e32 v42, v42
	v_cvt_i32_f32_e32 v33, v33
	;; [unrolled: 1-line block ×3, first 2 shown]
	v_cvt_f32_i32_dpp v39, v40 row_shr:15 row_mask:0xf bank_mask:0xf bound_ctrl:1
	v_cvt_f32_i32_dpp v40, v36 row_shl:4 row_mask:0xf bank_mask:0xf bound_ctrl:1
	v_cvt_i32_f32_e32 v35, v35
	v_cvt_f32_i32_dpp v42, v42 row_shr:15 row_mask:0xf bank_mask:0xf bound_ctrl:1
	v_cvt_f32_i32_dpp v33, v33 row_shl:1 row_mask:0xf bank_mask:0xf bound_ctrl:1
	v_cvt_f32_i32_dpp v34, v34 row_shl:2 row_mask:0xf bank_mask:0xf bound_ctrl:1
	v_add_f32_e32 v37, v37, v40
	v_cvt_f32_i32_dpp v35, v35 row_shl:3 row_mask:0xf bank_mask:0xf bound_ctrl:1
	v_cvt_i32_f32_e32 v40, v37
	v_cvt_i32_f32_e32 v41, v42
	v_add_f32_e32 v32, v32, v33
	v_add_f32_e32 v32, v32, v34
	;; [unrolled: 1-line block ×3, first 2 shown]
	v_cvt_i32_f32_e32 v29, v29
	v_cvt_f32_i32_dpp v40, v40 row_shl:8 row_mask:0xf bank_mask:0xf bound_ctrl:1
	v_cvt_i32_f32_e32 v32, v34
	v_cvt_i32_f32_e32 v30, v30
	v_cvt_f32_i32_dpp v38, v41 row_bcast:15 row_mask:0xf bank_mask:0xf bound_ctrl:1
	v_cvt_i32_f32_e32 v41, v39
	v_cvt_i32_f32_e32 v31, v31
	v_cvt_f32_i32_dpp v29, v29 row_shl:1 row_mask:0xf bank_mask:0xf bound_ctrl:1
	v_add_f32_e32 v33, v37, v40
	v_cvt_f32_i32_dpp v40, v32 row_shl:4 row_mask:0xf bank_mask:0xf bound_ctrl:1
	v_cvt_f32_i32_dpp v30, v30 row_shl:2 row_mask:0xf bank_mask:0xf bound_ctrl:1
	v_cvt_f32_i32_dpp v35, v41 row_bcast:15 row_mask:0xf bank_mask:0xf bound_ctrl:1
	v_cvt_i32_f32_e32 v37, v33
	v_cvt_f32_i32_dpp v31, v31 row_shl:3 row_mask:0xf bank_mask:0xf bound_ctrl:1
	v_add_f32_e32 v28, v28, v29
	v_add_f32_e32 v34, v34, v40
	;; [unrolled: 1-line block ×4, first 2 shown]
	v_cvt_f32_i32_dpp v35, v37 row_shr:15 row_mask:0xf bank_mask:0xf bound_ctrl:1
	v_cvt_i32_f32_e32 v37, v34
	v_add_f32_e32 v28, v28, v31
	v_cvt_i32_f32_e32 v29, v28
	v_cvt_i32_f32_e32 v30, v35
	v_cvt_f32_i32_dpp v37, v37 row_shl:8 row_mask:0xf bank_mask:0xf bound_ctrl:1
	v_cvt_i32_f32_e32 v25, v25
	v_cvt_f32_i32_dpp v29, v29 row_shl:4 row_mask:0xf bank_mask:0xf bound_ctrl:1
	v_cvt_i32_f32_e32 v26, v26
	v_add_f32_e32 v31, v34, v37
	v_cvt_i32_f32_e32 v31, v31
	v_cvt_f32_i32_dpp v30, v30 row_bcast:15 row_mask:0xf bank_mask:0xf bound_ctrl:1
	v_add_f32_e32 v37, v28, v29
	v_cvt_i32_f32_e32 v27, v27
	v_cvt_i32_f32_e32 v29, v37
	v_cvt_f32_i32_dpp v25, v25 row_shl:1 row_mask:0xf bank_mask:0xf bound_ctrl:1
	v_add_f32_e32 v36, v42, v38
	v_cvt_f32_i32_dpp v26, v26 row_shl:2 row_mask:0xf bank_mask:0xf bound_ctrl:1
	v_cvt_i32_f32_e32 v38, v36
	v_cvt_f32_i32_dpp v31, v31 row_shr:15 row_mask:0xf bank_mask:0xf bound_ctrl:1
	v_add_f32_e32 v28, v35, v30
	v_cvt_f32_i32_dpp v27, v27 row_shl:3 row_mask:0xf bank_mask:0xf bound_ctrl:1
	v_cvt_i32_f32_e32 v35, v28
	v_cvt_f32_i32_dpp v39, v29 row_shl:8 row_mask:0xf bank_mask:0xf bound_ctrl:1
	v_add_f32_e32 v24, v24, v25
	v_cvt_i32_f32_e32 v21, v21
	v_add_f32_e32 v24, v24, v26
	v_cvt_i32_f32_e32 v22, v22
	v_mov_b32_dpp v33, v38 row_bcast:31 row_mask:0xf bank_mask:0xf bound_ctrl:1
	v_cvt_i32_f32_e32 v34, v32
	v_cvt_i32_f32_e32 v38, v31
	v_add_f32_e32 v25, v24, v27
	v_cvt_i32_f32_e32 v23, v23
	v_mov_b32_dpp v29, v35 row_bcast:31 row_mask:0xf bank_mask:0xf bound_ctrl:1
	v_add_f32_e32 v35, v37, v39
	v_cvt_i32_f32_e32 v26, v25
	v_cvt_i32_f32_e32 v35, v35
	v_cvt_f32_i32_dpp v21, v21 row_shl:1 row_mask:0xf bank_mask:0xf bound_ctrl:1
	v_cvt_f32_i32_dpp v22, v22 row_shl:2 row_mask:0xf bank_mask:0xf bound_ctrl:1
	v_mov_b32_dpp v30, v34 row_bcast:31 row_mask:0xf bank_mask:0xf bound_ctrl:1
	v_cvt_f32_i32_dpp v34, v38 row_bcast:15 row_mask:0xf bank_mask:0xf bound_ctrl:1
	v_cvt_f32_i32_dpp v23, v23 row_shl:3 row_mask:0xf bank_mask:0xf bound_ctrl:1
	v_cvt_f32_i32_dpp v26, v26 row_shl:4 row_mask:0xf bank_mask:0xf bound_ctrl:1
	v_cvt_f32_i32_dpp v35, v35 row_shr:15 row_mask:0xf bank_mask:0xf bound_ctrl:1
	v_add_f32_e32 v20, v20, v21
	v_add_f32_e32 v20, v20, v22
	;; [unrolled: 1-line block ×4, first 2 shown]
	v_cvt_i32_f32_e32 v27, v24
	v_add_f32_e32 v25, v25, v26
	v_cvt_i32_f32_e32 v20, v22
	v_cvt_i32_f32_e32 v31, v35
	;; [unrolled: 1-line block ×3, first 2 shown]
	v_mov_b32_dpp v21, v27 row_bcast:31 row_mask:0xf bank_mask:0xf bound_ctrl:1
	v_cvt_f32_i32_dpp v27, v20 row_shl:4 row_mask:0xf bank_mask:0xf bound_ctrl:1
	v_cvt_f32_i32_dpp v23, v31 row_bcast:15 row_mask:0xf bank_mask:0xf bound_ctrl:1
	v_cvt_f32_i32_dpp v26, v26 row_shl:8 row_mask:0xf bank_mask:0xf bound_ctrl:1
	v_cvt_i32_f32_e32 v17, v17
	v_add_f32_e32 v22, v22, v27
	v_cvt_i32_f32_e32 v18, v18
	v_add_f32_e32 v20, v35, v23
	v_add_f32_e32 v23, v25, v26
	v_cvt_i32_f32_e32 v19, v19
	v_cvt_i32_f32_e32 v25, v22
	v_cvt_f32_i32_dpp v17, v17 row_shl:1 row_mask:0xf bank_mask:0xf bound_ctrl:1
	v_cvt_f32_i32_dpp v18, v18 row_shl:2 row_mask:0xf bank_mask:0xf bound_ctrl:1
	v_cvt_f32_i32_dpp v19, v19 row_shl:3 row_mask:0xf bank_mask:0xf bound_ctrl:1
	v_cvt_f32_i32_dpp v25, v25 row_shl:8 row_mask:0xf bank_mask:0xf bound_ctrl:1
	v_add_f32_e32 v16, v16, v17
	v_add_f32_e32 v16, v16, v18
	;; [unrolled: 1-line block ×4, first 2 shown]
	v_cvt_i32_f32_e32 v17, v16
	v_cvt_i32_f32_e32 v19, v19
	;; [unrolled: 1-line block ×7, first 2 shown]
	v_cvt_f32_i32_dpp v17, v17 row_shl:4 row_mask:0xf bank_mask:0xf bound_ctrl:1
	v_cvt_i32_f32_e32 v22, v20
	v_cvt_f32_i32_dpp v19, v19 row_shr:15 row_mask:0xf bank_mask:0xf bound_ctrl:1
	v_cvt_f32_i32_dpp v1, v1 row_shl:1 row_mask:0xf bank_mask:0xf bound_ctrl:1
	v_cvt_f32_i32_dpp v13, v13 row_shl:1 row_mask:0xf bank_mask:0xf bound_ctrl:1
	v_cvt_i32_f32_e32 v9, v9
	v_cvt_f32_i32_dpp v2, v2 row_shl:2 row_mask:0xf bank_mask:0xf bound_ctrl:1
	v_cvt_i32_f32_e32 v3, v3
	;; [unrolled: 2-line block ×4, first 2 shown]
	v_add_f32_e32 v25, v16, v17
	v_mov_b32_dpp v17, v22 row_bcast:31 row_mask:0xf bank_mask:0xf bound_ctrl:1
	v_cvt_i32_f32_e32 v22, v19
	v_add_f32_e32 v0, v0, v1
	v_add_f32_e32 v12, v12, v13
	v_cvt_f32_i32_dpp v9, v9 row_shl:1 row_mask:0xf bank_mask:0xf bound_ctrl:1
	v_add_f32_e32 v0, v0, v2
	v_cvt_f32_i32_dpp v1, v3 row_shl:3 row_mask:0xf bank_mask:0xf bound_ctrl:1
	v_cvt_i32_f32_e32 v2, v5
	v_add_f32_e32 v12, v12, v14
	v_cvt_f32_i32_dpp v10, v10 row_shl:2 row_mask:0xf bank_mask:0xf bound_ctrl:1
	v_cvt_i32_f32_e32 v3, v6
	;; [unrolled: 3-line block ×3, first 2 shown]
	v_cvt_f32_i32_dpp v22, v22 row_bcast:15 row_mask:0xf bank_mask:0xf bound_ctrl:1
	v_cvt_i32_f32_e32 v12, v14
	v_add_f32_e32 v8, v8, v9
	v_add_f32_e32 v0, v0, v1
	v_cvt_f32_i32_dpp v1, v2 row_shl:1 row_mask:0xf bank_mask:0xf bound_ctrl:1
	v_add_f32_e32 v8, v8, v10
	v_cvt_f32_i32_dpp v2, v3 row_shl:2 row_mask:0xf bank_mask:0xf bound_ctrl:1
	;; [unrolled: 2-line block ×4, first 2 shown]
	v_cvt_i32_f32_e32 v11, v9
	v_add_f32_e32 v1, v4, v1
	v_add_f32_e32 v1, v1, v2
	;; [unrolled: 1-line block ×4, first 2 shown]
	v_cvt_f32_i32_dpp v11, v11 row_shl:4 row_mask:0xf bank_mask:0xf bound_ctrl:1
	v_cvt_i32_f32_e32 v5, v0
	v_cvt_i32_f32_e32 v2, v1
	;; [unrolled: 1-line block ×4, first 2 shown]
	v_add_f32_e32 v9, v9, v11
	v_cvt_f32_i32_dpp v4, v5 row_shl:4 row_mask:0xf bank_mask:0xf bound_ctrl:1
	v_cvt_f32_i32_dpp v2, v2 row_shl:4 row_mask:0xf bank_mask:0xf bound_ctrl:1
	v_cvt_f32_i32_dpp v18, v23 row_shr:15 row_mask:0xf bank_mask:0xf bound_ctrl:1
	v_cvt_f32_i32_dpp v19, v19 row_shl:8 row_mask:0xf bank_mask:0xf bound_ctrl:1
	v_cvt_i32_f32_e32 v11, v9
	v_add_f32_e32 v0, v0, v4
	v_add_f32_e32 v1, v1, v2
	v_cvt_i32_f32_e32 v23, v18
	v_cvt_i32_f32_e32 v16, v25
	v_add_f32_e32 v14, v14, v19
	v_cvt_f32_i32_dpp v3, v11 row_shl:8 row_mask:0xf bank_mask:0xf bound_ctrl:1
	v_cvt_i32_f32_e32 v4, v0
	v_cvt_i32_f32_e32 v2, v1
	v_cvt_i32_f32_e32 v14, v14
	v_cvt_f32_i32_dpp v23, v23 row_bcast:15 row_mask:0xf bank_mask:0xf bound_ctrl:1
	v_cvt_f32_i32_dpp v26, v16 row_shl:8 row_mask:0xf bank_mask:0xf bound_ctrl:1
	v_add_f32_e32 v3, v9, v3
	v_cvt_f32_i32_dpp v4, v4 row_shl:8 row_mask:0xf bank_mask:0xf bound_ctrl:1
	v_cvt_f32_i32_dpp v2, v2 row_shl:8 row_mask:0xf bank_mask:0xf bound_ctrl:1
	v_cvt_f32_i32_dpp v5, v14 row_shr:15 row_mask:0xf bank_mask:0xf bound_ctrl:1
	v_cvt_i32_f32_e32 v3, v3
	v_add_f32_e32 v16, v18, v23
	v_add_f32_e32 v23, v25, v26
	;; [unrolled: 1-line block ×4, first 2 shown]
	v_cvt_i32_f32_e32 v23, v23
	v_cvt_i32_f32_e32 v6, v5
	v_cvt_f32_i32_dpp v3, v3 row_shr:15 row_mask:0xf bank_mask:0xf bound_ctrl:1
	v_cvt_i32_f32_e32 v0, v0
	v_cvt_i32_f32_e32 v1, v1
	v_cvt_f32_i32_dpp v23, v23 row_shr:15 row_mask:0xf bank_mask:0xf bound_ctrl:1
	v_cvt_f32_i32_dpp v2, v6 row_bcast:15 row_mask:0xf bank_mask:0xf bound_ctrl:1
	v_cvt_f32_i32_dpp v0, v0 row_shr:15 row_mask:0xf bank_mask:0xf bound_ctrl:1
	v_cvt_i32_f32_e32 v4, v3
	v_cvt_f32_i32_dpp v1, v1 row_shr:15 row_mask:0xf bank_mask:0xf bound_ctrl:1
	v_cvt_i32_f32_e32 v18, v16
	v_cvt_i32_f32_e32 v25, v23
	v_add_f32_e32 v9, v5, v2
	v_cvt_i32_f32_e32 v2, v0
	v_cvt_f32_i32_dpp v4, v4 row_bcast:15 row_mask:0xf bank_mask:0xf bound_ctrl:1
	v_cvt_i32_f32_e32 v5, v1
	v_mov_b32_dpp v15, v18 row_bcast:31 row_mask:0xf bank_mask:0xf bound_ctrl:1
	v_cvt_f32_i32_dpp v18, v25 row_bcast:15 row_mask:0xf bank_mask:0xf bound_ctrl:1
	v_cvt_f32_i32_dpp v2, v2 row_bcast:15 row_mask:0xf bank_mask:0xf bound_ctrl:1
	v_add_f32_e32 v6, v3, v4
	v_cvt_f32_i32_dpp v3, v5 row_bcast:15 row_mask:0xf bank_mask:0xf bound_ctrl:1
	v_add_f32_e32 v12, v23, v18
	v_add_f32_e32 v4, v0, v2
	v_cvt_i32_f32_e32 v22, v13
	v_add_f32_e32 v2, v1, v3
	v_cvt_i32_f32_e32 v18, v12
	v_cvt_i32_f32_e32 v7, v9
	;; [unrolled: 1-line block ×5, first 2 shown]
	v_mov_b32_dpp v10, v22 row_bcast:31 row_mask:0xf bank_mask:0xf bound_ctrl:1
	v_mov_b32_dpp v8, v18 row_bcast:31 row_mask:0xf bank_mask:0xf bound_ctrl:1
	;; [unrolled: 1-line block ×6, first 2 shown]
	s_and_saveexec_b64 s[20:21], s[0:1]
	s_cbranch_execz .LBB254_13
; %bb.22:                               ;   in Loop: Header=BB254_14 Depth=1
	s_andn2_b64 vcc, exec, s[18:19]
	v_mov_b32_e32 v0, 0
	v_mov_b32_e32 v35, 0
	;; [unrolled: 1-line block ×12, first 2 shown]
	s_cbranch_vccnz .LBB254_24
; %bb.23:                               ;   in Loop: Header=BB254_14 Depth=1
	v_mul_hi_u32 v0, v96, v117
	v_mul_lo_u32 v0, v0, s12
	v_sub_u32_e32 v0, v96, v0
	v_subrev_u32_e32 v1, s12, v0
	v_cmp_le_u32_e32 vcc, s12, v0
	v_mov_b32_e32 v23, v99
	v_mov_b32_e32 v41, v99
	v_cndmask_b32_e32 v0, v0, v1, vcc
	v_subrev_u32_e32 v1, s12, v0
	v_cmp_le_u32_e32 vcc, s12, v0
	s_nop 1
	v_cndmask_b32_e32 v98, v0, v1, vcc
	v_add_u32_e32 v0, 1, v96
	v_mul_hi_u32 v1, v0, v117
	v_mul_lo_u32 v1, v1, s12
	v_sub_u32_e32 v0, v0, v1
	v_subrev_u32_e32 v1, s12, v0
	v_cmp_le_u32_e32 vcc, s12, v0
	v_lshl_add_u64 v[18:19], v[98:99], 1, s[8:9]
	s_nop 0
	v_cndmask_b32_e32 v0, v0, v1, vcc
	v_subrev_u32_e32 v1, s12, v0
	v_cmp_le_u32_e32 vcc, s12, v0
	s_nop 1
	v_cndmask_b32_e32 v22, v0, v1, vcc
	v_mul_hi_u32 v0, v100, v117
	v_mul_lo_u32 v0, v0, s12
	v_sub_u32_e32 v0, v100, v0
	v_subrev_u32_e32 v1, s12, v0
	v_cmp_le_u32_e32 vcc, s12, v0
	v_lshl_add_u64 v[38:39], v[22:23], 1, s[8:9]
	s_nop 0
	v_cndmask_b32_e32 v0, v0, v1, vcc
	v_subrev_u32_e32 v1, s12, v0
	v_cmp_le_u32_e32 vcc, s12, v0
	s_nop 1
	v_cndmask_b32_e32 v40, v0, v1, vcc
	v_add_u32_e32 v0, s27, v98
	v_mov_b32_e32 v1, v99
	v_lshl_add_u64 v[44:45], v[0:1], 1, s[8:9]
	v_add_u32_e32 v0, s27, v22
	v_lshl_add_u64 v[46:47], v[0:1], 1, s[8:9]
	v_add_u32_e32 v0, s27, v40
	;; [unrolled: 2-line block ×4, first 2 shown]
	v_lshl_add_u64 v[42:43], v[40:41], 1, s[8:9]
	v_lshl_add_u64 v[52:53], v[0:1], 1, s[8:9]
	global_load_ushort v0, v[18:19], off
	global_load_ushort v35, v[38:39], off
	;; [unrolled: 1-line block ×8, first 2 shown]
	v_add_u32_e32 v98, s29, v98
	v_add_u32_e32 v18, s28, v40
	v_mov_b32_e32 v19, v99
	v_lshl_add_u64 v[42:43], v[98:99], 1, s[8:9]
	v_add_u32_e32 v98, s29, v22
	v_lshl_add_u64 v[38:39], v[18:19], 1, s[8:9]
	v_lshl_add_u64 v[44:45], v[98:99], 1, s[8:9]
	v_add_u32_e32 v98, s29, v40
	v_lshl_add_u64 v[40:41], v[98:99], 1, s[8:9]
	global_load_ushort v22, v[38:39], off
	global_load_ushort v19, v[42:43], off
	;; [unrolled: 1-line block ×4, first 2 shown]
.LBB254_24:                             ;   in Loop: Header=BB254_14 Depth=1
	v_cvt_f32_i32_e32 v1, v33
	s_waitcnt vmcnt(11)
	v_lshlrev_b32_e32 v0, 16, v0
                                        ; implicit-def: $vgpr33
	v_add_f32_e32 v1, v36, v1
	v_add_f32_e32 v0, v1, v0
	v_and_b32_e32 v1, 0x7f800000, v0
	v_cmp_ne_u32_e32 vcc, s31, v1
	s_and_saveexec_b64 s[22:23], vcc
	s_xor_b64 s[22:23], exec, s[22:23]
; %bb.25:                               ;   in Loop: Header=BB254_14 Depth=1
	v_bfe_u32 v1, v0, 16, 1
	v_add3_u32 v33, v0, v1, s33
                                        ; implicit-def: $vgpr0
; %bb.26:                               ;   in Loop: Header=BB254_14 Depth=1
	s_andn2_saveexec_b64 s[22:23], s[22:23]
; %bb.27:                               ;   in Loop: Header=BB254_14 Depth=1
	v_or_b32_e32 v1, 0x10000, v0
	v_cmp_eq_u32_sdwa vcc, v0, v99 src0_sel:WORD_0 src1_sel:DWORD
	s_nop 1
	v_cndmask_b32_e32 v33, v1, v0, vcc
; %bb.28:                               ;   in Loop: Header=BB254_14 Depth=1
	s_or_b64 exec, exec, s[22:23]
	v_cvt_f32_i32_e32 v30, v30
	v_mov_b32_e32 v97, v99
	v_lshl_add_u64 v[0:1], v[96:97], 1, s[10:11]
	global_store_short_d16_hi v[0:1], v33, off
	v_add_f32_e32 v30, v32, v30
	s_waitcnt vmcnt(11)
	v_lshlrev_b32_e32 v32, 16, v35
	v_add_f32_e32 v30, v30, v32
	v_and_b32_e32 v32, 0x7f800000, v30
	v_cmp_ne_u32_e32 vcc, s31, v32
                                        ; implicit-def: $vgpr32
	s_and_saveexec_b64 s[22:23], vcc
	s_xor_b64 s[22:23], exec, s[22:23]
; %bb.29:                               ;   in Loop: Header=BB254_14 Depth=1
	v_bfe_u32 v32, v30, 16, 1
	v_add3_u32 v32, v30, v32, s33
                                        ; implicit-def: $vgpr30
; %bb.30:                               ;   in Loop: Header=BB254_14 Depth=1
	s_andn2_saveexec_b64 s[22:23], s[22:23]
; %bb.31:                               ;   in Loop: Header=BB254_14 Depth=1
	v_or_b32_e32 v32, 0x10000, v30
	v_cmp_eq_u32_sdwa vcc, v30, v99 src0_sel:WORD_0 src1_sel:DWORD
	s_nop 1
	v_cndmask_b32_e32 v32, v32, v30, vcc
; %bb.32:                               ;   in Loop: Header=BB254_14 Depth=1
	s_or_b64 exec, exec, s[22:23]
	v_cvt_f32_i32_e32 v29, v29
	global_store_short_d16_hi v[0:1], v32, off offset:2
	s_waitcnt vmcnt(11)
	v_lshlrev_b32_e32 v1, 16, v34
	v_add_f32_e32 v0, v28, v29
	v_add_f32_e32 v1, v0, v1
	v_and_b32_e32 v0, 0x7f800000, v1
	v_cmp_ne_u32_e32 vcc, s31, v0
                                        ; implicit-def: $vgpr0
	s_and_saveexec_b64 s[22:23], vcc
	s_xor_b64 s[22:23], exec, s[22:23]
; %bb.33:                               ;   in Loop: Header=BB254_14 Depth=1
	v_bfe_u32 v0, v1, 16, 1
	v_add3_u32 v0, v1, v0, s33
                                        ; implicit-def: $vgpr1
; %bb.34:                               ;   in Loop: Header=BB254_14 Depth=1
	s_andn2_saveexec_b64 s[22:23], s[22:23]
; %bb.35:                               ;   in Loop: Header=BB254_14 Depth=1
	v_or_b32_e32 v0, 0x10000, v1
	v_cmp_eq_u32_sdwa vcc, v1, v99 src0_sel:WORD_0 src1_sel:DWORD
	s_nop 1
	v_cndmask_b32_e32 v0, v0, v1, vcc
; %bb.36:                               ;   in Loop: Header=BB254_14 Depth=1
	s_or_b64 exec, exec, s[22:23]
	v_cvt_f32_i32_e32 v1, v21
	v_mov_b32_e32 v101, v99
	v_lshl_add_u64 v[28:29], v[100:101], 1, s[10:11]
	global_store_short_d16_hi v[28:29], v0, off
	v_add_f32_e32 v0, v24, v1
	s_waitcnt vmcnt(11)
	v_lshlrev_b32_e32 v1, 16, v31
	v_add_f32_e32 v1, v0, v1
	v_and_b32_e32 v0, 0x7f800000, v1
	v_cmp_ne_u32_e32 vcc, s31, v0
                                        ; implicit-def: $vgpr0
	s_and_saveexec_b64 s[22:23], vcc
	s_xor_b64 s[22:23], exec, s[22:23]
; %bb.37:                               ;   in Loop: Header=BB254_14 Depth=1
	v_bfe_u32 v0, v1, 16, 1
	v_add3_u32 v0, v1, v0, s33
                                        ; implicit-def: $vgpr1
; %bb.38:                               ;   in Loop: Header=BB254_14 Depth=1
	s_andn2_saveexec_b64 s[22:23], s[22:23]
; %bb.39:                               ;   in Loop: Header=BB254_14 Depth=1
	v_or_b32_e32 v0, 0x10000, v1
	v_cmp_eq_u32_sdwa vcc, v1, v99 src0_sel:WORD_0 src1_sel:DWORD
	s_nop 1
	v_cndmask_b32_e32 v0, v0, v1, vcc
; %bb.40:                               ;   in Loop: Header=BB254_14 Depth=1
	s_or_b64 exec, exec, s[22:23]
	v_cvt_f32_i32_e32 v1, v17
	v_add_u32_e32 v98, s7, v96
	v_lshl_add_u64 v[28:29], v[98:99], 1, s[10:11]
	global_store_short_d16_hi v[28:29], v0, off
	v_add_f32_e32 v0, v20, v1
	s_waitcnt vmcnt(11)
	v_lshlrev_b32_e32 v1, 16, v27
	v_add_f32_e32 v1, v0, v1
	v_and_b32_e32 v0, 0x7f800000, v1
	v_cmp_ne_u32_e32 vcc, s31, v0
                                        ; implicit-def: $vgpr0
	s_and_saveexec_b64 s[22:23], vcc
	s_xor_b64 s[22:23], exec, s[22:23]
; %bb.41:                               ;   in Loop: Header=BB254_14 Depth=1
	v_bfe_u32 v0, v1, 16, 1
	v_add3_u32 v0, v1, v0, s33
                                        ; implicit-def: $vgpr1
; %bb.42:                               ;   in Loop: Header=BB254_14 Depth=1
	s_andn2_saveexec_b64 s[22:23], s[22:23]
; %bb.43:                               ;   in Loop: Header=BB254_14 Depth=1
	v_or_b32_e32 v0, 0x10000, v1
	v_cmp_eq_u32_sdwa vcc, v1, v99 src0_sel:WORD_0 src1_sel:DWORD
	s_nop 1
	v_cndmask_b32_e32 v0, v0, v1, vcc
; %bb.44:                               ;   in Loop: Header=BB254_14 Depth=1
	s_or_b64 exec, exec, s[22:23]
	v_cvt_f32_i32_e32 v1, v15
	v_add_u32_e32 v20, 1, v98
	v_mov_b32_e32 v21, v99
	v_lshl_add_u64 v[20:21], v[20:21], 1, s[10:11]
	v_add_f32_e32 v1, v16, v1
	global_store_short_d16_hi v[20:21], v0, off
	s_waitcnt vmcnt(11)
	v_lshlrev_b32_e32 v0, 16, v26
	v_add_f32_e32 v1, v1, v0
	v_and_b32_e32 v0, 0x7f800000, v1
	v_cmp_ne_u32_e32 vcc, s31, v0
                                        ; implicit-def: $vgpr0
	s_and_saveexec_b64 s[22:23], vcc
	s_xor_b64 s[22:23], exec, s[22:23]
; %bb.45:                               ;   in Loop: Header=BB254_14 Depth=1
	v_bfe_u32 v0, v1, 16, 1
	v_add3_u32 v0, v1, v0, s33
                                        ; implicit-def: $vgpr1
; %bb.46:                               ;   in Loop: Header=BB254_14 Depth=1
	s_andn2_saveexec_b64 s[22:23], s[22:23]
; %bb.47:                               ;   in Loop: Header=BB254_14 Depth=1
	v_or_b32_e32 v0, 0x10000, v1
	v_cmp_eq_u32_sdwa vcc, v1, v99 src0_sel:WORD_0 src1_sel:DWORD
	s_nop 1
	v_cndmask_b32_e32 v0, v0, v1, vcc
; %bb.48:                               ;   in Loop: Header=BB254_14 Depth=1
	s_or_b64 exec, exec, s[22:23]
	v_cvt_f32_i32_e32 v1, v10
	v_add_u32_e32 v16, 2, v98
	v_mov_b32_e32 v17, v99
	v_lshl_add_u64 v[16:17], v[16:17], 1, s[10:11]
	v_add_f32_e32 v1, v13, v1
	global_store_short_d16_hi v[16:17], v0, off
	s_waitcnt vmcnt(11)
	v_lshlrev_b32_e32 v0, 16, v25
	v_add_f32_e32 v1, v1, v0
	v_and_b32_e32 v0, 0x7f800000, v1
	v_cmp_ne_u32_e32 vcc, s31, v0
                                        ; implicit-def: $vgpr0
	s_and_saveexec_b64 s[22:23], vcc
	s_xor_b64 s[22:23], exec, s[22:23]
; %bb.49:                               ;   in Loop: Header=BB254_14 Depth=1
	v_bfe_u32 v0, v1, 16, 1
	v_add3_u32 v0, v1, v0, s33
                                        ; implicit-def: $vgpr1
; %bb.50:                               ;   in Loop: Header=BB254_14 Depth=1
	s_andn2_saveexec_b64 s[22:23], s[22:23]
; %bb.51:                               ;   in Loop: Header=BB254_14 Depth=1
	v_or_b32_e32 v0, 0x10000, v1
	v_cmp_eq_u32_sdwa vcc, v1, v99 src0_sel:WORD_0 src1_sel:DWORD
	s_nop 1
	v_cndmask_b32_e32 v0, v0, v1, vcc
; %bb.52:                               ;   in Loop: Header=BB254_14 Depth=1
	s_or_b64 exec, exec, s[22:23]
	v_cvt_f32_i32_e32 v1, v8
	v_add_u32_e32 v98, s7, v98
	v_lshl_add_u64 v[16:17], v[98:99], 1, s[10:11]
	global_store_short_d16_hi v[16:17], v0, off
	v_add_f32_e32 v0, v12, v1
	s_waitcnt vmcnt(11)
	v_lshlrev_b32_e32 v1, 16, v23
	v_add_f32_e32 v1, v0, v1
	v_and_b32_e32 v0, 0x7f800000, v1
	v_cmp_ne_u32_e32 vcc, s31, v0
                                        ; implicit-def: $vgpr0
	s_and_saveexec_b64 s[22:23], vcc
	s_xor_b64 s[22:23], exec, s[22:23]
; %bb.53:                               ;   in Loop: Header=BB254_14 Depth=1
	v_bfe_u32 v0, v1, 16, 1
	v_add3_u32 v0, v1, v0, s33
                                        ; implicit-def: $vgpr1
; %bb.54:                               ;   in Loop: Header=BB254_14 Depth=1
	s_andn2_saveexec_b64 s[22:23], s[22:23]
; %bb.55:                               ;   in Loop: Header=BB254_14 Depth=1
	v_or_b32_e32 v0, 0x10000, v1
	v_cmp_eq_u32_sdwa vcc, v1, v99 src0_sel:WORD_0 src1_sel:DWORD
	s_nop 1
	v_cndmask_b32_e32 v0, v0, v1, vcc
; %bb.56:                               ;   in Loop: Header=BB254_14 Depth=1
	s_or_b64 exec, exec, s[22:23]
	v_cvt_f32_i32_e32 v1, v14
	v_add_u32_e32 v12, 1, v98
	v_mov_b32_e32 v13, v99
	v_lshl_add_u64 v[12:13], v[12:13], 1, s[10:11]
	v_add_f32_e32 v1, v9, v1
	global_store_short_d16_hi v[12:13], v0, off
	s_waitcnt vmcnt(11)
	v_lshlrev_b32_e32 v0, 16, v22
	v_add_f32_e32 v1, v1, v0
	v_and_b32_e32 v0, 0x7f800000, v1
	v_cmp_ne_u32_e32 vcc, s31, v0
                                        ; implicit-def: $vgpr0
	s_and_saveexec_b64 s[22:23], vcc
	s_xor_b64 s[22:23], exec, s[22:23]
; %bb.57:                               ;   in Loop: Header=BB254_14 Depth=1
	v_bfe_u32 v0, v1, 16, 1
	v_add3_u32 v0, v1, v0, s33
                                        ; implicit-def: $vgpr1
; %bb.58:                               ;   in Loop: Header=BB254_14 Depth=1
	s_andn2_saveexec_b64 s[22:23], s[22:23]
; %bb.59:                               ;   in Loop: Header=BB254_14 Depth=1
	v_or_b32_e32 v0, 0x10000, v1
	v_cmp_eq_u32_sdwa vcc, v1, v99 src0_sel:WORD_0 src1_sel:DWORD
	s_nop 1
	v_cndmask_b32_e32 v0, v0, v1, vcc
; %bb.60:                               ;   in Loop: Header=BB254_14 Depth=1
	s_or_b64 exec, exec, s[22:23]
	v_cvt_f32_i32_e32 v1, v7
	v_add_u32_e32 v8, 2, v98
	v_mov_b32_e32 v9, v99
	v_lshl_add_u64 v[8:9], v[8:9], 1, s[10:11]
	v_add_f32_e32 v1, v6, v1
	global_store_short_d16_hi v[8:9], v0, off
	s_waitcnt vmcnt(11)
	v_lshlrev_b32_e32 v0, 16, v19
	v_add_f32_e32 v1, v1, v0
	v_and_b32_e32 v0, 0x7f800000, v1
	v_cmp_ne_u32_e32 vcc, s31, v0
                                        ; implicit-def: $vgpr0
	s_and_saveexec_b64 s[22:23], vcc
	s_xor_b64 s[22:23], exec, s[22:23]
; %bb.61:                               ;   in Loop: Header=BB254_14 Depth=1
	v_bfe_u32 v0, v1, 16, 1
	v_add3_u32 v0, v1, v0, s33
                                        ; implicit-def: $vgpr1
; %bb.62:                               ;   in Loop: Header=BB254_14 Depth=1
	s_andn2_saveexec_b64 s[22:23], s[22:23]
; %bb.63:                               ;   in Loop: Header=BB254_14 Depth=1
	v_or_b32_e32 v0, 0x10000, v1
	v_cmp_eq_u32_sdwa vcc, v1, v99 src0_sel:WORD_0 src1_sel:DWORD
	s_nop 1
	v_cndmask_b32_e32 v0, v0, v1, vcc
; %bb.64:                               ;   in Loop: Header=BB254_14 Depth=1
	s_or_b64 exec, exec, s[22:23]
	v_cvt_f32_i32_e32 v1, v5
	v_add_u32_e32 v98, s7, v98
	v_lshl_add_u64 v[6:7], v[98:99], 1, s[10:11]
	global_store_short_d16_hi v[6:7], v0, off
	v_add_f32_e32 v0, v4, v1
	s_waitcnt vmcnt(11)
	v_lshlrev_b32_e32 v1, 16, v18
	v_add_f32_e32 v1, v0, v1
	v_and_b32_e32 v0, 0x7f800000, v1
	v_cmp_ne_u32_e32 vcc, s31, v0
                                        ; implicit-def: $vgpr0
	s_and_saveexec_b64 s[22:23], vcc
	s_xor_b64 s[22:23], exec, s[22:23]
; %bb.65:                               ;   in Loop: Header=BB254_14 Depth=1
	v_bfe_u32 v0, v1, 16, 1
	v_add3_u32 v0, v1, v0, s33
                                        ; implicit-def: $vgpr1
; %bb.66:                               ;   in Loop: Header=BB254_14 Depth=1
	s_andn2_saveexec_b64 s[22:23], s[22:23]
; %bb.67:                               ;   in Loop: Header=BB254_14 Depth=1
	v_or_b32_e32 v0, 0x10000, v1
	v_cmp_eq_u32_sdwa vcc, v1, v99 src0_sel:WORD_0 src1_sel:DWORD
	s_nop 1
	v_cndmask_b32_e32 v0, v0, v1, vcc
; %bb.68:                               ;   in Loop: Header=BB254_14 Depth=1
	s_or_b64 exec, exec, s[22:23]
	v_cvt_f32_i32_e32 v1, v3
	v_add_u32_e32 v4, 1, v98
	v_mov_b32_e32 v5, v99
	v_lshl_add_u64 v[4:5], v[4:5], 1, s[10:11]
	v_add_f32_e32 v1, v2, v1
	global_store_short_d16_hi v[4:5], v0, off
	s_waitcnt vmcnt(11)
	v_lshlrev_b32_e32 v0, 16, v11
	v_add_f32_e32 v1, v1, v0
	v_and_b32_e32 v0, 0x7f800000, v1
	v_cmp_ne_u32_e32 vcc, s31, v0
                                        ; implicit-def: $vgpr0
	s_and_saveexec_b64 s[22:23], vcc
	s_xor_b64 s[22:23], exec, s[22:23]
; %bb.69:                               ;   in Loop: Header=BB254_14 Depth=1
	v_bfe_u32 v0, v1, 16, 1
	v_add3_u32 v0, v1, v0, s33
                                        ; implicit-def: $vgpr1
; %bb.70:                               ;   in Loop: Header=BB254_14 Depth=1
	s_andn2_saveexec_b64 s[22:23], s[22:23]
	s_cbranch_execz .LBB254_12
; %bb.71:                               ;   in Loop: Header=BB254_14 Depth=1
	v_or_b32_e32 v0, 0x10000, v1
	v_cmp_eq_u32_sdwa vcc, v1, v99 src0_sel:WORD_0 src1_sel:DWORD
	s_nop 1
	v_cndmask_b32_e32 v0, v0, v1, vcc
	s_branch .LBB254_12
.LBB254_72:
	s_endpgm
	.section	.rodata,"a",@progbits
	.p2align	6, 0x0
	.amdhsa_kernel _Z16wvSplitK_hf_sml_I14__hip_bfloat16Li32ELi3ELi16ELi8ELi2ELi4EEviiiiiiPKT_S3_S3_PS1_ii
		.amdhsa_group_segment_fixed_size 65536
		.amdhsa_private_segment_fixed_size 0
		.amdhsa_kernarg_size 64
		.amdhsa_user_sgpr_count 2
		.amdhsa_user_sgpr_dispatch_ptr 0
		.amdhsa_user_sgpr_queue_ptr 0
		.amdhsa_user_sgpr_kernarg_segment_ptr 1
		.amdhsa_user_sgpr_dispatch_id 0
		.amdhsa_user_sgpr_kernarg_preload_length 0
		.amdhsa_user_sgpr_kernarg_preload_offset 0
		.amdhsa_user_sgpr_private_segment_size 0
		.amdhsa_uses_dynamic_stack 0
		.amdhsa_enable_private_segment 0
		.amdhsa_system_sgpr_workgroup_id_x 1
		.amdhsa_system_sgpr_workgroup_id_y 0
		.amdhsa_system_sgpr_workgroup_id_z 0
		.amdhsa_system_sgpr_workgroup_info 0
		.amdhsa_system_vgpr_workitem_id 1
		.amdhsa_next_free_vgpr 121
		.amdhsa_next_free_sgpr 35
		.amdhsa_accum_offset 124
		.amdhsa_reserve_vcc 1
		.amdhsa_float_round_mode_32 0
		.amdhsa_float_round_mode_16_64 0
		.amdhsa_float_denorm_mode_32 3
		.amdhsa_float_denorm_mode_16_64 3
		.amdhsa_dx10_clamp 1
		.amdhsa_ieee_mode 1
		.amdhsa_fp16_overflow 0
		.amdhsa_tg_split 0
		.amdhsa_exception_fp_ieee_invalid_op 0
		.amdhsa_exception_fp_denorm_src 0
		.amdhsa_exception_fp_ieee_div_zero 0
		.amdhsa_exception_fp_ieee_overflow 0
		.amdhsa_exception_fp_ieee_underflow 0
		.amdhsa_exception_fp_ieee_inexact 0
		.amdhsa_exception_int_div_zero 0
	.end_amdhsa_kernel
	.section	.text._Z16wvSplitK_hf_sml_I14__hip_bfloat16Li32ELi3ELi16ELi8ELi2ELi4EEviiiiiiPKT_S3_S3_PS1_ii,"axG",@progbits,_Z16wvSplitK_hf_sml_I14__hip_bfloat16Li32ELi3ELi16ELi8ELi2ELi4EEviiiiiiPKT_S3_S3_PS1_ii,comdat
.Lfunc_end254:
	.size	_Z16wvSplitK_hf_sml_I14__hip_bfloat16Li32ELi3ELi16ELi8ELi2ELi4EEviiiiiiPKT_S3_S3_PS1_ii, .Lfunc_end254-_Z16wvSplitK_hf_sml_I14__hip_bfloat16Li32ELi3ELi16ELi8ELi2ELi4EEviiiiiiPKT_S3_S3_PS1_ii
                                        ; -- End function
	.section	.AMDGPU.csdata,"",@progbits
; Kernel info:
; codeLenInByte = 5524
; NumSgprs: 41
; NumVgprs: 121
; NumAgprs: 0
; TotalNumVgprs: 121
; ScratchSize: 0
; MemoryBound: 0
; FloatMode: 240
; IeeeMode: 1
; LDSByteSize: 65536 bytes/workgroup (compile time only)
; SGPRBlocks: 5
; VGPRBlocks: 15
; NumSGPRsForWavesPerEU: 41
; NumVGPRsForWavesPerEU: 121
; AccumOffset: 124
; Occupancy: 2
; WaveLimiterHint : 0
; COMPUTE_PGM_RSRC2:SCRATCH_EN: 0
; COMPUTE_PGM_RSRC2:USER_SGPR: 2
; COMPUTE_PGM_RSRC2:TRAP_HANDLER: 0
; COMPUTE_PGM_RSRC2:TGID_X_EN: 1
; COMPUTE_PGM_RSRC2:TGID_Y_EN: 0
; COMPUTE_PGM_RSRC2:TGID_Z_EN: 0
; COMPUTE_PGM_RSRC2:TIDIG_COMP_CNT: 1
; COMPUTE_PGM_RSRC3_GFX90A:ACCUM_OFFSET: 30
; COMPUTE_PGM_RSRC3_GFX90A:TG_SPLIT: 0
	.section	.text._Z12wvSplitK_hf_I14__hip_bfloat16Li32ELi3ELi16ELi8ELi2ELi4EEviiiiiiPKT_S3_S3_PS1_ii,"axG",@progbits,_Z12wvSplitK_hf_I14__hip_bfloat16Li32ELi3ELi16ELi8ELi2ELi4EEviiiiiiPKT_S3_S3_PS1_ii,comdat
	.protected	_Z12wvSplitK_hf_I14__hip_bfloat16Li32ELi3ELi16ELi8ELi2ELi4EEviiiiiiPKT_S3_S3_PS1_ii ; -- Begin function _Z12wvSplitK_hf_I14__hip_bfloat16Li32ELi3ELi16ELi8ELi2ELi4EEviiiiiiPKT_S3_S3_PS1_ii
	.globl	_Z12wvSplitK_hf_I14__hip_bfloat16Li32ELi3ELi16ELi8ELi2ELi4EEviiiiiiPKT_S3_S3_PS1_ii
	.p2align	8
	.type	_Z12wvSplitK_hf_I14__hip_bfloat16Li32ELi3ELi16ELi8ELi2ELi4EEviiiiiiPKT_S3_S3_PS1_ii,@function
_Z12wvSplitK_hf_I14__hip_bfloat16Li32ELi3ELi16ELi8ELi2ELi4EEviiiiiiPKT_S3_S3_PS1_ii: ; @_Z12wvSplitK_hf_I14__hip_bfloat16Li32ELi3ELi16ELi8ELi2ELi4EEviiiiiiPKT_S3_S3_PS1_ii
; %bb.0:
	s_load_dwordx2 s[8:9], s[0:1], 0x38
	s_load_dwordx2 s[10:11], s[0:1], 0x20
	s_load_dwordx4 s[12:15], s[0:1], 0x0
	s_load_dwordx2 s[20:21], s[0:1], 0x10
	v_bfe_u32 v4, v0, 10, 10
	s_waitcnt lgkmcnt(0)
	s_mul_i32 s2, s2, s8
	v_add_u32_e32 v1, s2, v4
	v_lshl_add_u32 v110, v1, 1, v1
	s_mov_b32 s4, 1
	v_add_u32_e32 v1, 3, v110
	s_mov_b32 s6, s4
	v_cmp_gt_u32_e32 vcc, s15, v110
	v_cmp_le_u32_e64 s[2:3], s15, v1
	s_mov_b32 s5, s4
	v_mov_b32_e32 v106, s6
	s_and_b64 s[16:17], vcc, s[2:3]
	v_mov_b32_e32 v105, s5
	v_mov_b32_e32 v104, s4
	s_and_saveexec_b64 s[2:3], s[16:17]
	s_cbranch_execz .LBB255_6
; %bb.1:
	s_add_i32 s7, s15, -3
	v_mov_b32_e32 v106, s6
	v_cmp_ne_u32_e32 vcc, s7, v110
	v_mov_b32_e32 v105, s5
	v_mov_b32_e32 v104, s4
	s_and_saveexec_b64 s[16:17], vcc
	s_cbranch_execz .LBB255_5
; %bb.2:
	v_subrev_u32_e32 v1, s7, v110
	v_cmp_lt_u32_e32 vcc, 1, v1
	s_mov_b64 s[18:19], 0
	s_mov_b64 s[22:23], 0
	v_cndmask_b32_e32 v2, 1, v1, vcc
	s_mov_b32 s5, s4
	s_mov_b32 s6, s4
.LBB255_3:                              ; =>This Inner Loop Header: Depth=1
	s_cmp_lg_u32 s22, 2
	s_cselect_b32 s6, s6, 0
	s_cmp_lg_u32 s22, 1
	s_cselect_b32 s5, s5, 0
	;; [unrolled: 2-line block ×3, first 2 shown]
	s_add_u32 s22, s22, 1
	s_addc_u32 s23, s23, 0
	v_cmp_eq_u32_e32 vcc, s22, v2
	v_mov_b32_e32 v106, s6
	s_or_b64 s[18:19], vcc, s[18:19]
	v_mov_b32_e32 v105, s5
	v_mov_b32_e32 v104, s4
	s_andn2_b64 exec, exec, s[18:19]
	s_cbranch_execnz .LBB255_3
; %bb.4:
	s_or_b64 exec, exec, s[18:19]
	v_mov_b32_e32 v110, s7
.LBB255_5:
	s_or_b64 exec, exec, s[16:17]
.LBB255_6:
	s_or_b64 exec, exec, s[2:3]
	v_and_b32_e32 v5, 0x3ff, v0
	v_lshlrev_b32_e32 v108, 3, v5
	s_lshl_b32 s33, s14, 2
	v_lshl_add_u32 v6, v4, 8, v108
	s_min_u32 s4, s33, 0x8000
	v_cmp_gt_u32_e32 vcc, s4, v6
	s_and_saveexec_b64 s[2:3], vcc
	s_cbranch_execz .LBB255_15
; %bb.7:
	v_lshlrev_b32_e32 v0, 1, v6
	global_load_dwordx4 v[8:11], v0, s[10:11]
	v_add_u32_e32 v1, 0x1000, v6
	v_cmp_gt_u32_e32 vcc, s4, v1
	s_waitcnt vmcnt(0)
	ds_write_b128 v0, v[8:11]
	s_and_saveexec_b64 s[6:7], vcc
	s_xor_b64 s[6:7], exec, s[6:7]
	s_cbranch_execz .LBB255_15
; %bb.8:
	v_mov_b32_e32 v1, 0
	v_lshl_add_u64 v[2:3], s[10:11], 0, v[0:1]
	v_add_co_u32_e32 v8, vcc, 0x2000, v2
	v_add_u32_e32 v1, 0x2000, v6
	s_nop 0
	v_addc_co_u32_e32 v9, vcc, 0, v3, vcc
	global_load_dwordx4 v[8:11], v[8:9], off
	v_cmp_gt_u32_e32 vcc, s4, v1
	s_waitcnt vmcnt(0)
	ds_write_b128 v0, v[8:11] offset:8192
	s_and_saveexec_b64 s[6:7], vcc
	s_xor_b64 s[6:7], exec, s[6:7]
	s_cbranch_execz .LBB255_15
; %bb.9:
	v_add_co_u32_e32 v8, vcc, 0x4000, v2
	v_add_u32_e32 v1, 0x3000, v6
	s_nop 0
	v_addc_co_u32_e32 v9, vcc, 0, v3, vcc
	global_load_dwordx4 v[8:11], v[8:9], off
	v_cmp_gt_u32_e32 vcc, s4, v1
	s_waitcnt vmcnt(0)
	ds_write_b128 v0, v[8:11] offset:16384
	s_and_saveexec_b64 s[6:7], vcc
	s_xor_b64 s[6:7], exec, s[6:7]
	s_cbranch_execz .LBB255_15
; %bb.10:
	;; [unrolled: 12-line block ×6, first 2 shown]
	v_add_co_u32_e32 v2, vcc, 0xe000, v2
	s_nop 1
	v_addc_co_u32_e32 v3, vcc, 0, v3, vcc
	global_load_dwordx4 v[6:9], v[2:3], off
	s_waitcnt vmcnt(0)
	ds_write_b128 v0, v[6:9] offset:57344
.LBB255_15:
	s_or_b64 exec, exec, s[2:3]
	v_cmp_gt_u32_e32 vcc, s8, v4
	v_cmp_gt_u32_e64 s[2:3], s15, v110
	s_and_b64 s[2:3], vcc, s[2:3]
	s_waitcnt lgkmcnt(0)
	s_barrier
	s_and_saveexec_b64 s[4:5], s[2:3]
	s_cbranch_execz .LBB255_138
; %bb.16:
	s_load_dwordx4 s[16:19], s[0:1], 0x28
	s_load_dwordx2 s[22:23], s[0:1], 0x18
	s_cmp_lg_u32 s12, 0
	s_cselect_b64 s[2:3], -1, 0
	s_add_i32 s38, s12, -8
	s_add_i32 s39, s15, -1
	s_waitcnt lgkmcnt(0)
	s_cmp_lg_u64 s[16:17], 0
	s_cselect_b64 s[26:27], -1, 0
	s_abs_i32 s4, s21
	v_cvt_f32_u32_e32 v0, s20
	v_cvt_f32_u32_e32 v1, s4
	s_sub_i32 s5, 0, s20
	s_add_i32 s21, s15, -3
	v_rcp_iflag_f32_e32 v0, v0
	v_rcp_iflag_f32_e32 v1, v1
	v_lshlrev_b32_e32 v109, 4, v5
	s_mul_i32 s40, s8, s9
	v_mul_f32_e32 v0, 0x4f7ffffe, v0
	v_mul_f32_e32 v1, 0x4f7ffffe, v1
	v_cvt_u32_f32_e32 v0, v0
	v_cvt_u32_f32_e32 v1, v1
	v_cmp_eq_u32_e64 s[0:1], 31, v5
	s_mov_b64 s[24:25], 0
	v_mul_lo_u32 v2, s5, v0
	s_sub_i32 s5, 0, s4
	v_readfirstlane_b32 s6, v1
	s_mul_i32 s5, s5, s6
	s_mul_hi_u32 s5, s6, s5
	s_add_i32 s6, s6, s5
	s_sub_i32 s5, 1, s4
	s_cmp_lt_u32 s4, 2
	s_cselect_b32 s5, s5, 1
	s_sub_i32 s7, s5, s4
	s_cmp_ge_u32 s5, s4
	s_cselect_b32 s41, s7, s5
	s_lshr_b32 s5, s6, 31
	s_mul_i32 s5, s5, s4
	s_sub_i32 s5, 2, s5
	s_sub_i32 s7, s5, s4
	s_cmp_ge_u32 s5, s4
	s_cselect_b32 s5, s7, s5
	s_sub_i32 s7, s5, s4
	s_cmp_ge_u32 s5, s4
	s_cselect_b32 s42, s7, s5
	s_mul_hi_u32 s5, s6, 3
	s_mul_i32 s5, s5, s4
	s_sub_i32 s5, 3, s5
	s_sub_i32 s6, s5, s4
	s_cmp_ge_u32 s5, s4
	s_cselect_b32 s5, s6, s5
	s_sub_i32 s6, s5, s4
	v_mul_hi_u32 v2, v0, v2
	s_cmp_ge_u32 s5, s4
	v_add_u32_e32 v107, v0, v2
	s_cselect_b32 s43, s6, s5
	s_lshl_b32 s44, s14, 1
	v_mad_u64_u32 v[114:115], s[4:5], s14, 3, v[108:109]
	v_cndmask_b32_e64 v0, 0, 1, s[2:3]
	s_mul_i32 s40, s40, 3
	v_mov_b32_e32 v113, 0
	s_mul_i32 s41, s41, s20
	s_mul_i32 s42, s42, s20
	;; [unrolled: 1-line block ×3, first 2 shown]
	v_add_u32_e32 v132, s44, v108
	s_mul_i32 s45, s14, 6
	v_add_u32_e32 v115, s14, v108
	v_cmp_ne_u32_e64 s[2:3], 1, v0
	s_movk_i32 s14, 0x7fff
	s_mov_b32 s46, 0x7f800000
	s_mov_b32 s28, 0
	s_branch .LBB255_19
.LBB255_17:                             ;   in Loop: Header=BB255_19 Depth=1
	s_or_b64 exec, exec, s[8:9]
	v_mov_b32_e32 v110, s21
.LBB255_18:                             ;   in Loop: Header=BB255_19 Depth=1
	s_or_b64 exec, exec, s[6:7]
	v_cmp_le_u32_e32 vcc, s15, v110
	s_or_b64 s[24:25], vcc, s[24:25]
	s_andn2_b64 exec, exec, s[24:25]
	s_cbranch_execz .LBB255_138
.LBB255_19:                             ; =>This Loop Header: Depth=1
                                        ;     Child Loop BB255_24 Depth 2
                                        ;     Child Loop BB255_136 Depth 2
	s_and_b64 vcc, exec, s[2:3]
	v_add_u32_e32 v118, 1, v110
	v_add_u32_e32 v116, 2, v110
	v_mov_b32_e32 v7, v113
	s_waitcnt vmcnt(0)
	v_mov_b32_e32 v6, v113
	v_mov_b32_e32 v5, v113
	;; [unrolled: 1-line block ×47, first 2 shown]
	s_cbranch_vccnz .LBB255_58
; %bb.20:                               ;   in Loop: Header=BB255_19 Depth=1
	v_min_u32_e32 v0, s39, v110
	v_mul_lo_u32 v112, v0, s13
	v_min_u32_e32 v0, s39, v118
	v_min_u32_e32 v2, s39, v116
	v_mul_lo_u32 v0, v0, s13
	v_mov_b32_e32 v1, v113
	v_mul_lo_u32 v2, v2, s13
	v_mov_b32_e32 v3, v113
	v_mov_b32_e32 v24, 0
	s_mov_b32 s4, 0
	v_lshlrev_b64 v[120:121], 1, v[112:113]
	v_lshlrev_b64 v[122:123], 1, v[0:1]
	;; [unrolled: 1-line block ×3, first 2 shown]
	v_mov_b32_e32 v111, v109
	s_mov_b32 s34, 0
	v_mov_b32_e32 v25, v24
	v_mov_b32_e32 v26, v24
	;; [unrolled: 1-line block ×47, first 2 shown]
	s_branch .LBB255_24
.LBB255_21:                             ;   in Loop: Header=BB255_24 Depth=2
	s_or_b64 exec, exec, s[30:31]
.LBB255_22:                             ;   in Loop: Header=BB255_24 Depth=2
	s_or_b64 exec, exec, s[8:9]
.LBB255_23:                             ;   in Loop: Header=BB255_24 Depth=2
	s_or_b64 exec, exec, s[6:7]
	s_waitcnt vmcnt(0) lgkmcnt(0)
	v_mfma_f32_4x4x4_16b_bf16 v[44:47], v[72:73], v[56:57], v[44:47]
	s_addk_i32 s34, 0x200
	v_mfma_f32_4x4x4_16b_bf16 v[40:43], v[72:73], v[52:53], v[40:43]
	v_add_u32_e32 v111, 0x400, v111
	v_mfma_f32_4x4x4_16b_bf16 v[36:39], v[72:73], v[64:65], v[36:39]
	s_cmp_ge_u32 s34, s12
	v_mfma_f32_4x4x4_16b_bf16 v[32:35], v[76:77], v[56:57], v[32:35]
	v_mfma_f32_4x4x4_16b_bf16 v[28:31], v[76:77], v[52:53], v[28:31]
	;; [unrolled: 1-line block ×45, first 2 shown]
	s_cbranch_scc1 .LBB255_58
.LBB255_24:                             ;   Parent Loop BB255_19 Depth=1
                                        ; =>  This Inner Loop Header: Depth=2
	v_add_u32_e32 v128, s34, v108
	v_min_u32_e32 v112, s38, v128
	v_lshl_add_u64 v[48:49], v[112:113], 1, s[22:23]
	v_add_u32_e32 v126, 0x100, v128
	v_lshl_add_u64 v[50:51], v[48:49], 0, v[120:121]
	v_min_u32_e32 v112, s38, v126
	v_lshl_add_u64 v[60:61], v[48:49], 0, v[122:123]
	global_load_dwordx4 v[56:59], v[50:51], off nt
	global_load_dwordx4 v[52:55], v[60:61], off nt
	v_lshl_add_u64 v[50:51], v[112:113], 1, s[22:23]
	v_lshl_add_u64 v[48:49], v[48:49], 0, v[124:125]
	;; [unrolled: 1-line block ×4, first 2 shown]
	global_load_dwordx4 v[64:67], v[48:49], off nt
	global_load_dwordx4 v[60:63], v[68:69], off nt
	v_lshl_add_u64 v[74:75], v[50:51], 0, v[124:125]
	global_load_dwordx4 v[68:71], v[72:73], off nt
	global_load_dwordx4 v[48:51], v[74:75], off nt
	s_mov_b32 s5, s4
	v_cmp_gt_u32_e32 vcc, s12, v128
	v_mov_b64_e32 v[72:73], s[4:5]
	v_mov_b32_e32 v97, 0
	v_mov_b32_e32 v96, 0
	;; [unrolled: 1-line block ×4, first 2 shown]
	v_mov_b64_e32 v[74:75], s[4:5]
	v_mov_b64_e32 v[88:89], s[4:5]
	;; [unrolled: 1-line block ×13, first 2 shown]
	s_and_saveexec_b64 s[6:7], vcc
	s_cbranch_execz .LBB255_23
; %bb.25:                               ;   in Loop: Header=BB255_24 Depth=2
	v_cmp_lt_u32_e32 vcc, s14, v128
                                        ; implicit-def: $vgpr72_vgpr73
	s_and_saveexec_b64 s[8:9], vcc
	s_xor_b64 s[8:9], exec, s[8:9]
	s_cbranch_execz .LBB255_27
; %bb.26:                               ;   in Loop: Header=BB255_24 Depth=2
	v_mov_b32_e32 v129, v113
	v_lshl_add_u64 v[72:73], v[128:129], 1, s[10:11]
	global_load_dwordx4 v[72:75], v[72:73], off
.LBB255_27:                             ;   in Loop: Header=BB255_24 Depth=2
	s_andn2_saveexec_b64 s[8:9], s[8:9]
	s_cbranch_execz .LBB255_29
; %bb.28:                               ;   in Loop: Header=BB255_24 Depth=2
	s_waitcnt vmcnt(0)
	ds_read_b128 v[72:75], v111
.LBB255_29:                             ;   in Loop: Header=BB255_24 Depth=2
	s_or_b64 exec, exec, s[8:9]
	v_add_u32_e32 v112, s34, v115
	v_cmp_lt_u32_e32 vcc, s14, v112
                                        ; implicit-def: $vgpr76_vgpr77
	s_and_saveexec_b64 s[8:9], vcc
	s_xor_b64 s[8:9], exec, s[8:9]
	s_cbranch_execz .LBB255_31
; %bb.30:                               ;   in Loop: Header=BB255_24 Depth=2
	v_lshl_add_u64 v[76:77], v[112:113], 1, s[10:11]
	global_load_dwordx4 v[76:79], v[76:77], off
.LBB255_31:                             ;   in Loop: Header=BB255_24 Depth=2
	s_andn2_saveexec_b64 s[8:9], s[8:9]
	s_cbranch_execz .LBB255_33
; %bb.32:                               ;   in Loop: Header=BB255_24 Depth=2
	s_waitcnt vmcnt(0)
	v_add_u32_e32 v76, s44, v111
	ds_read_b128 v[76:79], v76
.LBB255_33:                             ;   in Loop: Header=BB255_24 Depth=2
	s_or_b64 exec, exec, s[8:9]
	v_add_u32_e32 v130, s34, v132
	v_cmp_lt_u32_e32 vcc, s14, v130
                                        ; implicit-def: $vgpr80_vgpr81
	s_and_saveexec_b64 s[8:9], vcc
	s_xor_b64 s[8:9], exec, s[8:9]
	s_cbranch_execz .LBB255_35
; %bb.34:                               ;   in Loop: Header=BB255_24 Depth=2
	v_mov_b32_e32 v131, v113
	v_lshl_add_u64 v[80:81], v[130:131], 1, s[10:11]
	global_load_dwordx4 v[80:83], v[80:81], off
.LBB255_35:                             ;   in Loop: Header=BB255_24 Depth=2
	s_andn2_saveexec_b64 s[8:9], s[8:9]
	s_cbranch_execz .LBB255_37
; %bb.36:                               ;   in Loop: Header=BB255_24 Depth=2
	s_waitcnt vmcnt(0)
	v_add_u32_e32 v82, s33, v111
	ds_read2_b32 v[80:81], v82 offset1:1
	ds_read2_b32 v[82:83], v82 offset0:2 offset1:3
.LBB255_37:                             ;   in Loop: Header=BB255_24 Depth=2
	s_or_b64 exec, exec, s[8:9]
	v_add_u32_e32 v128, s34, v114
	v_cmp_lt_u32_e32 vcc, s14, v128
                                        ; implicit-def: $vgpr84_vgpr85
	s_and_saveexec_b64 s[8:9], vcc
	s_xor_b64 s[8:9], exec, s[8:9]
	s_cbranch_execz .LBB255_39
; %bb.38:                               ;   in Loop: Header=BB255_24 Depth=2
	v_mov_b32_e32 v129, v113
	v_lshl_add_u64 v[84:85], v[128:129], 1, s[10:11]
	global_load_dwordx4 v[84:87], v[84:85], off
.LBB255_39:                             ;   in Loop: Header=BB255_24 Depth=2
	s_andn2_saveexec_b64 s[8:9], s[8:9]
	s_cbranch_execz .LBB255_41
; %bb.40:                               ;   in Loop: Header=BB255_24 Depth=2
	s_waitcnt vmcnt(0)
	v_add_u32_e32 v84, s45, v111
	ds_read_b128 v[84:87], v84
.LBB255_41:                             ;   in Loop: Header=BB255_24 Depth=2
	s_or_b64 exec, exec, s[8:9]
	s_mov_b32 s29, s28
	v_cmp_gt_u32_e32 vcc, s12, v126
	v_mov_b32_e32 v97, 0
	v_mov_b64_e32 v[88:89], s[28:29]
	v_mov_b32_e32 v96, 0
	v_mov_b32_e32 v99, 0
	;; [unrolled: 1-line block ×3, first 2 shown]
	v_mov_b64_e32 v[90:91], s[28:29]
	v_mov_b64_e32 v[92:93], s[28:29]
	;; [unrolled: 1-line block ×5, first 2 shown]
	s_and_saveexec_b64 s[8:9], vcc
	s_cbranch_execz .LBB255_22
; %bb.42:                               ;   in Loop: Header=BB255_24 Depth=2
	v_cmp_lt_u32_e32 vcc, s14, v126
                                        ; implicit-def: $vgpr88_vgpr89
	s_and_saveexec_b64 s[30:31], vcc
	s_xor_b64 s[30:31], exec, s[30:31]
	s_cbranch_execz .LBB255_44
; %bb.43:                               ;   in Loop: Header=BB255_24 Depth=2
	v_mov_b32_e32 v127, v113
	v_lshl_add_u64 v[88:89], v[126:127], 1, s[10:11]
	global_load_dwordx4 v[88:91], v[88:89], off
.LBB255_44:                             ;   in Loop: Header=BB255_24 Depth=2
	s_andn2_saveexec_b64 s[30:31], s[30:31]
	s_cbranch_execz .LBB255_46
; %bb.45:                               ;   in Loop: Header=BB255_24 Depth=2
	s_waitcnt vmcnt(0)
	ds_read_b128 v[88:91], v111 offset:512
.LBB255_46:                             ;   in Loop: Header=BB255_24 Depth=2
	s_or_b64 exec, exec, s[30:31]
	v_add_u32_e32 v112, 0x100, v112
	v_cmp_lt_u32_e32 vcc, s14, v112
                                        ; implicit-def: $vgpr92_vgpr93
	s_and_saveexec_b64 s[30:31], vcc
	s_xor_b64 s[30:31], exec, s[30:31]
	s_cbranch_execz .LBB255_48
; %bb.47:                               ;   in Loop: Header=BB255_24 Depth=2
	v_lshl_add_u64 v[92:93], v[112:113], 1, s[10:11]
	global_load_dwordx4 v[92:95], v[92:93], off
.LBB255_48:                             ;   in Loop: Header=BB255_24 Depth=2
	s_andn2_saveexec_b64 s[30:31], s[30:31]
	s_cbranch_execz .LBB255_50
; %bb.49:                               ;   in Loop: Header=BB255_24 Depth=2
	s_waitcnt vmcnt(0)
	v_add_u32_e32 v92, s44, v111
	ds_read_b128 v[92:95], v92 offset:512
.LBB255_50:                             ;   in Loop: Header=BB255_24 Depth=2
	s_or_b64 exec, exec, s[30:31]
	v_add_u32_e32 v112, 0x100, v130
	v_cmp_lt_u32_e32 vcc, s14, v112
                                        ; implicit-def: $vgpr100_vgpr101
	s_and_saveexec_b64 s[30:31], vcc
	s_xor_b64 s[30:31], exec, s[30:31]
	s_cbranch_execz .LBB255_52
; %bb.51:                               ;   in Loop: Header=BB255_24 Depth=2
	v_lshl_add_u64 v[96:97], v[112:113], 1, s[10:11]
	global_load_dwordx4 v[100:103], v[96:97], off
.LBB255_52:                             ;   in Loop: Header=BB255_24 Depth=2
	s_andn2_saveexec_b64 s[30:31], s[30:31]
	s_cbranch_execz .LBB255_54
; %bb.53:                               ;   in Loop: Header=BB255_24 Depth=2
	v_add_u32_e32 v96, s33, v111
	s_waitcnt vmcnt(0)
	ds_read2_b32 v[100:101], v96 offset0:128 offset1:129
	ds_read2_b32 v[102:103], v96 offset0:130 offset1:131
.LBB255_54:                             ;   in Loop: Header=BB255_24 Depth=2
	s_or_b64 exec, exec, s[30:31]
	v_add_u32_e32 v112, 0x100, v128
	v_cmp_lt_u32_e32 vcc, s14, v112
                                        ; implicit-def: $vgpr97
	s_and_saveexec_b64 s[30:31], vcc
	s_xor_b64 s[30:31], exec, s[30:31]
	s_cbranch_execz .LBB255_56
; %bb.55:                               ;   in Loop: Header=BB255_24 Depth=2
	v_lshl_add_u64 v[96:97], v[112:113], 1, s[10:11]
	global_load_dwordx4 v[96:99], v[96:97], off
.LBB255_56:                             ;   in Loop: Header=BB255_24 Depth=2
	s_andn2_saveexec_b64 s[30:31], s[30:31]
	s_cbranch_execz .LBB255_21
; %bb.57:                               ;   in Loop: Header=BB255_24 Depth=2
	s_waitcnt vmcnt(0)
	v_add_u32_e32 v96, s45, v111
	ds_read_b128 v[96:99], v96 offset:512
	s_branch .LBB255_21
.LBB255_58:                             ;   in Loop: Header=BB255_19 Depth=1
	v_cvt_i32_f32_e32 v41, v41
	v_cvt_i32_f32_e32 v42, v42
	;; [unrolled: 1-line block ×6, first 2 shown]
	v_cvt_f32_i32_dpp v41, v41 row_shl:1 row_mask:0xf bank_mask:0xf bound_ctrl:1
	v_cvt_f32_i32_dpp v42, v42 row_shl:2 row_mask:0xf bank_mask:0xf bound_ctrl:1
	;; [unrolled: 1-line block ×6, first 2 shown]
	v_add_f32_e32 v40, v40, v41
	v_add_f32_e32 v40, v40, v42
	;; [unrolled: 1-line block ×5, first 2 shown]
	v_cvt_i32_f32_e32 v41, v40
	v_add_f32_e32 v44, v44, v47
	v_cvt_i32_f32_e32 v45, v44
	v_cvt_i32_f32_e32 v37, v37
	v_cvt_f32_i32_dpp v41, v41 row_shl:4 row_mask:0xf bank_mask:0xf bound_ctrl:1
	v_cvt_i32_f32_e32 v38, v38
	v_cvt_f32_i32_dpp v45, v45 row_shl:4 row_mask:0xf bank_mask:0xf bound_ctrl:1
	v_cvt_i32_f32_e32 v39, v39
	v_add_f32_e32 v40, v40, v41
	v_cvt_i32_f32_e32 v41, v40
	v_add_f32_e32 v42, v44, v45
	v_cvt_i32_f32_e32 v43, v42
	v_cvt_f32_i32_dpp v37, v37 row_shl:1 row_mask:0xf bank_mask:0xf bound_ctrl:1
	v_cvt_f32_i32_dpp v38, v38 row_shl:2 row_mask:0xf bank_mask:0xf bound_ctrl:1
	;; [unrolled: 1-line block ×5, first 2 shown]
	v_add_f32_e32 v36, v36, v37
	v_add_f32_e32 v36, v36, v38
	;; [unrolled: 1-line block ×4, first 2 shown]
	v_cvt_i32_f32_e32 v40, v40
	v_cvt_i32_f32_e32 v36, v37
	v_add_f32_e32 v42, v42, v43
	v_cvt_i32_f32_e32 v42, v42
	v_cvt_i32_f32_e32 v33, v33
	v_cvt_i32_f32_e32 v34, v34
	v_cvt_f32_i32_dpp v39, v40 row_shr:15 row_mask:0xf bank_mask:0xf bound_ctrl:1
	v_cvt_f32_i32_dpp v40, v36 row_shl:4 row_mask:0xf bank_mask:0xf bound_ctrl:1
	v_cvt_i32_f32_e32 v35, v35
	v_cvt_f32_i32_dpp v42, v42 row_shr:15 row_mask:0xf bank_mask:0xf bound_ctrl:1
	v_cvt_f32_i32_dpp v33, v33 row_shl:1 row_mask:0xf bank_mask:0xf bound_ctrl:1
	v_cvt_f32_i32_dpp v34, v34 row_shl:2 row_mask:0xf bank_mask:0xf bound_ctrl:1
	v_add_f32_e32 v37, v37, v40
	v_cvt_f32_i32_dpp v35, v35 row_shl:3 row_mask:0xf bank_mask:0xf bound_ctrl:1
	v_cvt_i32_f32_e32 v40, v37
	v_cvt_i32_f32_e32 v41, v42
	v_add_f32_e32 v32, v32, v33
	v_add_f32_e32 v32, v32, v34
	;; [unrolled: 1-line block ×3, first 2 shown]
	v_cvt_i32_f32_e32 v29, v29
	v_cvt_f32_i32_dpp v40, v40 row_shl:8 row_mask:0xf bank_mask:0xf bound_ctrl:1
	v_cvt_i32_f32_e32 v32, v34
	v_cvt_i32_f32_e32 v30, v30
	v_cvt_f32_i32_dpp v38, v41 row_bcast:15 row_mask:0xf bank_mask:0xf bound_ctrl:1
	v_cvt_i32_f32_e32 v41, v39
	v_cvt_i32_f32_e32 v31, v31
	v_cvt_f32_i32_dpp v29, v29 row_shl:1 row_mask:0xf bank_mask:0xf bound_ctrl:1
	v_add_f32_e32 v33, v37, v40
	v_cvt_f32_i32_dpp v40, v32 row_shl:4 row_mask:0xf bank_mask:0xf bound_ctrl:1
	v_cvt_f32_i32_dpp v30, v30 row_shl:2 row_mask:0xf bank_mask:0xf bound_ctrl:1
	v_cvt_f32_i32_dpp v35, v41 row_bcast:15 row_mask:0xf bank_mask:0xf bound_ctrl:1
	v_cvt_i32_f32_e32 v37, v33
	v_cvt_f32_i32_dpp v31, v31 row_shl:3 row_mask:0xf bank_mask:0xf bound_ctrl:1
	v_add_f32_e32 v28, v28, v29
	v_add_f32_e32 v34, v34, v40
	;; [unrolled: 1-line block ×4, first 2 shown]
	v_cvt_f32_i32_dpp v35, v37 row_shr:15 row_mask:0xf bank_mask:0xf bound_ctrl:1
	v_cvt_i32_f32_e32 v37, v34
	v_add_f32_e32 v28, v28, v31
	v_cvt_i32_f32_e32 v29, v28
	v_cvt_i32_f32_e32 v30, v35
	v_cvt_f32_i32_dpp v37, v37 row_shl:8 row_mask:0xf bank_mask:0xf bound_ctrl:1
	v_cvt_i32_f32_e32 v25, v25
	v_cvt_f32_i32_dpp v29, v29 row_shl:4 row_mask:0xf bank_mask:0xf bound_ctrl:1
	v_cvt_i32_f32_e32 v26, v26
	v_add_f32_e32 v31, v34, v37
	v_cvt_i32_f32_e32 v31, v31
	v_cvt_f32_i32_dpp v30, v30 row_bcast:15 row_mask:0xf bank_mask:0xf bound_ctrl:1
	v_add_f32_e32 v37, v28, v29
	v_cvt_i32_f32_e32 v27, v27
	v_cvt_i32_f32_e32 v29, v37
	v_cvt_f32_i32_dpp v25, v25 row_shl:1 row_mask:0xf bank_mask:0xf bound_ctrl:1
	v_add_f32_e32 v36, v42, v38
	v_cvt_f32_i32_dpp v26, v26 row_shl:2 row_mask:0xf bank_mask:0xf bound_ctrl:1
	v_cvt_i32_f32_e32 v38, v36
	v_cvt_f32_i32_dpp v31, v31 row_shr:15 row_mask:0xf bank_mask:0xf bound_ctrl:1
	v_add_f32_e32 v28, v35, v30
	v_cvt_f32_i32_dpp v27, v27 row_shl:3 row_mask:0xf bank_mask:0xf bound_ctrl:1
	v_cvt_i32_f32_e32 v35, v28
	v_cvt_f32_i32_dpp v39, v29 row_shl:8 row_mask:0xf bank_mask:0xf bound_ctrl:1
	v_add_f32_e32 v24, v24, v25
	v_cvt_i32_f32_e32 v21, v21
	v_add_f32_e32 v24, v24, v26
	v_cvt_i32_f32_e32 v22, v22
	v_mov_b32_dpp v33, v38 row_bcast:31 row_mask:0xf bank_mask:0xf bound_ctrl:1
	v_cvt_i32_f32_e32 v34, v32
	v_cvt_i32_f32_e32 v38, v31
	v_add_f32_e32 v25, v24, v27
	v_cvt_i32_f32_e32 v23, v23
	v_mov_b32_dpp v29, v35 row_bcast:31 row_mask:0xf bank_mask:0xf bound_ctrl:1
	v_add_f32_e32 v35, v37, v39
	v_cvt_i32_f32_e32 v26, v25
	v_cvt_i32_f32_e32 v35, v35
	v_cvt_f32_i32_dpp v21, v21 row_shl:1 row_mask:0xf bank_mask:0xf bound_ctrl:1
	v_cvt_f32_i32_dpp v22, v22 row_shl:2 row_mask:0xf bank_mask:0xf bound_ctrl:1
	v_mov_b32_dpp v30, v34 row_bcast:31 row_mask:0xf bank_mask:0xf bound_ctrl:1
	v_cvt_f32_i32_dpp v34, v38 row_bcast:15 row_mask:0xf bank_mask:0xf bound_ctrl:1
	v_cvt_f32_i32_dpp v23, v23 row_shl:3 row_mask:0xf bank_mask:0xf bound_ctrl:1
	v_cvt_f32_i32_dpp v26, v26 row_shl:4 row_mask:0xf bank_mask:0xf bound_ctrl:1
	v_cvt_f32_i32_dpp v35, v35 row_shr:15 row_mask:0xf bank_mask:0xf bound_ctrl:1
	v_add_f32_e32 v20, v20, v21
	v_add_f32_e32 v20, v20, v22
	;; [unrolled: 1-line block ×4, first 2 shown]
	v_cvt_i32_f32_e32 v27, v24
	v_add_f32_e32 v25, v25, v26
	v_cvt_i32_f32_e32 v20, v22
	v_cvt_i32_f32_e32 v31, v35
	;; [unrolled: 1-line block ×3, first 2 shown]
	v_mov_b32_dpp v21, v27 row_bcast:31 row_mask:0xf bank_mask:0xf bound_ctrl:1
	v_cvt_f32_i32_dpp v27, v20 row_shl:4 row_mask:0xf bank_mask:0xf bound_ctrl:1
	v_cvt_f32_i32_dpp v23, v31 row_bcast:15 row_mask:0xf bank_mask:0xf bound_ctrl:1
	v_cvt_f32_i32_dpp v26, v26 row_shl:8 row_mask:0xf bank_mask:0xf bound_ctrl:1
	v_cvt_i32_f32_e32 v17, v17
	v_add_f32_e32 v22, v22, v27
	v_cvt_i32_f32_e32 v18, v18
	v_add_f32_e32 v20, v35, v23
	v_add_f32_e32 v23, v25, v26
	v_cvt_i32_f32_e32 v19, v19
	v_cvt_i32_f32_e32 v25, v22
	v_cvt_f32_i32_dpp v17, v17 row_shl:1 row_mask:0xf bank_mask:0xf bound_ctrl:1
	v_cvt_f32_i32_dpp v18, v18 row_shl:2 row_mask:0xf bank_mask:0xf bound_ctrl:1
	;; [unrolled: 1-line block ×4, first 2 shown]
	v_add_f32_e32 v16, v16, v17
	v_add_f32_e32 v16, v16, v18
	;; [unrolled: 1-line block ×4, first 2 shown]
	v_cvt_i32_f32_e32 v17, v16
	v_cvt_i32_f32_e32 v19, v19
	;; [unrolled: 1-line block ×7, first 2 shown]
	v_cvt_f32_i32_dpp v17, v17 row_shl:4 row_mask:0xf bank_mask:0xf bound_ctrl:1
	v_cvt_i32_f32_e32 v22, v20
	v_cvt_f32_i32_dpp v19, v19 row_shr:15 row_mask:0xf bank_mask:0xf bound_ctrl:1
	v_cvt_f32_i32_dpp v1, v1 row_shl:1 row_mask:0xf bank_mask:0xf bound_ctrl:1
	v_cvt_f32_i32_dpp v13, v13 row_shl:1 row_mask:0xf bank_mask:0xf bound_ctrl:1
	v_cvt_i32_f32_e32 v9, v9
	v_cvt_f32_i32_dpp v2, v2 row_shl:2 row_mask:0xf bank_mask:0xf bound_ctrl:1
	v_cvt_i32_f32_e32 v3, v3
	;; [unrolled: 2-line block ×4, first 2 shown]
	v_add_f32_e32 v25, v16, v17
	v_mov_b32_dpp v17, v22 row_bcast:31 row_mask:0xf bank_mask:0xf bound_ctrl:1
	v_cvt_i32_f32_e32 v22, v19
	v_add_f32_e32 v0, v0, v1
	v_add_f32_e32 v12, v12, v13
	v_cvt_f32_i32_dpp v9, v9 row_shl:1 row_mask:0xf bank_mask:0xf bound_ctrl:1
	v_add_f32_e32 v0, v0, v2
	v_cvt_f32_i32_dpp v1, v3 row_shl:3 row_mask:0xf bank_mask:0xf bound_ctrl:1
	v_cvt_i32_f32_e32 v2, v5
	v_add_f32_e32 v12, v12, v14
	v_cvt_f32_i32_dpp v10, v10 row_shl:2 row_mask:0xf bank_mask:0xf bound_ctrl:1
	v_cvt_i32_f32_e32 v3, v6
	v_add_f32_e32 v15, v12, v15
	v_cvt_f32_i32_dpp v11, v11 row_shl:3 row_mask:0xf bank_mask:0xf bound_ctrl:1
	v_cvt_i32_f32_e32 v5, v7
	v_cvt_f32_i32_dpp v22, v22 row_bcast:15 row_mask:0xf bank_mask:0xf bound_ctrl:1
	v_cvt_i32_f32_e32 v12, v15
	v_add_f32_e32 v8, v8, v9
	v_add_f32_e32 v0, v0, v1
	v_cvt_f32_i32_dpp v1, v2 row_shl:1 row_mask:0xf bank_mask:0xf bound_ctrl:1
	v_add_f32_e32 v8, v8, v10
	v_cvt_f32_i32_dpp v2, v3 row_shl:2 row_mask:0xf bank_mask:0xf bound_ctrl:1
	;; [unrolled: 2-line block ×4, first 2 shown]
	v_cvt_i32_f32_e32 v11, v9
	v_add_f32_e32 v1, v4, v1
	v_add_f32_e32 v1, v1, v2
	;; [unrolled: 1-line block ×4, first 2 shown]
	v_cvt_f32_i32_dpp v11, v11 row_shl:4 row_mask:0xf bank_mask:0xf bound_ctrl:1
	v_cvt_i32_f32_e32 v5, v0
	v_cvt_i32_f32_e32 v2, v1
	;; [unrolled: 1-line block ×4, first 2 shown]
	v_add_f32_e32 v9, v9, v11
	v_cvt_f32_i32_dpp v4, v5 row_shl:4 row_mask:0xf bank_mask:0xf bound_ctrl:1
	v_cvt_f32_i32_dpp v2, v2 row_shl:4 row_mask:0xf bank_mask:0xf bound_ctrl:1
	v_cvt_f32_i32_dpp v18, v23 row_shr:15 row_mask:0xf bank_mask:0xf bound_ctrl:1
	v_cvt_f32_i32_dpp v19, v19 row_shl:8 row_mask:0xf bank_mask:0xf bound_ctrl:1
	v_cvt_i32_f32_e32 v11, v9
	v_add_f32_e32 v0, v0, v4
	v_add_f32_e32 v1, v1, v2
	v_cvt_i32_f32_e32 v23, v18
	v_cvt_i32_f32_e32 v16, v25
	v_add_f32_e32 v15, v15, v19
	v_cvt_f32_i32_dpp v3, v11 row_shl:8 row_mask:0xf bank_mask:0xf bound_ctrl:1
	v_cvt_i32_f32_e32 v4, v0
	v_cvt_i32_f32_e32 v2, v1
	;; [unrolled: 1-line block ×3, first 2 shown]
	v_cvt_f32_i32_dpp v23, v23 row_bcast:15 row_mask:0xf bank_mask:0xf bound_ctrl:1
	v_cvt_f32_i32_dpp v26, v16 row_shl:8 row_mask:0xf bank_mask:0xf bound_ctrl:1
	v_add_f32_e32 v3, v9, v3
	v_cvt_f32_i32_dpp v4, v4 row_shl:8 row_mask:0xf bank_mask:0xf bound_ctrl:1
	v_cvt_f32_i32_dpp v2, v2 row_shl:8 row_mask:0xf bank_mask:0xf bound_ctrl:1
	v_cvt_f32_i32_dpp v5, v15 row_shr:15 row_mask:0xf bank_mask:0xf bound_ctrl:1
	v_cvt_i32_f32_e32 v3, v3
	v_add_f32_e32 v16, v18, v23
	v_add_f32_e32 v23, v25, v26
	;; [unrolled: 1-line block ×4, first 2 shown]
	v_cvt_i32_f32_e32 v23, v23
	v_cvt_i32_f32_e32 v6, v5
	v_cvt_f32_i32_dpp v3, v3 row_shr:15 row_mask:0xf bank_mask:0xf bound_ctrl:1
	v_cvt_i32_f32_e32 v0, v0
	v_cvt_i32_f32_e32 v1, v1
	v_cvt_f32_i32_dpp v23, v23 row_shr:15 row_mask:0xf bank_mask:0xf bound_ctrl:1
	v_cvt_f32_i32_dpp v2, v6 row_bcast:15 row_mask:0xf bank_mask:0xf bound_ctrl:1
	v_cvt_f32_i32_dpp v0, v0 row_shr:15 row_mask:0xf bank_mask:0xf bound_ctrl:1
	v_cvt_i32_f32_e32 v4, v3
	v_cvt_f32_i32_dpp v1, v1 row_shr:15 row_mask:0xf bank_mask:0xf bound_ctrl:1
	v_cvt_i32_f32_e32 v18, v16
	v_cvt_i32_f32_e32 v25, v23
	v_add_f32_e32 v7, v5, v2
	v_cvt_i32_f32_e32 v2, v0
	v_cvt_f32_i32_dpp v4, v4 row_bcast:15 row_mask:0xf bank_mask:0xf bound_ctrl:1
	v_cvt_i32_f32_e32 v5, v1
	v_mov_b32_dpp v14, v18 row_bcast:31 row_mask:0xf bank_mask:0xf bound_ctrl:1
	v_cvt_f32_i32_dpp v18, v25 row_bcast:15 row_mask:0xf bank_mask:0xf bound_ctrl:1
	v_cvt_f32_i32_dpp v2, v2 row_bcast:15 row_mask:0xf bank_mask:0xf bound_ctrl:1
	v_add_f32_e32 v4, v3, v4
	v_cvt_f32_i32_dpp v3, v5 row_bcast:15 row_mask:0xf bank_mask:0xf bound_ctrl:1
	v_add_f32_e32 v12, v23, v18
	v_add_f32_e32 v2, v0, v2
	v_cvt_i32_f32_e32 v22, v13
	v_add_f32_e32 v0, v1, v3
	v_cvt_i32_f32_e32 v18, v12
	v_cvt_i32_f32_e32 v6, v7
	;; [unrolled: 1-line block ×5, first 2 shown]
	v_mov_b32_dpp v10, v22 row_bcast:31 row_mask:0xf bank_mask:0xf bound_ctrl:1
	v_mov_b32_dpp v8, v18 row_bcast:31 row_mask:0xf bank_mask:0xf bound_ctrl:1
	;; [unrolled: 1-line block ×6, first 2 shown]
	s_and_saveexec_b64 s[30:31], s[0:1]
	s_cbranch_execz .LBB255_133
; %bb.59:                               ;   in Loop: Header=BB255_19 Depth=1
	s_andn2_b64 vcc, exec, s[26:27]
	v_mov_b32_e32 v34, 0
	v_mov_b32_e32 v31, 0
	;; [unrolled: 1-line block ×12, first 2 shown]
	s_cbranch_vccnz .LBB255_61
; %bb.60:                               ;   in Loop: Header=BB255_19 Depth=1
	v_mul_hi_u32 v6, v110, v107
	v_mul_lo_u32 v6, v6, s20
	v_sub_u32_e32 v6, v110, v6
	v_subrev_u32_e32 v11, s20, v6
	v_cmp_le_u32_e32 vcc, s20, v6
	v_mov_b32_e32 v23, v113
	v_mov_b32_e32 v19, v113
	v_cndmask_b32_e32 v6, v6, v11, vcc
	v_subrev_u32_e32 v11, s20, v6
	v_cmp_le_u32_e32 vcc, s20, v6
	v_mov_b32_e32 v43, v113
	s_nop 0
	v_cndmask_b32_e32 v112, v6, v11, vcc
	v_mul_hi_u32 v6, v118, v107
	v_mul_lo_u32 v6, v6, s20
	v_sub_u32_e32 v6, v118, v6
	v_subrev_u32_e32 v11, s20, v6
	v_cmp_le_u32_e32 vcc, s20, v6
	v_add_u32_e32 v22, s41, v112
	v_lshl_add_u64 v[46:47], v[22:23], 1, s[16:17]
	v_cndmask_b32_e32 v6, v6, v11, vcc
	v_subrev_u32_e32 v11, s20, v6
	v_cmp_le_u32_e32 vcc, s20, v6
	v_lshl_add_u64 v[38:39], v[112:113], 1, s[16:17]
	s_nop 0
	v_cndmask_b32_e32 v18, v6, v11, vcc
	v_mul_hi_u32 v6, v116, v107
	v_mul_lo_u32 v6, v6, s20
	v_sub_u32_e32 v6, v116, v6
	v_subrev_u32_e32 v11, s20, v6
	v_cmp_le_u32_e32 vcc, s20, v6
	v_add_u32_e32 v22, s41, v18
	v_lshl_add_u64 v[48:49], v[22:23], 1, s[16:17]
	v_cndmask_b32_e32 v6, v6, v11, vcc
	v_subrev_u32_e32 v11, s20, v6
	v_cmp_le_u32_e32 vcc, s20, v6
	v_lshl_add_u64 v[40:41], v[18:19], 1, s[16:17]
	s_nop 0
	v_cndmask_b32_e32 v42, v6, v11, vcc
	v_add_u32_e32 v22, s41, v42
	v_lshl_add_u64 v[50:51], v[22:23], 1, s[16:17]
	v_add_u32_e32 v22, s42, v112
	v_lshl_add_u64 v[52:53], v[22:23], 1, s[16:17]
	;; [unrolled: 2-line block ×3, first 2 shown]
	v_lshl_add_u64 v[54:55], v[22:23], 1, s[16:17]
	global_load_ushort v34, v[38:39], off
	global_load_ushort v31, v[40:41], off
	;; [unrolled: 1-line block ×8, first 2 shown]
	v_add_u32_e32 v112, s43, v112
	v_add_u32_e32 v38, s42, v42
	v_mov_b32_e32 v39, v113
	v_lshl_add_u64 v[40:41], v[112:113], 1, s[16:17]
	v_add_u32_e32 v112, s43, v18
	v_lshl_add_u64 v[38:39], v[38:39], 1, s[16:17]
	v_lshl_add_u64 v[44:45], v[112:113], 1, s[16:17]
	v_add_u32_e32 v112, s43, v42
	v_lshl_add_u64 v[42:43], v[112:113], 1, s[16:17]
	global_load_ushort v18, v[38:39], off
	global_load_ushort v15, v[40:41], off
	;; [unrolled: 1-line block ×4, first 2 shown]
.LBB255_61:                             ;   in Loop: Header=BB255_19 Depth=1
	v_cmp_ne_u32_e32 vcc, 0, v104
	s_and_saveexec_b64 s[6:7], vcc
	s_cbranch_execnz .LBB255_73
; %bb.62:                               ;   in Loop: Header=BB255_19 Depth=1
	s_or_b64 exec, exec, s[6:7]
	v_cmp_ne_u32_e64 s[4:5], 0, v105
	s_and_saveexec_b64 s[8:9], s[4:5]
	s_cbranch_execnz .LBB255_78
.LBB255_63:                             ;   in Loop: Header=BB255_19 Depth=1
	s_or_b64 exec, exec, s[8:9]
	v_cmp_ne_u32_e64 s[6:7], 0, v106
	s_and_saveexec_b64 s[34:35], s[6:7]
	s_cbranch_execnz .LBB255_83
.LBB255_64:                             ;   in Loop: Header=BB255_19 Depth=1
	s_or_b64 exec, exec, s[34:35]
	v_add_u32_e32 v112, s15, v110
	s_and_saveexec_b64 s[34:35], vcc
	s_cbranch_execnz .LBB255_88
.LBB255_65:                             ;   in Loop: Header=BB255_19 Depth=1
	s_or_b64 exec, exec, s[34:35]
	s_and_saveexec_b64 s[34:35], s[4:5]
	s_cbranch_execnz .LBB255_93
.LBB255_66:                             ;   in Loop: Header=BB255_19 Depth=1
	s_or_b64 exec, exec, s[34:35]
	s_and_saveexec_b64 s[34:35], s[6:7]
	s_cbranch_execnz .LBB255_98
.LBB255_67:                             ;   in Loop: Header=BB255_19 Depth=1
	s_or_b64 exec, exec, s[34:35]
	v_add_u32_e32 v112, s15, v112
	s_and_saveexec_b64 s[34:35], vcc
	s_cbranch_execnz .LBB255_103
.LBB255_68:                             ;   in Loop: Header=BB255_19 Depth=1
	s_or_b64 exec, exec, s[34:35]
	s_and_saveexec_b64 s[34:35], s[4:5]
	s_cbranch_execnz .LBB255_108
.LBB255_69:                             ;   in Loop: Header=BB255_19 Depth=1
	s_or_b64 exec, exec, s[34:35]
	s_and_saveexec_b64 s[34:35], s[6:7]
	s_cbranch_execnz .LBB255_113
.LBB255_70:                             ;   in Loop: Header=BB255_19 Depth=1
	s_or_b64 exec, exec, s[34:35]
	v_add_u32_e32 v112, s15, v112
	s_and_saveexec_b64 s[8:9], vcc
	s_cbranch_execnz .LBB255_118
.LBB255_71:                             ;   in Loop: Header=BB255_19 Depth=1
	s_or_b64 exec, exec, s[8:9]
	s_and_saveexec_b64 s[8:9], s[4:5]
	s_cbranch_execnz .LBB255_123
.LBB255_72:                             ;   in Loop: Header=BB255_19 Depth=1
	s_or_b64 exec, exec, s[8:9]
	s_and_b64 exec, exec, s[6:7]
	s_cbranch_execnz .LBB255_128
	s_branch .LBB255_133
.LBB255_73:                             ;   in Loop: Header=BB255_19 Depth=1
	v_cvt_f32_i32_e32 v33, v33
	s_waitcnt vmcnt(11)
	v_lshlrev_b32_e32 v34, 16, v34
	v_add_f32_e32 v33, v36, v33
	v_add_f32_e32 v34, v33, v34
	v_and_b32_e32 v33, 0x7f800000, v34
	v_cmp_ne_u32_e64 s[4:5], s46, v33
                                        ; implicit-def: $vgpr33
	s_and_saveexec_b64 s[8:9], s[4:5]
	s_xor_b64 s[4:5], exec, s[8:9]
; %bb.74:                               ;   in Loop: Header=BB255_19 Depth=1
	v_bfe_u32 v33, v34, 16, 1
	v_add3_u32 v33, v34, v33, s14
                                        ; implicit-def: $vgpr34
; %bb.75:                               ;   in Loop: Header=BB255_19 Depth=1
	s_andn2_saveexec_b64 s[8:9], s[4:5]
; %bb.76:                               ;   in Loop: Header=BB255_19 Depth=1
	v_or_b32_e32 v33, 0x10000, v34
	v_cmp_eq_u32_sdwa s[4:5], v34, v113 src0_sel:WORD_0 src1_sel:DWORD
	s_nop 1
	v_cndmask_b32_e64 v33, v33, v34, s[4:5]
; %bb.77:                               ;   in Loop: Header=BB255_19 Depth=1
	s_or_b64 exec, exec, s[8:9]
	v_mov_b32_e32 v111, v113
	v_lshl_add_u64 v[34:35], v[110:111], 1, s[18:19]
	global_store_short_d16_hi v[34:35], v33, off
	s_or_b64 exec, exec, s[6:7]
	v_cmp_ne_u32_e64 s[4:5], 0, v105
	s_and_saveexec_b64 s[8:9], s[4:5]
	s_cbranch_execz .LBB255_63
.LBB255_78:                             ;   in Loop: Header=BB255_19 Depth=1
	v_cvt_f32_i32_e32 v30, v30
	s_waitcnt vmcnt(10)
	v_lshlrev_b32_e32 v31, 16, v31
	v_add_f32_e32 v30, v32, v30
	v_add_f32_e32 v31, v30, v31
	v_and_b32_e32 v30, 0x7f800000, v31
	v_cmp_ne_u32_e64 s[6:7], s46, v30
                                        ; implicit-def: $vgpr30
	s_and_saveexec_b64 s[34:35], s[6:7]
	s_xor_b64 s[6:7], exec, s[34:35]
; %bb.79:                               ;   in Loop: Header=BB255_19 Depth=1
	v_bfe_u32 v30, v31, 16, 1
	v_add3_u32 v30, v31, v30, s14
                                        ; implicit-def: $vgpr31
; %bb.80:                               ;   in Loop: Header=BB255_19 Depth=1
	s_andn2_saveexec_b64 s[34:35], s[6:7]
; %bb.81:                               ;   in Loop: Header=BB255_19 Depth=1
	v_or_b32_e32 v30, 0x10000, v31
	v_cmp_eq_u32_sdwa s[6:7], v31, v113 src0_sel:WORD_0 src1_sel:DWORD
	s_nop 1
	v_cndmask_b32_e64 v30, v30, v31, s[6:7]
; %bb.82:                               ;   in Loop: Header=BB255_19 Depth=1
	s_or_b64 exec, exec, s[34:35]
	v_mov_b32_e32 v119, v113
	v_lshl_add_u64 v[32:33], v[118:119], 1, s[18:19]
	global_store_short_d16_hi v[32:33], v30, off
	s_or_b64 exec, exec, s[8:9]
	v_cmp_ne_u32_e64 s[6:7], 0, v106
	s_and_saveexec_b64 s[34:35], s[6:7]
	s_cbranch_execz .LBB255_64
.LBB255_83:                             ;   in Loop: Header=BB255_19 Depth=1
	v_cvt_f32_i32_e32 v29, v29
	s_waitcnt vmcnt(9)
	v_lshlrev_b32_e32 v27, 16, v27
	v_add_f32_e32 v28, v28, v29
	v_add_f32_e32 v28, v28, v27
	v_and_b32_e32 v27, 0x7f800000, v28
	v_cmp_ne_u32_e64 s[8:9], s46, v27
                                        ; implicit-def: $vgpr27
	s_and_saveexec_b64 s[36:37], s[8:9]
	s_xor_b64 s[8:9], exec, s[36:37]
; %bb.84:                               ;   in Loop: Header=BB255_19 Depth=1
	v_bfe_u32 v27, v28, 16, 1
	v_add3_u32 v27, v28, v27, s14
                                        ; implicit-def: $vgpr28
; %bb.85:                               ;   in Loop: Header=BB255_19 Depth=1
	s_andn2_saveexec_b64 s[36:37], s[8:9]
; %bb.86:                               ;   in Loop: Header=BB255_19 Depth=1
	v_or_b32_e32 v27, 0x10000, v28
	v_cmp_eq_u32_sdwa s[8:9], v28, v113 src0_sel:WORD_0 src1_sel:DWORD
	s_nop 1
	v_cndmask_b32_e64 v27, v27, v28, s[8:9]
; %bb.87:                               ;   in Loop: Header=BB255_19 Depth=1
	s_or_b64 exec, exec, s[36:37]
	v_mov_b32_e32 v117, v113
	v_lshl_add_u64 v[28:29], v[116:117], 1, s[18:19]
	global_store_short_d16_hi v[28:29], v27, off
	s_or_b64 exec, exec, s[34:35]
	v_add_u32_e32 v112, s15, v110
	s_and_saveexec_b64 s[34:35], vcc
	s_cbranch_execz .LBB255_65
.LBB255_88:                             ;   in Loop: Header=BB255_19 Depth=1
	v_cvt_f32_i32_e32 v21, v21
	v_add_f32_e32 v21, v24, v21
	s_waitcnt vmcnt(8)
	v_lshlrev_b32_e32 v24, 16, v26
	v_add_f32_e32 v24, v21, v24
	v_and_b32_e32 v21, 0x7f800000, v24
	v_cmp_ne_u32_e64 s[8:9], s46, v21
                                        ; implicit-def: $vgpr21
	s_and_saveexec_b64 s[36:37], s[8:9]
	s_xor_b64 s[8:9], exec, s[36:37]
; %bb.89:                               ;   in Loop: Header=BB255_19 Depth=1
	v_bfe_u32 v21, v24, 16, 1
	v_add3_u32 v21, v24, v21, s14
                                        ; implicit-def: $vgpr24
; %bb.90:                               ;   in Loop: Header=BB255_19 Depth=1
	s_andn2_saveexec_b64 s[36:37], s[8:9]
; %bb.91:                               ;   in Loop: Header=BB255_19 Depth=1
	v_or_b32_e32 v21, 0x10000, v24
	v_cmp_eq_u32_sdwa s[8:9], v24, v113 src0_sel:WORD_0 src1_sel:DWORD
	s_nop 1
	v_cndmask_b32_e64 v21, v21, v24, s[8:9]
; %bb.92:                               ;   in Loop: Header=BB255_19 Depth=1
	s_or_b64 exec, exec, s[36:37]
	v_lshl_add_u64 v[26:27], v[112:113], 1, s[18:19]
	global_store_short_d16_hi v[26:27], v21, off
	s_or_b64 exec, exec, s[34:35]
	s_and_saveexec_b64 s[34:35], s[4:5]
	s_cbranch_execz .LBB255_66
.LBB255_93:                             ;   in Loop: Header=BB255_19 Depth=1
	v_cvt_f32_i32_e32 v17, v17
	v_add_f32_e32 v17, v20, v17
	s_waitcnt vmcnt(7)
	v_lshlrev_b32_e32 v20, 16, v25
	v_add_f32_e32 v20, v17, v20
	v_and_b32_e32 v17, 0x7f800000, v20
	v_cmp_ne_u32_e64 s[8:9], s46, v17
                                        ; implicit-def: $vgpr17
	s_and_saveexec_b64 s[36:37], s[8:9]
	s_xor_b64 s[8:9], exec, s[36:37]
; %bb.94:                               ;   in Loop: Header=BB255_19 Depth=1
	v_bfe_u32 v17, v20, 16, 1
	v_add3_u32 v17, v20, v17, s14
                                        ; implicit-def: $vgpr20
; %bb.95:                               ;   in Loop: Header=BB255_19 Depth=1
	s_andn2_saveexec_b64 s[36:37], s[8:9]
; %bb.96:                               ;   in Loop: Header=BB255_19 Depth=1
	v_or_b32_e32 v17, 0x10000, v20
	v_cmp_eq_u32_sdwa s[8:9], v20, v113 src0_sel:WORD_0 src1_sel:DWORD
	s_nop 1
	v_cndmask_b32_e64 v17, v17, v20, s[8:9]
; %bb.97:                               ;   in Loop: Header=BB255_19 Depth=1
	s_or_b64 exec, exec, s[36:37]
	v_add_u32_e32 v20, 1, v112
	v_mov_b32_e32 v21, v113
	v_lshl_add_u64 v[20:21], v[20:21], 1, s[18:19]
	global_store_short_d16_hi v[20:21], v17, off
	s_or_b64 exec, exec, s[34:35]
	s_and_saveexec_b64 s[34:35], s[6:7]
	s_cbranch_execz .LBB255_67
.LBB255_98:                             ;   in Loop: Header=BB255_19 Depth=1
	v_cvt_f32_i32_e32 v14, v14
	v_add_f32_e32 v14, v16, v14
	s_waitcnt vmcnt(6)
	v_lshlrev_b32_e32 v16, 16, v23
	v_add_f32_e32 v16, v14, v16
	v_and_b32_e32 v14, 0x7f800000, v16
	v_cmp_ne_u32_e64 s[8:9], s46, v14
                                        ; implicit-def: $vgpr14
	s_and_saveexec_b64 s[36:37], s[8:9]
	s_xor_b64 s[8:9], exec, s[36:37]
; %bb.99:                               ;   in Loop: Header=BB255_19 Depth=1
	v_bfe_u32 v14, v16, 16, 1
	v_add3_u32 v14, v16, v14, s14
                                        ; implicit-def: $vgpr16
; %bb.100:                              ;   in Loop: Header=BB255_19 Depth=1
	s_andn2_saveexec_b64 s[36:37], s[8:9]
; %bb.101:                              ;   in Loop: Header=BB255_19 Depth=1
	v_or_b32_e32 v14, 0x10000, v16
	v_cmp_eq_u32_sdwa s[8:9], v16, v113 src0_sel:WORD_0 src1_sel:DWORD
	s_nop 1
	v_cndmask_b32_e64 v14, v14, v16, s[8:9]
; %bb.102:                              ;   in Loop: Header=BB255_19 Depth=1
	s_or_b64 exec, exec, s[36:37]
	v_add_u32_e32 v16, 2, v112
	v_mov_b32_e32 v17, v113
	v_lshl_add_u64 v[16:17], v[16:17], 1, s[18:19]
	global_store_short_d16_hi v[16:17], v14, off
	s_or_b64 exec, exec, s[34:35]
	v_add_u32_e32 v112, s15, v112
	s_and_saveexec_b64 s[34:35], vcc
	s_cbranch_execz .LBB255_68
.LBB255_103:                            ;   in Loop: Header=BB255_19 Depth=1
	v_cvt_f32_i32_e32 v10, v10
	v_add_f32_e32 v10, v13, v10
	s_waitcnt vmcnt(5)
	v_lshlrev_b32_e32 v13, 16, v22
	v_add_f32_e32 v13, v10, v13
	v_and_b32_e32 v10, 0x7f800000, v13
	v_cmp_ne_u32_e64 s[8:9], s46, v10
                                        ; implicit-def: $vgpr10
	s_and_saveexec_b64 s[36:37], s[8:9]
	s_xor_b64 s[8:9], exec, s[36:37]
; %bb.104:                              ;   in Loop: Header=BB255_19 Depth=1
	v_bfe_u32 v10, v13, 16, 1
	v_add3_u32 v10, v13, v10, s14
                                        ; implicit-def: $vgpr13
; %bb.105:                              ;   in Loop: Header=BB255_19 Depth=1
	s_andn2_saveexec_b64 s[36:37], s[8:9]
; %bb.106:                              ;   in Loop: Header=BB255_19 Depth=1
	v_or_b32_e32 v10, 0x10000, v13
	v_cmp_eq_u32_sdwa s[8:9], v13, v113 src0_sel:WORD_0 src1_sel:DWORD
	s_nop 1
	v_cndmask_b32_e64 v10, v10, v13, s[8:9]
; %bb.107:                              ;   in Loop: Header=BB255_19 Depth=1
	s_or_b64 exec, exec, s[36:37]
	v_lshl_add_u64 v[16:17], v[112:113], 1, s[18:19]
	global_store_short_d16_hi v[16:17], v10, off
	s_or_b64 exec, exec, s[34:35]
	s_and_saveexec_b64 s[34:35], s[4:5]
	s_cbranch_execz .LBB255_69
.LBB255_108:                            ;   in Loop: Header=BB255_19 Depth=1
	v_cvt_f32_i32_e32 v8, v8
	s_waitcnt vmcnt(4)
	v_lshlrev_b32_e32 v10, 16, v19
	v_add_f32_e32 v8, v12, v8
	v_add_f32_e32 v10, v8, v10
	v_and_b32_e32 v8, 0x7f800000, v10
	v_cmp_ne_u32_e64 s[8:9], s46, v8
                                        ; implicit-def: $vgpr8
	s_and_saveexec_b64 s[36:37], s[8:9]
	s_xor_b64 s[8:9], exec, s[36:37]
; %bb.109:                              ;   in Loop: Header=BB255_19 Depth=1
	v_bfe_u32 v8, v10, 16, 1
	v_add3_u32 v8, v10, v8, s14
                                        ; implicit-def: $vgpr10
; %bb.110:                              ;   in Loop: Header=BB255_19 Depth=1
	s_andn2_saveexec_b64 s[36:37], s[8:9]
; %bb.111:                              ;   in Loop: Header=BB255_19 Depth=1
	v_or_b32_e32 v8, 0x10000, v10
	v_cmp_eq_u32_sdwa s[8:9], v10, v113 src0_sel:WORD_0 src1_sel:DWORD
	s_nop 1
	v_cndmask_b32_e64 v8, v8, v10, s[8:9]
; %bb.112:                              ;   in Loop: Header=BB255_19 Depth=1
	s_or_b64 exec, exec, s[36:37]
	v_add_u32_e32 v12, 1, v112
	v_mov_b32_e32 v13, v113
	v_lshl_add_u64 v[12:13], v[12:13], 1, s[18:19]
	global_store_short_d16_hi v[12:13], v8, off
	s_or_b64 exec, exec, s[34:35]
	s_and_saveexec_b64 s[34:35], s[6:7]
	s_cbranch_execz .LBB255_70
.LBB255_113:                            ;   in Loop: Header=BB255_19 Depth=1
	v_cvt_f32_i32_e32 v8, v9
	v_add_f32_e32 v7, v7, v8
	s_waitcnt vmcnt(3)
	v_lshlrev_b32_e32 v8, 16, v18
	v_add_f32_e32 v8, v7, v8
	v_and_b32_e32 v7, 0x7f800000, v8
	v_cmp_ne_u32_e64 s[8:9], s46, v7
                                        ; implicit-def: $vgpr7
	s_and_saveexec_b64 s[36:37], s[8:9]
	s_xor_b64 s[8:9], exec, s[36:37]
; %bb.114:                              ;   in Loop: Header=BB255_19 Depth=1
	v_bfe_u32 v7, v8, 16, 1
	v_add3_u32 v7, v8, v7, s14
                                        ; implicit-def: $vgpr8
; %bb.115:                              ;   in Loop: Header=BB255_19 Depth=1
	s_andn2_saveexec_b64 s[36:37], s[8:9]
; %bb.116:                              ;   in Loop: Header=BB255_19 Depth=1
	v_or_b32_e32 v7, 0x10000, v8
	v_cmp_eq_u32_sdwa s[8:9], v8, v113 src0_sel:WORD_0 src1_sel:DWORD
	s_nop 1
	v_cndmask_b32_e64 v7, v7, v8, s[8:9]
; %bb.117:                              ;   in Loop: Header=BB255_19 Depth=1
	s_or_b64 exec, exec, s[36:37]
	v_add_u32_e32 v8, 2, v112
	v_mov_b32_e32 v9, v113
	v_lshl_add_u64 v[8:9], v[8:9], 1, s[18:19]
	global_store_short_d16_hi v[8:9], v7, off
	s_or_b64 exec, exec, s[34:35]
	v_add_u32_e32 v112, s15, v112
	s_and_saveexec_b64 s[8:9], vcc
	s_cbranch_execz .LBB255_71
.LBB255_118:                            ;   in Loop: Header=BB255_19 Depth=1
	v_cvt_f32_i32_e32 v5, v5
	v_add_f32_e32 v4, v4, v5
	s_waitcnt vmcnt(2)
	v_lshlrev_b32_e32 v5, 16, v15
	v_add_f32_e32 v5, v4, v5
	v_and_b32_e32 v4, 0x7f800000, v5
	v_cmp_ne_u32_e32 vcc, s46, v4
                                        ; implicit-def: $vgpr4
	s_and_saveexec_b64 s[34:35], vcc
	s_xor_b64 s[34:35], exec, s[34:35]
; %bb.119:                              ;   in Loop: Header=BB255_19 Depth=1
	v_bfe_u32 v4, v5, 16, 1
	v_add3_u32 v4, v5, v4, s14
                                        ; implicit-def: $vgpr5
; %bb.120:                              ;   in Loop: Header=BB255_19 Depth=1
	s_andn2_saveexec_b64 s[34:35], s[34:35]
; %bb.121:                              ;   in Loop: Header=BB255_19 Depth=1
	v_or_b32_e32 v4, 0x10000, v5
	v_cmp_eq_u32_sdwa vcc, v5, v113 src0_sel:WORD_0 src1_sel:DWORD
	s_nop 1
	v_cndmask_b32_e32 v4, v4, v5, vcc
; %bb.122:                              ;   in Loop: Header=BB255_19 Depth=1
	s_or_b64 exec, exec, s[34:35]
	v_lshl_add_u64 v[8:9], v[112:113], 1, s[18:19]
	global_store_short_d16_hi v[8:9], v4, off
	s_or_b64 exec, exec, s[8:9]
	s_and_saveexec_b64 s[8:9], s[4:5]
	s_cbranch_execz .LBB255_72
.LBB255_123:                            ;   in Loop: Header=BB255_19 Depth=1
	v_cvt_f32_i32_e32 v3, v3
	v_add_f32_e32 v2, v2, v3
	s_waitcnt vmcnt(1)
	v_lshlrev_b32_e32 v3, 16, v11
	v_add_f32_e32 v3, v2, v3
	v_and_b32_e32 v2, 0x7f800000, v3
	v_cmp_ne_u32_e32 vcc, s46, v2
                                        ; implicit-def: $vgpr2
	s_and_saveexec_b64 s[4:5], vcc
	s_xor_b64 s[4:5], exec, s[4:5]
; %bb.124:                              ;   in Loop: Header=BB255_19 Depth=1
	v_bfe_u32 v2, v3, 16, 1
	v_add3_u32 v2, v3, v2, s14
                                        ; implicit-def: $vgpr3
; %bb.125:                              ;   in Loop: Header=BB255_19 Depth=1
	s_andn2_saveexec_b64 s[4:5], s[4:5]
; %bb.126:                              ;   in Loop: Header=BB255_19 Depth=1
	v_or_b32_e32 v2, 0x10000, v3
	v_cmp_eq_u32_sdwa vcc, v3, v113 src0_sel:WORD_0 src1_sel:DWORD
	s_nop 1
	v_cndmask_b32_e32 v2, v2, v3, vcc
; %bb.127:                              ;   in Loop: Header=BB255_19 Depth=1
	s_or_b64 exec, exec, s[4:5]
	v_add_u32_e32 v4, 1, v112
	v_mov_b32_e32 v5, v113
	v_lshl_add_u64 v[4:5], v[4:5], 1, s[18:19]
	global_store_short_d16_hi v[4:5], v2, off
	s_or_b64 exec, exec, s[8:9]
	s_and_b64 exec, exec, s[6:7]
	s_cbranch_execz .LBB255_133
.LBB255_128:                            ;   in Loop: Header=BB255_19 Depth=1
	v_cvt_f32_i32_e32 v1, v1
	v_add_f32_e32 v0, v0, v1
	s_waitcnt vmcnt(0)
	v_lshlrev_b32_e32 v1, 16, v6
	v_add_f32_e32 v1, v0, v1
	v_and_b32_e32 v0, 0x7f800000, v1
	v_cmp_ne_u32_e32 vcc, s46, v0
                                        ; implicit-def: $vgpr0
	s_and_saveexec_b64 s[4:5], vcc
	s_xor_b64 s[4:5], exec, s[4:5]
; %bb.129:                              ;   in Loop: Header=BB255_19 Depth=1
	v_bfe_u32 v0, v1, 16, 1
	v_add3_u32 v0, v1, v0, s14
                                        ; implicit-def: $vgpr1
; %bb.130:                              ;   in Loop: Header=BB255_19 Depth=1
	s_andn2_saveexec_b64 s[4:5], s[4:5]
; %bb.131:                              ;   in Loop: Header=BB255_19 Depth=1
	v_or_b32_e32 v0, 0x10000, v1
	v_cmp_eq_u32_sdwa vcc, v1, v113 src0_sel:WORD_0 src1_sel:DWORD
	s_nop 1
	v_cndmask_b32_e32 v0, v0, v1, vcc
; %bb.132:                              ;   in Loop: Header=BB255_19 Depth=1
	s_or_b64 exec, exec, s[4:5]
	v_add_u32_e32 v112, 2, v112
	v_lshl_add_u64 v[2:3], v[112:113], 1, s[18:19]
	global_store_short_d16_hi v[2:3], v0, off
.LBB255_133:                            ;   in Loop: Header=BB255_19 Depth=1
	s_or_b64 exec, exec, s[30:31]
	v_add_u32_e32 v110, s40, v110
	v_add_u32_e32 v0, 3, v110
	v_cmp_gt_u32_e32 vcc, s15, v110
	v_cmp_le_u32_e64 s[4:5], s15, v0
	s_and_b64 s[4:5], vcc, s[4:5]
	s_and_saveexec_b64 s[6:7], s[4:5]
	s_cbranch_execz .LBB255_18
; %bb.134:                              ;   in Loop: Header=BB255_19 Depth=1
	v_cmp_ne_u32_e32 vcc, s21, v110
	s_and_saveexec_b64 s[8:9], vcc
	s_cbranch_execz .LBB255_17
; %bb.135:                              ;   in Loop: Header=BB255_19 Depth=1
	v_subrev_u32_e32 v0, s21, v110
	v_cmp_lt_u32_e32 vcc, 1, v0
	s_mov_b64 s[30:31], 0
	s_mov_b64 s[34:35], 0
	v_cndmask_b32_e32 v0, 1, v0, vcc
.LBB255_136:                            ;   Parent Loop BB255_19 Depth=1
                                        ; =>  This Inner Loop Header: Depth=2
	s_cmp_lg_u32 s34, 2
	s_cselect_b64 vcc, -1, 0
	s_cmp_lg_u32 s34, 1
	v_cndmask_b32_e32 v106, 0, v106, vcc
	s_cselect_b64 vcc, -1, 0
	s_cmp_lg_u32 s34, 0
	v_cndmask_b32_e32 v105, 0, v105, vcc
	s_cselect_b64 vcc, -1, 0
	s_add_u32 s34, s34, 1
	s_addc_u32 s35, s35, 0
	v_cmp_eq_u32_e64 s[4:5], s34, v0
	s_or_b64 s[30:31], s[4:5], s[30:31]
	v_cndmask_b32_e32 v104, 0, v104, vcc
	s_andn2_b64 exec, exec, s[30:31]
	s_cbranch_execnz .LBB255_136
; %bb.137:                              ;   in Loop: Header=BB255_19 Depth=1
	s_or_b64 exec, exec, s[30:31]
	s_branch .LBB255_17
.LBB255_138:
	s_endpgm
	.section	.rodata,"a",@progbits
	.p2align	6, 0x0
	.amdhsa_kernel _Z12wvSplitK_hf_I14__hip_bfloat16Li32ELi3ELi16ELi8ELi2ELi4EEviiiiiiPKT_S3_S3_PS1_ii
		.amdhsa_group_segment_fixed_size 65536
		.amdhsa_private_segment_fixed_size 0
		.amdhsa_kernarg_size 64
		.amdhsa_user_sgpr_count 2
		.amdhsa_user_sgpr_dispatch_ptr 0
		.amdhsa_user_sgpr_queue_ptr 0
		.amdhsa_user_sgpr_kernarg_segment_ptr 1
		.amdhsa_user_sgpr_dispatch_id 0
		.amdhsa_user_sgpr_kernarg_preload_length 0
		.amdhsa_user_sgpr_kernarg_preload_offset 0
		.amdhsa_user_sgpr_private_segment_size 0
		.amdhsa_uses_dynamic_stack 0
		.amdhsa_enable_private_segment 0
		.amdhsa_system_sgpr_workgroup_id_x 1
		.amdhsa_system_sgpr_workgroup_id_y 0
		.amdhsa_system_sgpr_workgroup_id_z 0
		.amdhsa_system_sgpr_workgroup_info 0
		.amdhsa_system_vgpr_workitem_id 1
		.amdhsa_next_free_vgpr 133
		.amdhsa_next_free_sgpr 47
		.amdhsa_accum_offset 136
		.amdhsa_reserve_vcc 1
		.amdhsa_float_round_mode_32 0
		.amdhsa_float_round_mode_16_64 0
		.amdhsa_float_denorm_mode_32 3
		.amdhsa_float_denorm_mode_16_64 3
		.amdhsa_dx10_clamp 1
		.amdhsa_ieee_mode 1
		.amdhsa_fp16_overflow 0
		.amdhsa_tg_split 0
		.amdhsa_exception_fp_ieee_invalid_op 0
		.amdhsa_exception_fp_denorm_src 0
		.amdhsa_exception_fp_ieee_div_zero 0
		.amdhsa_exception_fp_ieee_overflow 0
		.amdhsa_exception_fp_ieee_underflow 0
		.amdhsa_exception_fp_ieee_inexact 0
		.amdhsa_exception_int_div_zero 0
	.end_amdhsa_kernel
	.section	.text._Z12wvSplitK_hf_I14__hip_bfloat16Li32ELi3ELi16ELi8ELi2ELi4EEviiiiiiPKT_S3_S3_PS1_ii,"axG",@progbits,_Z12wvSplitK_hf_I14__hip_bfloat16Li32ELi3ELi16ELi8ELi2ELi4EEviiiiiiPKT_S3_S3_PS1_ii,comdat
.Lfunc_end255:
	.size	_Z12wvSplitK_hf_I14__hip_bfloat16Li32ELi3ELi16ELi8ELi2ELi4EEviiiiiiPKT_S3_S3_PS1_ii, .Lfunc_end255-_Z12wvSplitK_hf_I14__hip_bfloat16Li32ELi3ELi16ELi8ELi2ELi4EEviiiiiiPKT_S3_S3_PS1_ii
                                        ; -- End function
	.section	.AMDGPU.csdata,"",@progbits
; Kernel info:
; codeLenInByte = 6612
; NumSgprs: 53
; NumVgprs: 133
; NumAgprs: 0
; TotalNumVgprs: 133
; ScratchSize: 0
; MemoryBound: 1
; FloatMode: 240
; IeeeMode: 1
; LDSByteSize: 65536 bytes/workgroup (compile time only)
; SGPRBlocks: 6
; VGPRBlocks: 16
; NumSGPRsForWavesPerEU: 53
; NumVGPRsForWavesPerEU: 133
; AccumOffset: 136
; Occupancy: 2
; WaveLimiterHint : 0
; COMPUTE_PGM_RSRC2:SCRATCH_EN: 0
; COMPUTE_PGM_RSRC2:USER_SGPR: 2
; COMPUTE_PGM_RSRC2:TRAP_HANDLER: 0
; COMPUTE_PGM_RSRC2:TGID_X_EN: 1
; COMPUTE_PGM_RSRC2:TGID_Y_EN: 0
; COMPUTE_PGM_RSRC2:TGID_Z_EN: 0
; COMPUTE_PGM_RSRC2:TIDIG_COMP_CNT: 1
; COMPUTE_PGM_RSRC3_GFX90A:ACCUM_OFFSET: 33
; COMPUTE_PGM_RSRC3_GFX90A:TG_SPLIT: 0
	.section	.text._Z16wvSplitK_hf_big_I14__hip_bfloat16Li32ELi3ELi16ELi8ELi2ELi4EEviiiiiiPKT_S3_S3_PS1_ii,"axG",@progbits,_Z16wvSplitK_hf_big_I14__hip_bfloat16Li32ELi3ELi16ELi8ELi2ELi4EEviiiiiiPKT_S3_S3_PS1_ii,comdat
	.protected	_Z16wvSplitK_hf_big_I14__hip_bfloat16Li32ELi3ELi16ELi8ELi2ELi4EEviiiiiiPKT_S3_S3_PS1_ii ; -- Begin function _Z16wvSplitK_hf_big_I14__hip_bfloat16Li32ELi3ELi16ELi8ELi2ELi4EEviiiiiiPKT_S3_S3_PS1_ii
	.globl	_Z16wvSplitK_hf_big_I14__hip_bfloat16Li32ELi3ELi16ELi8ELi2ELi4EEviiiiiiPKT_S3_S3_PS1_ii
	.p2align	8
	.type	_Z16wvSplitK_hf_big_I14__hip_bfloat16Li32ELi3ELi16ELi8ELi2ELi4EEviiiiiiPKT_S3_S3_PS1_ii,@function
_Z16wvSplitK_hf_big_I14__hip_bfloat16Li32ELi3ELi16ELi8ELi2ELi4EEviiiiiiPKT_S3_S3_PS1_ii: ; @_Z16wvSplitK_hf_big_I14__hip_bfloat16Li32ELi3ELi16ELi8ELi2ELi4EEviiiiiiPKT_S3_S3_PS1_ii
; %bb.0:
	s_load_dwordx2 s[8:9], s[0:1], 0x38
	v_bfe_u32 v1, v0, 10, 10
	s_waitcnt lgkmcnt(0)
	v_cmp_gt_u32_e32 vcc, s8, v1
	s_and_saveexec_b64 s[4:5], vcc
	s_cbranch_execz .LBB256_112
; %bb.1:
	s_load_dwordx4 s[20:23], s[0:1], 0x0
	s_mul_i32 s2, s2, s8
	v_add_u32_e32 v2, s2, v1
	v_lshl_add_u32 v108, v2, 1, v2
	s_mov_b32 s4, 1
	v_add_u32_e32 v2, 3, v108
	s_mov_b32 s6, s4
	s_waitcnt lgkmcnt(0)
	v_cmp_gt_u32_e32 vcc, s23, v108
	v_cmp_le_u32_e64 s[2:3], s23, v2
	s_mov_b32 s5, s4
	v_mov_b32_e32 v106, s6
	s_and_b64 s[10:11], vcc, s[2:3]
	v_mov_b32_e32 v105, s5
	v_mov_b32_e32 v104, s4
	s_and_saveexec_b64 s[2:3], s[10:11]
	s_cbranch_execz .LBB256_7
; %bb.2:
	s_add_i32 s7, s23, -3
	v_mov_b32_e32 v106, s6
	v_cmp_ne_u32_e32 vcc, s7, v108
	v_mov_b32_e32 v105, s5
	v_mov_b32_e32 v104, s4
	s_and_saveexec_b64 s[10:11], vcc
	s_cbranch_execz .LBB256_6
; %bb.3:
	v_subrev_u32_e32 v2, s7, v108
	v_cmp_lt_u32_e32 vcc, 1, v2
	s_mov_b64 s[12:13], 0
	s_mov_b64 s[14:15], 0
	v_cndmask_b32_e32 v2, 1, v2, vcc
	s_mov_b32 s5, s4
	s_mov_b32 s6, s4
.LBB256_4:                              ; =>This Inner Loop Header: Depth=1
	s_cmp_lg_u32 s14, 2
	s_cselect_b32 s6, s6, 0
	s_cmp_lg_u32 s14, 1
	s_cselect_b32 s5, s5, 0
	;; [unrolled: 2-line block ×3, first 2 shown]
	s_add_u32 s14, s14, 1
	s_addc_u32 s15, s15, 0
	v_cmp_eq_u32_e32 vcc, s14, v2
	v_mov_b32_e32 v106, s6
	s_or_b64 s[12:13], vcc, s[12:13]
	v_mov_b32_e32 v105, s5
	v_mov_b32_e32 v104, s4
	s_andn2_b64 exec, exec, s[12:13]
	s_cbranch_execnz .LBB256_4
; %bb.5:
	s_or_b64 exec, exec, s[12:13]
	v_mov_b32_e32 v108, s7
.LBB256_6:
	s_or_b64 exec, exec, s[10:11]
.LBB256_7:
	s_or_b64 exec, exec, s[2:3]
	s_mul_i32 s46, s8, 3
	s_abs_i32 s2, s46
	v_cvt_f32_u32_e32 v2, s2
	s_sub_i32 s5, 0, s2
	s_abs_i32 s4, s23
	s_ashr_i32 s3, s23, 31
	v_rcp_iflag_f32_e32 v2, v2
	s_nop 0
	v_mul_f32_e32 v2, 0x4f7ffffe, v2
	v_cvt_u32_f32_e32 v2, v2
	s_nop 0
	v_readfirstlane_b32 s6, v2
	s_mul_i32 s5, s5, s6
	s_mul_hi_u32 s5, s6, s5
	s_add_i32 s6, s6, s5
	s_mul_hi_u32 s5, s4, s6
	s_mul_i32 s5, s5, s2
	s_sub_i32 s4, s4, s5
	s_sub_i32 s5, s4, s2
	s_cmp_ge_u32 s4, s2
	s_cselect_b32 s4, s5, s4
	s_sub_i32 s5, s4, s2
	s_cmp_ge_u32 s4, s2
	s_cselect_b32 s2, s5, s4
	s_xor_b32 s2, s2, s3
	s_sub_i32 s2, s2, s3
	s_add_i32 s3, s46, s23
	s_sub_i32 s3, s3, s2
	s_cmp_eq_u32 s2, 0
	s_cselect_b32 s33, s23, s3
	v_cmp_gt_u32_e32 vcc, s33, v108
	s_and_b64 exec, exec, vcc
	s_cbranch_execz .LBB256_112
; %bb.8:
	s_load_dwordx8 s[12:19], s[0:1], 0x10
	s_min_u32 s42, s22, 0x2000
	s_cmp_lg_u32 s20, 0
	s_cselect_b64 s[2:3], -1, 0
	s_cmp_lg_u32 s22, 0
	s_cselect_b64 s[4:5], -1, 0
	s_lshl_b32 s43, s8, 8
	s_add_i32 s44, s20, -8
	s_add_i32 s45, s23, -1
	s_waitcnt lgkmcnt(0)
	s_cmp_lg_u64 s[18:19], 0
	s_cselect_b64 s[28:29], -1, 0
	s_abs_i32 s6, s13
	v_cvt_f32_u32_e32 v2, s12
	v_cvt_f32_u32_e32 v3, s6
	s_sub_i32 s7, 0, s12
	s_mul_i32 s46, s46, s9
	v_rcp_iflag_f32_e32 v2, v2
	v_rcp_iflag_f32_e32 v3, v3
	s_add_i32 s13, s23, -3
	s_load_dwordx2 s[24:25], s[0:1], 0x30
	v_mul_f32_e32 v2, 0x4f7ffffe, v2
	v_mul_f32_e32 v3, 0x4f7ffffe, v3
	v_cvt_u32_f32_e32 v2, v2
	v_cvt_u32_f32_e32 v3, v3
	v_and_b32_e32 v0, 0x3ff, v0
	v_lshlrev_b32_e32 v107, 3, v0
	v_mul_lo_u32 v4, s7, v2
	s_sub_i32 s7, 0, s6
	v_readfirstlane_b32 s9, v3
	s_mul_i32 s7, s7, s9
	s_mul_hi_u32 s7, s9, s7
	s_add_i32 s9, s9, s7
	s_sub_i32 s7, 1, s6
	s_cmp_lt_u32 s6, 2
	s_cselect_b32 s7, s7, 1
	s_sub_i32 s10, s7, s6
	s_cmp_ge_u32 s7, s6
	s_cselect_b32 s47, s10, s7
	s_lshr_b32 s7, s9, 31
	s_mul_i32 s7, s7, s6
	s_sub_i32 s7, 2, s7
	s_sub_i32 s10, s7, s6
	s_cmp_ge_u32 s7, s6
	s_cselect_b32 s7, s10, s7
	s_sub_i32 s10, s7, s6
	s_cmp_ge_u32 s7, s6
	s_cselect_b32 s48, s10, s7
	s_mul_hi_u32 s7, s9, 3
	s_mul_i32 s7, s7, s6
	s_sub_i32 s7, 3, s7
	s_sub_i32 s9, s7, s6
	s_cmp_ge_u32 s7, s6
	s_cselect_b32 s7, s9, s7
	v_cmp_eq_u32_e64 s[0:1], 31, v0
	v_mul_hi_u32 v4, v2, v4
	s_sub_i32 s9, s7, s6
	v_lshlrev_b32_e32 v0, 4, v0
	v_add_u32_e32 v113, v2, v4
	s_cmp_ge_u32 s7, s6
	v_lshl_add_u32 v122, v1, 9, v0
	v_lshl_add_u32 v112, v1, 8, v107
	v_cndmask_b32_e64 v0, 0, 1, s[2:3]
	s_cselect_b32 s49, s9, s7
	s_waitcnt lgkmcnt(0)
	s_add_u32 s30, s24, 2
	v_mad_u64_u32 v[114:115], s[6:7], s22, 3, v[112:113]
	v_cmp_ne_u32_e64 s[2:3], 1, v0
	v_cndmask_b32_e64 v0, 0, 1, s[4:5]
	s_mov_b64 s[26:27], 0
	v_mov_b32_e32 v111, 0
	s_mul_i32 s47, s47, s12
	s_mul_i32 s48, s48, s12
	;; [unrolled: 1-line block ×3, first 2 shown]
	s_addc_u32 s31, s25, 0
	s_mul_i32 s50, s42, 6
	s_lshl_b32 s51, s8, 9
	s_lshl_b32 s52, s42, 2
	;; [unrolled: 1-line block ×3, first 2 shown]
	v_lshl_add_u32 v123, s22, 1, v112
	v_add_u32_e32 v115, s22, v112
	v_cmp_ne_u32_e64 s[4:5], 1, v0
	s_mov_b32 s54, 0x7f800000
	s_movk_i32 s55, 0x7fff
	s_branch .LBB256_12
.LBB256_9:                              ;   in Loop: Header=BB256_12 Depth=1
	s_or_b64 exec, exec, s[10:11]
	v_mov_b32_e32 v108, s13
.LBB256_10:                             ;   in Loop: Header=BB256_12 Depth=1
	s_or_b64 exec, exec, s[8:9]
.LBB256_11:                             ;   in Loop: Header=BB256_12 Depth=1
	s_or_b64 exec, exec, s[34:35]
	v_cmp_le_u32_e32 vcc, s33, v108
	s_or_b64 s[26:27], vcc, s[26:27]
	s_andn2_b64 exec, exec, s[26:27]
	s_cbranch_execz .LBB256_112
.LBB256_12:                             ; =>This Loop Header: Depth=1
                                        ;     Child Loop BB256_17 Depth 2
                                        ;       Child Loop BB256_22 Depth 3
                                        ;     Child Loop BB256_110 Depth 2
	s_and_b64 vcc, exec, s[2:3]
	v_mov_b32_e32 v3, v111
	v_mov_b32_e32 v2, v111
	;; [unrolled: 1-line block ×5, first 2 shown]
	s_waitcnt vmcnt(0)
	v_mov_b32_e32 v6, v111
	v_mov_b32_e32 v5, v111
	;; [unrolled: 1-line block ×43, first 2 shown]
	s_cbranch_vccnz .LBB256_29
; %bb.13:                               ;   in Loop: Header=BB256_12 Depth=1
	v_min_u32_e32 v0, s45, v108
	v_mul_lo_u32 v110, v0, s21
	v_add_u32_e32 v0, 1, v108
	v_add_u32_e32 v2, 2, v108
	v_min_u32_e32 v0, s45, v0
	v_min_u32_e32 v2, s45, v2
	v_mul_lo_u32 v0, v0, s21
	v_mov_b32_e32 v1, v111
	v_mul_lo_u32 v2, v2, s21
	v_mov_b32_e32 v3, v111
	v_mov_b32_e32 v24, 0
	v_cmp_gt_u32_e64 s[6:7], s23, v108
	s_mov_b32 s36, 0
	v_lshlrev_b64 v[116:117], 1, v[110:111]
	v_lshlrev_b64 v[118:119], 1, v[0:1]
	;; [unrolled: 1-line block ×3, first 2 shown]
	s_mov_b32 s37, 0
	v_mov_b32_e32 v25, v24
	v_mov_b32_e32 v26, v24
	;; [unrolled: 1-line block ×47, first 2 shown]
	s_branch .LBB256_17
.LBB256_14:                             ;   in Loop: Header=BB256_17 Depth=2
	s_or_b64 exec, exec, s[34:35]
.LBB256_15:                             ;   in Loop: Header=BB256_17 Depth=2
	s_or_b64 exec, exec, s[10:11]
	s_waitcnt vmcnt(5) lgkmcnt(3)
	v_mfma_f32_4x4x4_16b_bf16 v[44:47], v[100:101], v[64:65], v[44:47]
	s_waitcnt vmcnt(4)
	v_mfma_f32_4x4x4_16b_bf16 v[40:43], v[100:101], v[60:61], v[40:43]
	s_waitcnt vmcnt(3)
	v_mfma_f32_4x4x4_16b_bf16 v[36:39], v[100:101], v[68:69], v[36:39]
	s_waitcnt lgkmcnt(2)
	v_mfma_f32_4x4x4_16b_bf16 v[32:35], v[96:97], v[64:65], v[32:35]
	v_mfma_f32_4x4x4_16b_bf16 v[28:31], v[96:97], v[60:61], v[28:31]
	v_mfma_f32_4x4x4_16b_bf16 v[24:27], v[96:97], v[68:69], v[24:27]
	s_waitcnt lgkmcnt(1)
	v_mfma_f32_4x4x4_16b_bf16 v[20:23], v[92:93], v[64:65], v[20:23]
	v_mfma_f32_4x4x4_16b_bf16 v[16:19], v[92:93], v[60:61], v[16:19]
	;; [unrolled: 4-line block ×3, first 2 shown]
	v_mfma_f32_4x4x4_16b_bf16 v[0:3], v[88:89], v[68:69], v[0:3]
	v_mfma_f32_4x4x4_16b_bf16 v[44:47], v[102:103], v[66:67], v[44:47]
	;; [unrolled: 1-line block ×13, first 2 shown]
	s_waitcnt vmcnt(2)
	v_mfma_f32_4x4x4_16b_bf16 v[44:47], v[84:85], v[48:49], v[44:47]
	s_waitcnt vmcnt(1)
	v_mfma_f32_4x4x4_16b_bf16 v[40:43], v[84:85], v[56:57], v[40:43]
	;; [unrolled: 2-line block ×3, first 2 shown]
	v_mfma_f32_4x4x4_16b_bf16 v[32:35], v[80:81], v[48:49], v[32:35]
	v_mfma_f32_4x4x4_16b_bf16 v[28:31], v[80:81], v[56:57], v[28:31]
	;; [unrolled: 1-line block ×21, first 2 shown]
.LBB256_16:                             ;   in Loop: Header=BB256_17 Depth=2
	s_or_b64 exec, exec, s[8:9]
	s_addk_i32 s37, 0x200
	s_cmp_ge_u32 s37, s20
	s_cbranch_scc1 .LBB256_29
.LBB256_17:                             ;   Parent Loop BB256_12 Depth=1
                                        ; =>  This Loop Header: Depth=2
                                        ;       Child Loop BB256_22 Depth 3
	s_cmp_eq_u32 s37, 0
	s_cselect_b64 s[8:9], -1, 0
	s_add_i32 s10, s36, s42
	s_cmp_eq_u32 s37, s10
	s_cselect_b64 s[34:35], -1, 0
	s_or_b64 s[34:35], s[8:9], s[34:35]
	s_andn2_b64 vcc, exec, s[34:35]
	s_cbranch_vccz .LBB256_19
; %bb.18:                               ;   in Loop: Header=BB256_17 Depth=2
	s_and_saveexec_b64 s[8:9], s[6:7]
	s_cbranch_execz .LBB256_16
	s_branch .LBB256_26
.LBB256_19:                             ;   in Loop: Header=BB256_17 Depth=2
	s_and_b64 s[8:9], s[8:9], exec
	s_cselect_b32 s36, s36, s10
	s_and_b64 vcc, exec, s[4:5]
	s_barrier
	s_cbranch_vccnz .LBB256_25
; %bb.20:                               ;   in Loop: Header=BB256_17 Depth=2
	v_add_u32_e32 v48, s36, v123
	v_add_u32_e32 v49, s36, v114
	;; [unrolled: 1-line block ×4, first 2 shown]
	s_mov_b32 s38, 0
	s_mov_b64 s[10:11], 0
	v_mov_b32_e32 v52, v122
                                        ; implicit-def: $sgpr34_sgpr35
	s_branch .LBB256_22
.LBB256_21:                             ;   in Loop: Header=BB256_22 Depth=3
	s_or_b64 exec, exec, s[8:9]
	s_and_b64 s[8:9], exec, s[34:35]
	s_or_b64 s[10:11], s[8:9], s[10:11]
	s_andn2_b64 exec, exec, s[10:11]
	s_cbranch_execz .LBB256_24
.LBB256_22:                             ;   Parent Loop BB256_12 Depth=1
                                        ;     Parent Loop BB256_17 Depth=2
                                        ; =>    This Inner Loop Header: Depth=3
	v_add_u32_e32 v53, s38, v112
	v_add_u32_e32 v110, s38, v51
	v_cmp_gt_u32_e32 vcc, s22, v110
	v_cmp_gt_u32_e64 s[8:9], s42, v53
	s_and_b64 s[40:41], s[8:9], vcc
	s_or_b64 s[34:35], s[34:35], exec
	s_and_saveexec_b64 s[8:9], s[40:41]
	s_cbranch_execz .LBB256_21
; %bb.23:                               ;   in Loop: Header=BB256_22 Depth=3
	v_lshl_add_u64 v[54:55], v[110:111], 1, s[16:17]
	v_add_u32_e32 v110, s38, v50
	v_lshl_add_u64 v[58:59], v[110:111], 1, s[16:17]
	v_add_u32_e32 v110, s38, v48
	global_load_dwordx4 v[54:57], v[54:55], off
	s_nop 0
	global_load_dwordx4 v[58:61], v[58:59], off
	v_lshl_add_u64 v[62:63], v[110:111], 1, s[16:17]
	v_add_u32_e32 v110, s38, v49
	global_load_dwordx4 v[62:65], v[62:63], off
	v_lshl_add_u64 v[66:67], v[110:111], 1, s[16:17]
	global_load_dwordx4 v[66:69], v[66:67], off
	s_add_i32 s38, s38, s43
	s_cmp_ge_u32 s38, s42
	s_cselect_b64 s[40:41], -1, 0
	s_andn2_b64 s[34:35], s[34:35], exec
	s_and_b64 s[40:41], s[40:41], exec
	v_add_u32_e32 v53, s53, v52
	v_add_u32_e32 v70, s52, v52
	;; [unrolled: 1-line block ×3, first 2 shown]
	s_or_b64 s[34:35], s[34:35], s[40:41]
	s_waitcnt vmcnt(3)
	ds_write_b128 v52, v[54:57]
	v_add_u32_e32 v52, s51, v52
	s_waitcnt vmcnt(2)
	ds_write2_b64 v53, v[58:59], v[60:61] offset1:1
	s_waitcnt vmcnt(1)
	ds_write2_b32 v70, v62, v63 offset1:1
	ds_write2_b32 v70, v64, v65 offset0:2 offset1:3
	s_waitcnt vmcnt(0)
	ds_write2_b64 v71, v[66:67], v[68:69] offset1:1
	s_branch .LBB256_21
.LBB256_24:                             ;   in Loop: Header=BB256_17 Depth=2
	s_or_b64 exec, exec, s[10:11]
.LBB256_25:                             ;   in Loop: Header=BB256_17 Depth=2
	s_waitcnt lgkmcnt(0)
	s_barrier
	s_and_saveexec_b64 s[8:9], s[6:7]
	s_cbranch_execz .LBB256_16
.LBB256_26:                             ;   in Loop: Header=BB256_17 Depth=2
	v_add_u32_e32 v109, s37, v107
	v_min_u32_e32 v110, s44, v109
	v_add_u32_e32 v124, 0x100, v109
	v_lshl_add_u64 v[48:49], v[110:111], 1, s[14:15]
	v_min_u32_e32 v110, s44, v124
	v_lshl_add_u64 v[50:51], v[48:49], 0, v[116:117]
	v_lshl_add_u64 v[52:53], v[48:49], 0, v[118:119]
	;; [unrolled: 1-line block ×3, first 2 shown]
	global_load_dwordx4 v[64:67], v[50:51], off nt
	global_load_dwordx4 v[60:63], v[52:53], off nt
	v_lshl_add_u64 v[52:53], v[48:49], 0, v[120:121]
	v_lshl_add_u64 v[56:57], v[54:55], 0, v[116:117]
	;; [unrolled: 1-line block ×3, first 2 shown]
	global_load_dwordx4 v[68:71], v[52:53], off nt
	global_load_dwordx4 v[48:51], v[56:57], off nt
	v_lshl_add_u64 v[74:75], v[54:55], 0, v[120:121]
	global_load_dwordx4 v[56:59], v[72:73], off nt
	global_load_dwordx4 v[52:55], v[74:75], off nt
	v_cmp_gt_u32_e32 vcc, s20, v109
	v_mov_b32_e32 v74, 0
	v_mov_b32_e32 v75, 0
	v_mov_b32_e32 v72, 0
	v_mov_b32_e32 v73, 0
	v_mov_b32_e32 v90, 0
	v_mov_b32_e32 v91, 0
	v_mov_b32_e32 v88, 0
	v_mov_b32_e32 v89, 0
	v_mov_b32_e32 v78, 0
	v_mov_b32_e32 v79, 0
	v_mov_b32_e32 v76, 0
	v_mov_b32_e32 v77, 0
	v_mov_b32_e32 v94, 0
	v_mov_b32_e32 v95, 0
	v_mov_b32_e32 v92, 0
	v_mov_b32_e32 v93, 0
	v_mov_b32_e32 v82, 0
	v_mov_b32_e32 v83, 0
	v_mov_b32_e32 v80, 0
	v_mov_b32_e32 v81, 0
	v_mov_b32_e32 v98, 0
	v_mov_b32_e32 v99, 0
	v_mov_b32_e32 v96, 0
	v_mov_b32_e32 v97, 0
	v_mov_b32_e32 v86, 0
	v_mov_b32_e32 v87, 0
	v_mov_b32_e32 v84, 0
	v_mov_b32_e32 v85, 0
	v_mov_b32_e32 v102, 0
	v_mov_b32_e32 v103, 0
	v_mov_b32_e32 v100, 0
	v_mov_b32_e32 v101, 0
	s_and_saveexec_b64 s[10:11], vcc
	s_cbranch_execz .LBB256_15
; %bb.27:                               ;   in Loop: Header=BB256_17 Depth=2
	v_subrev_u32_e32 v72, s36, v109
	v_lshlrev_b32_e32 v126, 1, v72
	v_add_u32_e32 v125, s53, v126
	v_add_u32_e32 v110, s53, v125
	ds_read_b128 v[100:103], v126
	ds_read_b128 v[96:99], v125
	v_add_u32_e32 v109, s53, v110
	ds_read_b128 v[92:95], v110
	ds_read_b128 v[88:91], v109
	v_cmp_gt_u32_e32 vcc, s20, v124
	v_mov_b32_e32 v85, 0
	v_mov_b32_e32 v84, 0
	;; [unrolled: 1-line block ×16, first 2 shown]
	s_and_saveexec_b64 s[34:35], vcc
	s_cbranch_execz .LBB256_14
; %bb.28:                               ;   in Loop: Header=BB256_17 Depth=2
	ds_read_b128 v[84:87], v126 offset:512
	ds_read_b128 v[80:83], v125 offset:512
	;; [unrolled: 1-line block ×4, first 2 shown]
	s_branch .LBB256_14
.LBB256_29:                             ;   in Loop: Header=BB256_12 Depth=1
	v_cmp_le_u32_e32 vcc, s23, v108
	s_and_saveexec_b64 s[6:7], vcc
	s_xor_b64 s[6:7], exec, s[6:7]
; %bb.30:                               ;   in Loop: Header=BB256_12 Depth=1
	v_add_u32_e32 v108, s46, v108
                                        ; implicit-def: $vgpr3
                                        ; implicit-def: $vgpr7
                                        ; implicit-def: $vgpr11
                                        ; implicit-def: $vgpr15
                                        ; implicit-def: $vgpr19
                                        ; implicit-def: $vgpr23
                                        ; implicit-def: $vgpr47
                                        ; implicit-def: $vgpr43
                                        ; implicit-def: $vgpr39
                                        ; implicit-def: $vgpr35
                                        ; implicit-def: $vgpr31
                                        ; implicit-def: $vgpr27
; %bb.31:                               ;   in Loop: Header=BB256_12 Depth=1
	s_andn2_saveexec_b64 s[34:35], s[6:7]
	s_cbranch_execz .LBB256_11
; %bb.32:                               ;   in Loop: Header=BB256_12 Depth=1
	v_cvt_i32_f32_e32 v41, v41
	v_cvt_i32_f32_e32 v42, v42
	;; [unrolled: 1-line block ×6, first 2 shown]
	v_cvt_f32_i32_dpp v41, v41 row_shl:1 row_mask:0xf bank_mask:0xf bound_ctrl:1
	v_cvt_f32_i32_dpp v42, v42 row_shl:2 row_mask:0xf bank_mask:0xf bound_ctrl:1
	;; [unrolled: 1-line block ×6, first 2 shown]
	v_add_f32_e32 v40, v40, v41
	v_add_f32_e32 v40, v40, v42
	;; [unrolled: 1-line block ×5, first 2 shown]
	v_cvt_i32_f32_e32 v41, v40
	v_add_f32_e32 v44, v44, v47
	v_cvt_i32_f32_e32 v45, v44
	v_cvt_i32_f32_e32 v37, v37
	v_cvt_f32_i32_dpp v41, v41 row_shl:4 row_mask:0xf bank_mask:0xf bound_ctrl:1
	v_cvt_i32_f32_e32 v38, v38
	v_cvt_f32_i32_dpp v45, v45 row_shl:4 row_mask:0xf bank_mask:0xf bound_ctrl:1
	v_cvt_i32_f32_e32 v39, v39
	v_add_f32_e32 v40, v40, v41
	v_cvt_i32_f32_e32 v41, v40
	v_add_f32_e32 v42, v44, v45
	v_cvt_i32_f32_e32 v43, v42
	v_cvt_f32_i32_dpp v37, v37 row_shl:1 row_mask:0xf bank_mask:0xf bound_ctrl:1
	v_cvt_f32_i32_dpp v38, v38 row_shl:2 row_mask:0xf bank_mask:0xf bound_ctrl:1
	;; [unrolled: 1-line block ×5, first 2 shown]
	v_add_f32_e32 v36, v36, v37
	v_add_f32_e32 v36, v36, v38
	;; [unrolled: 1-line block ×4, first 2 shown]
	v_cvt_i32_f32_e32 v40, v40
	v_cvt_i32_f32_e32 v36, v37
	v_add_f32_e32 v42, v42, v43
	v_cvt_i32_f32_e32 v42, v42
	v_cvt_i32_f32_e32 v33, v33
	;; [unrolled: 1-line block ×3, first 2 shown]
	v_cvt_f32_i32_dpp v39, v40 row_shr:15 row_mask:0xf bank_mask:0xf bound_ctrl:1
	v_cvt_f32_i32_dpp v40, v36 row_shl:4 row_mask:0xf bank_mask:0xf bound_ctrl:1
	v_cvt_i32_f32_e32 v35, v35
	v_cvt_f32_i32_dpp v42, v42 row_shr:15 row_mask:0xf bank_mask:0xf bound_ctrl:1
	v_cvt_f32_i32_dpp v33, v33 row_shl:1 row_mask:0xf bank_mask:0xf bound_ctrl:1
	v_cvt_f32_i32_dpp v34, v34 row_shl:2 row_mask:0xf bank_mask:0xf bound_ctrl:1
	v_add_f32_e32 v37, v37, v40
	v_cvt_f32_i32_dpp v35, v35 row_shl:3 row_mask:0xf bank_mask:0xf bound_ctrl:1
	v_cvt_i32_f32_e32 v40, v37
	v_cvt_i32_f32_e32 v41, v42
	v_add_f32_e32 v32, v32, v33
	v_add_f32_e32 v32, v32, v34
	v_add_f32_e32 v34, v32, v35
	v_cvt_i32_f32_e32 v29, v29
	v_cvt_f32_i32_dpp v40, v40 row_shl:8 row_mask:0xf bank_mask:0xf bound_ctrl:1
	v_cvt_i32_f32_e32 v32, v34
	v_cvt_i32_f32_e32 v30, v30
	v_cvt_f32_i32_dpp v38, v41 row_bcast:15 row_mask:0xf bank_mask:0xf bound_ctrl:1
	v_cvt_i32_f32_e32 v41, v39
	v_cvt_i32_f32_e32 v31, v31
	v_cvt_f32_i32_dpp v29, v29 row_shl:1 row_mask:0xf bank_mask:0xf bound_ctrl:1
	v_add_f32_e32 v33, v37, v40
	v_cvt_f32_i32_dpp v40, v32 row_shl:4 row_mask:0xf bank_mask:0xf bound_ctrl:1
	v_cvt_f32_i32_dpp v30, v30 row_shl:2 row_mask:0xf bank_mask:0xf bound_ctrl:1
	v_cvt_f32_i32_dpp v35, v41 row_bcast:15 row_mask:0xf bank_mask:0xf bound_ctrl:1
	v_cvt_i32_f32_e32 v37, v33
	v_cvt_f32_i32_dpp v31, v31 row_shl:3 row_mask:0xf bank_mask:0xf bound_ctrl:1
	v_add_f32_e32 v28, v28, v29
	v_add_f32_e32 v34, v34, v40
	;; [unrolled: 1-line block ×4, first 2 shown]
	v_cvt_f32_i32_dpp v35, v37 row_shr:15 row_mask:0xf bank_mask:0xf bound_ctrl:1
	v_cvt_i32_f32_e32 v37, v34
	v_add_f32_e32 v28, v28, v31
	v_cvt_i32_f32_e32 v29, v28
	v_cvt_i32_f32_e32 v30, v35
	v_cvt_f32_i32_dpp v37, v37 row_shl:8 row_mask:0xf bank_mask:0xf bound_ctrl:1
	v_cvt_i32_f32_e32 v25, v25
	v_cvt_f32_i32_dpp v29, v29 row_shl:4 row_mask:0xf bank_mask:0xf bound_ctrl:1
	v_cvt_i32_f32_e32 v26, v26
	v_add_f32_e32 v31, v34, v37
	v_cvt_i32_f32_e32 v31, v31
	v_cvt_f32_i32_dpp v30, v30 row_bcast:15 row_mask:0xf bank_mask:0xf bound_ctrl:1
	v_add_f32_e32 v37, v28, v29
	v_cvt_i32_f32_e32 v27, v27
	v_cvt_i32_f32_e32 v29, v37
	v_cvt_f32_i32_dpp v25, v25 row_shl:1 row_mask:0xf bank_mask:0xf bound_ctrl:1
	v_add_f32_e32 v36, v42, v38
	v_cvt_f32_i32_dpp v26, v26 row_shl:2 row_mask:0xf bank_mask:0xf bound_ctrl:1
	v_cvt_i32_f32_e32 v38, v36
	v_cvt_f32_i32_dpp v31, v31 row_shr:15 row_mask:0xf bank_mask:0xf bound_ctrl:1
	v_add_f32_e32 v28, v35, v30
	v_cvt_f32_i32_dpp v27, v27 row_shl:3 row_mask:0xf bank_mask:0xf bound_ctrl:1
	v_cvt_i32_f32_e32 v35, v28
	v_cvt_f32_i32_dpp v39, v29 row_shl:8 row_mask:0xf bank_mask:0xf bound_ctrl:1
	v_add_f32_e32 v24, v24, v25
	v_cvt_i32_f32_e32 v21, v21
	v_add_f32_e32 v24, v24, v26
	v_cvt_i32_f32_e32 v22, v22
	v_mov_b32_dpp v33, v38 row_bcast:31 row_mask:0xf bank_mask:0xf bound_ctrl:1
	v_cvt_i32_f32_e32 v34, v32
	v_cvt_i32_f32_e32 v38, v31
	v_add_f32_e32 v25, v24, v27
	v_cvt_i32_f32_e32 v23, v23
	v_mov_b32_dpp v29, v35 row_bcast:31 row_mask:0xf bank_mask:0xf bound_ctrl:1
	v_add_f32_e32 v35, v37, v39
	v_cvt_i32_f32_e32 v26, v25
	v_cvt_i32_f32_e32 v35, v35
	v_cvt_f32_i32_dpp v21, v21 row_shl:1 row_mask:0xf bank_mask:0xf bound_ctrl:1
	v_cvt_f32_i32_dpp v22, v22 row_shl:2 row_mask:0xf bank_mask:0xf bound_ctrl:1
	v_mov_b32_dpp v30, v34 row_bcast:31 row_mask:0xf bank_mask:0xf bound_ctrl:1
	v_cvt_f32_i32_dpp v34, v38 row_bcast:15 row_mask:0xf bank_mask:0xf bound_ctrl:1
	v_cvt_f32_i32_dpp v23, v23 row_shl:3 row_mask:0xf bank_mask:0xf bound_ctrl:1
	v_cvt_f32_i32_dpp v26, v26 row_shl:4 row_mask:0xf bank_mask:0xf bound_ctrl:1
	v_cvt_f32_i32_dpp v35, v35 row_shr:15 row_mask:0xf bank_mask:0xf bound_ctrl:1
	v_add_f32_e32 v20, v20, v21
	v_add_f32_e32 v20, v20, v22
	;; [unrolled: 1-line block ×4, first 2 shown]
	v_cvt_i32_f32_e32 v27, v24
	v_add_f32_e32 v25, v25, v26
	v_cvt_i32_f32_e32 v20, v22
	v_cvt_i32_f32_e32 v31, v35
	;; [unrolled: 1-line block ×3, first 2 shown]
	v_mov_b32_dpp v21, v27 row_bcast:31 row_mask:0xf bank_mask:0xf bound_ctrl:1
	v_cvt_f32_i32_dpp v27, v20 row_shl:4 row_mask:0xf bank_mask:0xf bound_ctrl:1
	v_cvt_f32_i32_dpp v23, v31 row_bcast:15 row_mask:0xf bank_mask:0xf bound_ctrl:1
	v_cvt_f32_i32_dpp v26, v26 row_shl:8 row_mask:0xf bank_mask:0xf bound_ctrl:1
	v_cvt_i32_f32_e32 v17, v17
	v_add_f32_e32 v22, v22, v27
	v_cvt_i32_f32_e32 v18, v18
	v_add_f32_e32 v20, v35, v23
	v_add_f32_e32 v23, v25, v26
	v_cvt_i32_f32_e32 v19, v19
	v_cvt_i32_f32_e32 v25, v22
	v_cvt_f32_i32_dpp v17, v17 row_shl:1 row_mask:0xf bank_mask:0xf bound_ctrl:1
	v_cvt_f32_i32_dpp v18, v18 row_shl:2 row_mask:0xf bank_mask:0xf bound_ctrl:1
	;; [unrolled: 1-line block ×4, first 2 shown]
	v_add_f32_e32 v16, v16, v17
	v_add_f32_e32 v16, v16, v18
	;; [unrolled: 1-line block ×4, first 2 shown]
	v_cvt_i32_f32_e32 v17, v16
	v_cvt_i32_f32_e32 v19, v19
	;; [unrolled: 1-line block ×5, first 2 shown]
	v_cvt_f32_i32_dpp v17, v17 row_shl:4 row_mask:0xf bank_mask:0xf bound_ctrl:1
	v_cvt_i32_f32_e32 v22, v20
	v_cvt_f32_i32_dpp v19, v19 row_shr:15 row_mask:0xf bank_mask:0xf bound_ctrl:1
	v_cvt_f32_i32_dpp v13, v13 row_shl:1 row_mask:0xf bank_mask:0xf bound_ctrl:1
	v_cvt_f32_i32_dpp v14, v14 row_shl:2 row_mask:0xf bank_mask:0xf bound_ctrl:1
	;; [unrolled: 1-line block ×3, first 2 shown]
	v_cvt_i32_f32_e32 v5, v5
	v_add_f32_e32 v25, v16, v17
	v_mov_b32_dpp v17, v22 row_bcast:31 row_mask:0xf bank_mask:0xf bound_ctrl:1
	v_cvt_i32_f32_e32 v22, v19
	v_add_f32_e32 v12, v12, v13
	v_cvt_i32_f32_e32 v9, v9
	v_cvt_i32_f32_e32 v1, v1
	v_add_f32_e32 v12, v12, v14
	v_cvt_i32_f32_e32 v10, v10
	v_cvt_i32_f32_e32 v6, v6
	;; [unrolled: 1-line block ×3, first 2 shown]
	v_add_f32_e32 v15, v12, v15
	v_cvt_i32_f32_e32 v11, v11
	v_cvt_f32_i32_dpp v5, v5 row_shl:1 row_mask:0xf bank_mask:0xf bound_ctrl:1
	v_cvt_i32_f32_e32 v7, v7
	v_cvt_i32_f32_e32 v3, v3
	v_cvt_f32_i32_dpp v22, v22 row_bcast:15 row_mask:0xf bank_mask:0xf bound_ctrl:1
	v_cvt_i32_f32_e32 v12, v15
	v_cvt_f32_i32_dpp v9, v9 row_shl:1 row_mask:0xf bank_mask:0xf bound_ctrl:1
	v_cvt_f32_i32_dpp v1, v1 row_shl:1 row_mask:0xf bank_mask:0xf bound_ctrl:1
	;; [unrolled: 1-line block ×6, first 2 shown]
	v_add_f32_e32 v4, v4, v5
	v_cvt_f32_i32_dpp v5, v7 row_shl:3 row_mask:0xf bank_mask:0xf bound_ctrl:1
	v_cvt_f32_i32_dpp v3, v3 row_shl:3 row_mask:0xf bank_mask:0xf bound_ctrl:1
	v_add_f32_e32 v13, v19, v22
	v_cvt_f32_i32_dpp v19, v12 row_shl:4 row_mask:0xf bank_mask:0xf bound_ctrl:1
	v_add_f32_e32 v8, v8, v9
	v_add_f32_e32 v0, v0, v1
	;; [unrolled: 1-line block ×9, first 2 shown]
	v_cvt_i32_f32_e32 v11, v9
	v_cvt_i32_f32_e32 v5, v4
	;; [unrolled: 1-line block ×5, first 2 shown]
	v_cvt_f32_i32_dpp v11, v11 row_shl:4 row_mask:0xf bank_mask:0xf bound_ctrl:1
	v_cvt_f32_i32_dpp v3, v5 row_shl:4 row_mask:0xf bank_mask:0xf bound_ctrl:1
	;; [unrolled: 1-line block ×3, first 2 shown]
	v_cvt_f32_i32_dpp v18, v23 row_shr:15 row_mask:0xf bank_mask:0xf bound_ctrl:1
	v_cvt_f32_i32_dpp v19, v19 row_shl:8 row_mask:0xf bank_mask:0xf bound_ctrl:1
	v_add_f32_e32 v9, v9, v11
	v_add_f32_e32 v3, v4, v3
	;; [unrolled: 1-line block ×3, first 2 shown]
	v_cvt_i32_f32_e32 v23, v18
	v_cvt_i32_f32_e32 v16, v25
	v_add_f32_e32 v15, v15, v19
	v_cvt_i32_f32_e32 v11, v9
	v_cvt_i32_f32_e32 v4, v3
	;; [unrolled: 1-line block ×4, first 2 shown]
	v_cvt_f32_i32_dpp v23, v23 row_bcast:15 row_mask:0xf bank_mask:0xf bound_ctrl:1
	v_cvt_f32_i32_dpp v26, v16 row_shl:8 row_mask:0xf bank_mask:0xf bound_ctrl:1
	v_cvt_f32_i32_dpp v2, v11 row_shl:8 row_mask:0xf bank_mask:0xf bound_ctrl:1
	;; [unrolled: 1-line block ×4, first 2 shown]
	v_cvt_f32_i32_dpp v5, v15 row_shr:15 row_mask:0xf bank_mask:0xf bound_ctrl:1
	v_add_f32_e32 v16, v18, v23
	v_add_f32_e32 v23, v25, v26
	;; [unrolled: 1-line block ×5, first 2 shown]
	v_cvt_i32_f32_e32 v23, v23
	v_cvt_i32_f32_e32 v2, v2
	;; [unrolled: 1-line block ×5, first 2 shown]
	v_cvt_f32_i32_dpp v23, v23 row_shr:15 row_mask:0xf bank_mask:0xf bound_ctrl:1
	v_cvt_f32_i32_dpp v2, v2 row_shr:15 row_mask:0xf bank_mask:0xf bound_ctrl:1
	v_cvt_f32_i32_dpp v1, v6 row_bcast:15 row_mask:0xf bank_mask:0xf bound_ctrl:1
	v_cvt_f32_i32_dpp v3, v3 row_shr:15 row_mask:0xf bank_mask:0xf bound_ctrl:1
	v_cvt_f32_i32_dpp v0, v0 row_shr:15 row_mask:0xf bank_mask:0xf bound_ctrl:1
	v_cvt_i32_f32_e32 v18, v16
	v_cvt_i32_f32_e32 v25, v23
	;; [unrolled: 1-line block ×3, first 2 shown]
	v_add_f32_e32 v7, v5, v1
	v_cvt_i32_f32_e32 v1, v3
	v_cvt_i32_f32_e32 v5, v0
	v_mov_b32_dpp v14, v18 row_bcast:31 row_mask:0xf bank_mask:0xf bound_ctrl:1
	v_cvt_f32_i32_dpp v18, v25 row_bcast:15 row_mask:0xf bank_mask:0xf bound_ctrl:1
	v_cvt_f32_i32_dpp v4, v4 row_bcast:15 row_mask:0xf bank_mask:0xf bound_ctrl:1
	;; [unrolled: 1-line block ×4, first 2 shown]
	v_add_f32_e32 v12, v23, v18
	v_add_f32_e32 v4, v2, v4
	;; [unrolled: 1-line block ×4, first 2 shown]
	v_cvt_i32_f32_e32 v22, v13
	v_cvt_i32_f32_e32 v18, v12
	;; [unrolled: 1-line block ×6, first 2 shown]
	v_mov_b32_dpp v10, v22 row_bcast:31 row_mask:0xf bank_mask:0xf bound_ctrl:1
	v_mov_b32_dpp v8, v18 row_bcast:31 row_mask:0xf bank_mask:0xf bound_ctrl:1
	;; [unrolled: 1-line block ×6, first 2 shown]
	s_and_saveexec_b64 s[36:37], s[0:1]
	s_cbranch_execz .LBB256_107
; %bb.33:                               ;   in Loop: Header=BB256_12 Depth=1
	s_andn2_b64 vcc, exec, s[28:29]
	v_mov_b32_e32 v34, 0
	v_add_u32_e32 v110, 2, v108
	v_mov_b32_e32 v31, 0
	v_mov_b32_e32 v27, 0
	;; [unrolled: 1-line block ×11, first 2 shown]
	s_cbranch_vccnz .LBB256_35
; %bb.34:                               ;   in Loop: Header=BB256_12 Depth=1
	v_mul_hi_u32 v6, v108, v113
	v_mul_lo_u32 v6, v6, s12
	v_sub_u32_e32 v6, v108, v6
	v_subrev_u32_e32 v11, s12, v6
	v_cmp_le_u32_e32 vcc, s12, v6
	v_mov_b32_e32 v23, v111
	v_mov_b32_e32 v19, v111
	v_cndmask_b32_e32 v6, v6, v11, vcc
	v_subrev_u32_e32 v11, s12, v6
	v_cmp_le_u32_e32 vcc, s12, v6
	v_mov_b32_e32 v41, v111
	v_mov_b32_e32 v45, v111
	v_cndmask_b32_e32 v18, v6, v11, vcc
	v_add_u32_e32 v6, 1, v108
	v_mul_hi_u32 v11, v6, v113
	v_mul_lo_u32 v11, v11, s12
	v_sub_u32_e32 v6, v6, v11
	v_subrev_u32_e32 v11, s12, v6
	v_cmp_le_u32_e32 vcc, s12, v6
	v_add_u32_e32 v22, s47, v18
	v_lshl_add_u64 v[48:49], v[22:23], 1, s[18:19]
	v_cndmask_b32_e32 v6, v6, v11, vcc
	v_subrev_u32_e32 v11, s12, v6
	v_cmp_le_u32_e32 vcc, s12, v6
	v_lshl_add_u64 v[38:39], v[18:19], 1, s[18:19]
	s_nop 0
	v_cndmask_b32_e32 v40, v6, v11, vcc
	v_mul_hi_u32 v6, v110, v113
	v_mul_lo_u32 v6, v6, s12
	v_sub_u32_e32 v6, v110, v6
	v_subrev_u32_e32 v11, s12, v6
	v_cmp_le_u32_e32 vcc, s12, v6
	v_add_u32_e32 v22, s47, v40
	v_lshl_add_u64 v[50:51], v[22:23], 1, s[18:19]
	v_cndmask_b32_e32 v6, v6, v11, vcc
	v_subrev_u32_e32 v11, s12, v6
	v_cmp_le_u32_e32 vcc, s12, v6
	v_lshl_add_u64 v[42:43], v[40:41], 1, s[18:19]
	s_nop 0
	v_cndmask_b32_e32 v44, v6, v11, vcc
	v_add_u32_e32 v22, s47, v44
	v_lshl_add_u64 v[52:53], v[22:23], 1, s[18:19]
	v_add_u32_e32 v22, s48, v18
	v_lshl_add_u64 v[54:55], v[22:23], 1, s[18:19]
	;; [unrolled: 2-line block ×3, first 2 shown]
	v_lshl_add_u64 v[56:57], v[22:23], 1, s[18:19]
	global_load_ushort v34, v[38:39], off
	global_load_ushort v31, v[42:43], off
	;; [unrolled: 1-line block ×8, first 2 shown]
	v_add_u32_e32 v38, s48, v44
	v_mov_b32_e32 v39, v111
	v_lshl_add_u64 v[38:39], v[38:39], 1, s[18:19]
	v_add_u32_e32 v42, s49, v18
	v_mov_b32_e32 v43, v111
	v_add_u32_e32 v40, s49, v40
	v_add_u32_e32 v44, s49, v44
	v_lshl_add_u64 v[42:43], v[42:43], 1, s[18:19]
	v_lshl_add_u64 v[40:41], v[40:41], 1, s[18:19]
	;; [unrolled: 1-line block ×3, first 2 shown]
	global_load_ushort v18, v[38:39], off
	global_load_ushort v15, v[42:43], off
	;; [unrolled: 1-line block ×4, first 2 shown]
.LBB256_35:                             ;   in Loop: Header=BB256_12 Depth=1
	v_cmp_ne_u32_e32 vcc, 0, v104
	s_and_saveexec_b64 s[8:9], vcc
	s_cbranch_execnz .LBB256_47
; %bb.36:                               ;   in Loop: Header=BB256_12 Depth=1
	s_or_b64 exec, exec, s[8:9]
	v_cmp_ne_u32_e64 s[6:7], 0, v105
	s_and_saveexec_b64 s[10:11], s[6:7]
	s_cbranch_execnz .LBB256_52
.LBB256_37:                             ;   in Loop: Header=BB256_12 Depth=1
	s_or_b64 exec, exec, s[10:11]
	v_cmp_ne_u32_e64 s[8:9], 0, v106
	s_and_saveexec_b64 s[38:39], s[8:9]
	s_cbranch_execnz .LBB256_57
.LBB256_38:                             ;   in Loop: Header=BB256_12 Depth=1
	s_or_b64 exec, exec, s[38:39]
	v_add_u32_e32 v110, s23, v108
	s_and_saveexec_b64 s[38:39], vcc
	s_cbranch_execnz .LBB256_62
.LBB256_39:                             ;   in Loop: Header=BB256_12 Depth=1
	s_or_b64 exec, exec, s[38:39]
	s_and_saveexec_b64 s[38:39], s[6:7]
	s_cbranch_execnz .LBB256_67
.LBB256_40:                             ;   in Loop: Header=BB256_12 Depth=1
	s_or_b64 exec, exec, s[38:39]
	s_and_saveexec_b64 s[38:39], s[8:9]
	s_cbranch_execnz .LBB256_72
.LBB256_41:                             ;   in Loop: Header=BB256_12 Depth=1
	s_or_b64 exec, exec, s[38:39]
	v_add_u32_e32 v110, s23, v110
	s_and_saveexec_b64 s[38:39], vcc
	s_cbranch_execnz .LBB256_77
.LBB256_42:                             ;   in Loop: Header=BB256_12 Depth=1
	s_or_b64 exec, exec, s[38:39]
	s_and_saveexec_b64 s[38:39], s[6:7]
	s_cbranch_execnz .LBB256_82
.LBB256_43:                             ;   in Loop: Header=BB256_12 Depth=1
	s_or_b64 exec, exec, s[38:39]
	s_and_saveexec_b64 s[38:39], s[8:9]
	s_cbranch_execnz .LBB256_87
.LBB256_44:                             ;   in Loop: Header=BB256_12 Depth=1
	s_or_b64 exec, exec, s[38:39]
	v_add_u32_e32 v110, s23, v110
	s_and_saveexec_b64 s[10:11], vcc
	s_cbranch_execnz .LBB256_92
.LBB256_45:                             ;   in Loop: Header=BB256_12 Depth=1
	s_or_b64 exec, exec, s[10:11]
	s_and_saveexec_b64 s[10:11], s[6:7]
	s_cbranch_execnz .LBB256_97
.LBB256_46:                             ;   in Loop: Header=BB256_12 Depth=1
	s_or_b64 exec, exec, s[10:11]
	s_and_b64 exec, exec, s[8:9]
	s_cbranch_execnz .LBB256_102
	s_branch .LBB256_107
.LBB256_47:                             ;   in Loop: Header=BB256_12 Depth=1
	v_cvt_f32_i32_e32 v33, v33
	s_waitcnt vmcnt(11)
	v_lshlrev_b32_e32 v34, 16, v34
	v_add_f32_e32 v33, v36, v33
	v_add_f32_e32 v34, v33, v34
	v_and_b32_e32 v33, 0x7f800000, v34
	v_cmp_ne_u32_e64 s[6:7], s54, v33
                                        ; implicit-def: $vgpr33
	s_and_saveexec_b64 s[10:11], s[6:7]
	s_xor_b64 s[6:7], exec, s[10:11]
; %bb.48:                               ;   in Loop: Header=BB256_12 Depth=1
	v_bfe_u32 v33, v34, 16, 1
	v_add3_u32 v33, v34, v33, s55
                                        ; implicit-def: $vgpr34
; %bb.49:                               ;   in Loop: Header=BB256_12 Depth=1
	s_andn2_saveexec_b64 s[10:11], s[6:7]
; %bb.50:                               ;   in Loop: Header=BB256_12 Depth=1
	v_or_b32_e32 v33, 0x10000, v34
	v_cmp_eq_u32_sdwa s[6:7], v34, v111 src0_sel:WORD_0 src1_sel:DWORD
	s_nop 1
	v_cndmask_b32_e64 v33, v33, v34, s[6:7]
; %bb.51:                               ;   in Loop: Header=BB256_12 Depth=1
	s_or_b64 exec, exec, s[10:11]
	v_mov_b32_e32 v109, v111
	v_lshl_add_u64 v[34:35], v[108:109], 1, s[24:25]
	global_store_short_d16_hi v[34:35], v33, off
	s_or_b64 exec, exec, s[8:9]
	v_cmp_ne_u32_e64 s[6:7], 0, v105
	s_and_saveexec_b64 s[10:11], s[6:7]
	s_cbranch_execz .LBB256_37
.LBB256_52:                             ;   in Loop: Header=BB256_12 Depth=1
	v_cvt_f32_i32_e32 v30, v30
	s_waitcnt vmcnt(10)
	v_lshlrev_b32_e32 v31, 16, v31
	v_add_f32_e32 v30, v32, v30
	v_add_f32_e32 v31, v30, v31
	v_and_b32_e32 v30, 0x7f800000, v31
	v_cmp_ne_u32_e64 s[8:9], s54, v30
                                        ; implicit-def: $vgpr30
	s_and_saveexec_b64 s[38:39], s[8:9]
	s_xor_b64 s[8:9], exec, s[38:39]
; %bb.53:                               ;   in Loop: Header=BB256_12 Depth=1
	v_bfe_u32 v30, v31, 16, 1
	v_add3_u32 v30, v31, v30, s55
                                        ; implicit-def: $vgpr31
; %bb.54:                               ;   in Loop: Header=BB256_12 Depth=1
	s_andn2_saveexec_b64 s[38:39], s[8:9]
; %bb.55:                               ;   in Loop: Header=BB256_12 Depth=1
	v_or_b32_e32 v30, 0x10000, v31
	v_cmp_eq_u32_sdwa s[8:9], v31, v111 src0_sel:WORD_0 src1_sel:DWORD
	s_nop 1
	v_cndmask_b32_e64 v30, v30, v31, s[8:9]
; %bb.56:                               ;   in Loop: Header=BB256_12 Depth=1
	s_or_b64 exec, exec, s[38:39]
	v_mov_b32_e32 v109, v111
	v_lshl_add_u64 v[32:33], v[108:109], 1, s[30:31]
	global_store_short_d16_hi v[32:33], v30, off
	s_or_b64 exec, exec, s[10:11]
	v_cmp_ne_u32_e64 s[8:9], 0, v106
	s_and_saveexec_b64 s[38:39], s[8:9]
	s_cbranch_execz .LBB256_38
.LBB256_57:                             ;   in Loop: Header=BB256_12 Depth=1
	v_cvt_f32_i32_e32 v29, v29
	s_waitcnt vmcnt(9)
	v_lshlrev_b32_e32 v27, 16, v27
	v_add_f32_e32 v28, v28, v29
	v_add_f32_e32 v28, v28, v27
	v_and_b32_e32 v27, 0x7f800000, v28
	v_cmp_ne_u32_e64 s[10:11], s54, v27
                                        ; implicit-def: $vgpr27
	s_and_saveexec_b64 s[40:41], s[10:11]
	s_xor_b64 s[10:11], exec, s[40:41]
; %bb.58:                               ;   in Loop: Header=BB256_12 Depth=1
	v_bfe_u32 v27, v28, 16, 1
	v_add3_u32 v27, v28, v27, s55
                                        ; implicit-def: $vgpr28
; %bb.59:                               ;   in Loop: Header=BB256_12 Depth=1
	s_andn2_saveexec_b64 s[40:41], s[10:11]
; %bb.60:                               ;   in Loop: Header=BB256_12 Depth=1
	v_or_b32_e32 v27, 0x10000, v28
	v_cmp_eq_u32_sdwa s[10:11], v28, v111 src0_sel:WORD_0 src1_sel:DWORD
	s_nop 1
	v_cndmask_b32_e64 v27, v27, v28, s[10:11]
; %bb.61:                               ;   in Loop: Header=BB256_12 Depth=1
	s_or_b64 exec, exec, s[40:41]
	v_lshl_add_u64 v[28:29], v[110:111], 1, s[24:25]
	global_store_short_d16_hi v[28:29], v27, off
	s_or_b64 exec, exec, s[38:39]
	v_add_u32_e32 v110, s23, v108
	s_and_saveexec_b64 s[38:39], vcc
	s_cbranch_execz .LBB256_39
.LBB256_62:                             ;   in Loop: Header=BB256_12 Depth=1
	v_cvt_f32_i32_e32 v21, v21
	v_add_f32_e32 v21, v24, v21
	s_waitcnt vmcnt(8)
	v_lshlrev_b32_e32 v24, 16, v26
	v_add_f32_e32 v24, v21, v24
	v_and_b32_e32 v21, 0x7f800000, v24
	v_cmp_ne_u32_e64 s[10:11], s54, v21
                                        ; implicit-def: $vgpr21
	s_and_saveexec_b64 s[40:41], s[10:11]
	s_xor_b64 s[10:11], exec, s[40:41]
; %bb.63:                               ;   in Loop: Header=BB256_12 Depth=1
	v_bfe_u32 v21, v24, 16, 1
	v_add3_u32 v21, v24, v21, s55
                                        ; implicit-def: $vgpr24
; %bb.64:                               ;   in Loop: Header=BB256_12 Depth=1
	s_andn2_saveexec_b64 s[40:41], s[10:11]
; %bb.65:                               ;   in Loop: Header=BB256_12 Depth=1
	v_or_b32_e32 v21, 0x10000, v24
	v_cmp_eq_u32_sdwa s[10:11], v24, v111 src0_sel:WORD_0 src1_sel:DWORD
	s_nop 1
	v_cndmask_b32_e64 v21, v21, v24, s[10:11]
; %bb.66:                               ;   in Loop: Header=BB256_12 Depth=1
	s_or_b64 exec, exec, s[40:41]
	v_lshl_add_u64 v[26:27], v[110:111], 1, s[24:25]
	global_store_short_d16_hi v[26:27], v21, off
	s_or_b64 exec, exec, s[38:39]
	s_and_saveexec_b64 s[38:39], s[6:7]
	s_cbranch_execz .LBB256_40
.LBB256_67:                             ;   in Loop: Header=BB256_12 Depth=1
	v_cvt_f32_i32_e32 v17, v17
	v_add_f32_e32 v17, v20, v17
	s_waitcnt vmcnt(7)
	v_lshlrev_b32_e32 v20, 16, v25
	v_add_f32_e32 v20, v17, v20
	v_and_b32_e32 v17, 0x7f800000, v20
	v_cmp_ne_u32_e64 s[10:11], s54, v17
                                        ; implicit-def: $vgpr17
	s_and_saveexec_b64 s[40:41], s[10:11]
	s_xor_b64 s[10:11], exec, s[40:41]
; %bb.68:                               ;   in Loop: Header=BB256_12 Depth=1
	v_bfe_u32 v17, v20, 16, 1
	v_add3_u32 v17, v20, v17, s55
                                        ; implicit-def: $vgpr20
; %bb.69:                               ;   in Loop: Header=BB256_12 Depth=1
	s_andn2_saveexec_b64 s[40:41], s[10:11]
; %bb.70:                               ;   in Loop: Header=BB256_12 Depth=1
	v_or_b32_e32 v17, 0x10000, v20
	v_cmp_eq_u32_sdwa s[10:11], v20, v111 src0_sel:WORD_0 src1_sel:DWORD
	s_nop 1
	v_cndmask_b32_e64 v17, v17, v20, s[10:11]
; %bb.71:                               ;   in Loop: Header=BB256_12 Depth=1
	s_or_b64 exec, exec, s[40:41]
	v_add_u32_e32 v20, 1, v110
	v_mov_b32_e32 v21, v111
	v_lshl_add_u64 v[20:21], v[20:21], 1, s[24:25]
	global_store_short_d16_hi v[20:21], v17, off
	s_or_b64 exec, exec, s[38:39]
	s_and_saveexec_b64 s[38:39], s[8:9]
	s_cbranch_execz .LBB256_41
.LBB256_72:                             ;   in Loop: Header=BB256_12 Depth=1
	v_cvt_f32_i32_e32 v14, v14
	v_add_f32_e32 v14, v16, v14
	s_waitcnt vmcnt(6)
	v_lshlrev_b32_e32 v16, 16, v23
	v_add_f32_e32 v16, v14, v16
	v_and_b32_e32 v14, 0x7f800000, v16
	v_cmp_ne_u32_e64 s[10:11], s54, v14
                                        ; implicit-def: $vgpr14
	s_and_saveexec_b64 s[40:41], s[10:11]
	s_xor_b64 s[10:11], exec, s[40:41]
; %bb.73:                               ;   in Loop: Header=BB256_12 Depth=1
	v_bfe_u32 v14, v16, 16, 1
	v_add3_u32 v14, v16, v14, s55
                                        ; implicit-def: $vgpr16
; %bb.74:                               ;   in Loop: Header=BB256_12 Depth=1
	s_andn2_saveexec_b64 s[40:41], s[10:11]
; %bb.75:                               ;   in Loop: Header=BB256_12 Depth=1
	v_or_b32_e32 v14, 0x10000, v16
	v_cmp_eq_u32_sdwa s[10:11], v16, v111 src0_sel:WORD_0 src1_sel:DWORD
	s_nop 1
	v_cndmask_b32_e64 v14, v14, v16, s[10:11]
; %bb.76:                               ;   in Loop: Header=BB256_12 Depth=1
	s_or_b64 exec, exec, s[40:41]
	v_add_u32_e32 v16, 2, v110
	v_mov_b32_e32 v17, v111
	v_lshl_add_u64 v[16:17], v[16:17], 1, s[24:25]
	global_store_short_d16_hi v[16:17], v14, off
	s_or_b64 exec, exec, s[38:39]
	v_add_u32_e32 v110, s23, v110
	s_and_saveexec_b64 s[38:39], vcc
	s_cbranch_execz .LBB256_42
.LBB256_77:                             ;   in Loop: Header=BB256_12 Depth=1
	v_cvt_f32_i32_e32 v10, v10
	v_add_f32_e32 v10, v13, v10
	s_waitcnt vmcnt(5)
	v_lshlrev_b32_e32 v13, 16, v22
	v_add_f32_e32 v13, v10, v13
	v_and_b32_e32 v10, 0x7f800000, v13
	v_cmp_ne_u32_e64 s[10:11], s54, v10
                                        ; implicit-def: $vgpr10
	s_and_saveexec_b64 s[40:41], s[10:11]
	s_xor_b64 s[10:11], exec, s[40:41]
; %bb.78:                               ;   in Loop: Header=BB256_12 Depth=1
	v_bfe_u32 v10, v13, 16, 1
	v_add3_u32 v10, v13, v10, s55
                                        ; implicit-def: $vgpr13
; %bb.79:                               ;   in Loop: Header=BB256_12 Depth=1
	s_andn2_saveexec_b64 s[40:41], s[10:11]
; %bb.80:                               ;   in Loop: Header=BB256_12 Depth=1
	v_or_b32_e32 v10, 0x10000, v13
	v_cmp_eq_u32_sdwa s[10:11], v13, v111 src0_sel:WORD_0 src1_sel:DWORD
	s_nop 1
	v_cndmask_b32_e64 v10, v10, v13, s[10:11]
; %bb.81:                               ;   in Loop: Header=BB256_12 Depth=1
	s_or_b64 exec, exec, s[40:41]
	v_lshl_add_u64 v[16:17], v[110:111], 1, s[24:25]
	global_store_short_d16_hi v[16:17], v10, off
	s_or_b64 exec, exec, s[38:39]
	s_and_saveexec_b64 s[38:39], s[6:7]
	s_cbranch_execz .LBB256_43
.LBB256_82:                             ;   in Loop: Header=BB256_12 Depth=1
	v_cvt_f32_i32_e32 v8, v8
	s_waitcnt vmcnt(4)
	v_lshlrev_b32_e32 v10, 16, v19
	v_add_f32_e32 v8, v12, v8
	v_add_f32_e32 v10, v8, v10
	v_and_b32_e32 v8, 0x7f800000, v10
	v_cmp_ne_u32_e64 s[10:11], s54, v8
                                        ; implicit-def: $vgpr8
	s_and_saveexec_b64 s[40:41], s[10:11]
	s_xor_b64 s[10:11], exec, s[40:41]
; %bb.83:                               ;   in Loop: Header=BB256_12 Depth=1
	v_bfe_u32 v8, v10, 16, 1
	v_add3_u32 v8, v10, v8, s55
                                        ; implicit-def: $vgpr10
; %bb.84:                               ;   in Loop: Header=BB256_12 Depth=1
	s_andn2_saveexec_b64 s[40:41], s[10:11]
; %bb.85:                               ;   in Loop: Header=BB256_12 Depth=1
	v_or_b32_e32 v8, 0x10000, v10
	v_cmp_eq_u32_sdwa s[10:11], v10, v111 src0_sel:WORD_0 src1_sel:DWORD
	s_nop 1
	v_cndmask_b32_e64 v8, v8, v10, s[10:11]
; %bb.86:                               ;   in Loop: Header=BB256_12 Depth=1
	s_or_b64 exec, exec, s[40:41]
	v_add_u32_e32 v12, 1, v110
	v_mov_b32_e32 v13, v111
	v_lshl_add_u64 v[12:13], v[12:13], 1, s[24:25]
	global_store_short_d16_hi v[12:13], v8, off
	s_or_b64 exec, exec, s[38:39]
	s_and_saveexec_b64 s[38:39], s[8:9]
	s_cbranch_execz .LBB256_44
.LBB256_87:                             ;   in Loop: Header=BB256_12 Depth=1
	v_cvt_f32_i32_e32 v8, v9
	v_add_f32_e32 v7, v7, v8
	s_waitcnt vmcnt(3)
	v_lshlrev_b32_e32 v8, 16, v18
	v_add_f32_e32 v8, v7, v8
	v_and_b32_e32 v7, 0x7f800000, v8
	v_cmp_ne_u32_e64 s[10:11], s54, v7
                                        ; implicit-def: $vgpr7
	s_and_saveexec_b64 s[40:41], s[10:11]
	s_xor_b64 s[10:11], exec, s[40:41]
; %bb.88:                               ;   in Loop: Header=BB256_12 Depth=1
	v_bfe_u32 v7, v8, 16, 1
	v_add3_u32 v7, v8, v7, s55
                                        ; implicit-def: $vgpr8
; %bb.89:                               ;   in Loop: Header=BB256_12 Depth=1
	s_andn2_saveexec_b64 s[40:41], s[10:11]
; %bb.90:                               ;   in Loop: Header=BB256_12 Depth=1
	v_or_b32_e32 v7, 0x10000, v8
	v_cmp_eq_u32_sdwa s[10:11], v8, v111 src0_sel:WORD_0 src1_sel:DWORD
	s_nop 1
	v_cndmask_b32_e64 v7, v7, v8, s[10:11]
; %bb.91:                               ;   in Loop: Header=BB256_12 Depth=1
	s_or_b64 exec, exec, s[40:41]
	v_add_u32_e32 v8, 2, v110
	v_mov_b32_e32 v9, v111
	v_lshl_add_u64 v[8:9], v[8:9], 1, s[24:25]
	global_store_short_d16_hi v[8:9], v7, off
	s_or_b64 exec, exec, s[38:39]
	v_add_u32_e32 v110, s23, v110
	s_and_saveexec_b64 s[10:11], vcc
	s_cbranch_execz .LBB256_45
.LBB256_92:                             ;   in Loop: Header=BB256_12 Depth=1
	v_cvt_f32_i32_e32 v5, v5
	v_add_f32_e32 v4, v4, v5
	s_waitcnt vmcnt(2)
	v_lshlrev_b32_e32 v5, 16, v15
	v_add_f32_e32 v5, v4, v5
	v_and_b32_e32 v4, 0x7f800000, v5
	v_cmp_ne_u32_e32 vcc, s54, v4
                                        ; implicit-def: $vgpr4
	s_and_saveexec_b64 s[38:39], vcc
	s_xor_b64 s[38:39], exec, s[38:39]
; %bb.93:                               ;   in Loop: Header=BB256_12 Depth=1
	v_bfe_u32 v4, v5, 16, 1
	v_add3_u32 v4, v5, v4, s55
                                        ; implicit-def: $vgpr5
; %bb.94:                               ;   in Loop: Header=BB256_12 Depth=1
	s_andn2_saveexec_b64 s[38:39], s[38:39]
; %bb.95:                               ;   in Loop: Header=BB256_12 Depth=1
	v_or_b32_e32 v4, 0x10000, v5
	v_cmp_eq_u32_sdwa vcc, v5, v111 src0_sel:WORD_0 src1_sel:DWORD
	s_nop 1
	v_cndmask_b32_e32 v4, v4, v5, vcc
; %bb.96:                               ;   in Loop: Header=BB256_12 Depth=1
	s_or_b64 exec, exec, s[38:39]
	v_lshl_add_u64 v[8:9], v[110:111], 1, s[24:25]
	global_store_short_d16_hi v[8:9], v4, off
	s_or_b64 exec, exec, s[10:11]
	s_and_saveexec_b64 s[10:11], s[6:7]
	s_cbranch_execz .LBB256_46
.LBB256_97:                             ;   in Loop: Header=BB256_12 Depth=1
	v_cvt_f32_i32_e32 v3, v3
	v_add_f32_e32 v2, v2, v3
	s_waitcnt vmcnt(1)
	v_lshlrev_b32_e32 v3, 16, v11
	v_add_f32_e32 v3, v2, v3
	v_and_b32_e32 v2, 0x7f800000, v3
	v_cmp_ne_u32_e32 vcc, s54, v2
                                        ; implicit-def: $vgpr2
	s_and_saveexec_b64 s[6:7], vcc
	s_xor_b64 s[6:7], exec, s[6:7]
; %bb.98:                               ;   in Loop: Header=BB256_12 Depth=1
	v_bfe_u32 v2, v3, 16, 1
	v_add3_u32 v2, v3, v2, s55
                                        ; implicit-def: $vgpr3
; %bb.99:                               ;   in Loop: Header=BB256_12 Depth=1
	s_andn2_saveexec_b64 s[6:7], s[6:7]
; %bb.100:                              ;   in Loop: Header=BB256_12 Depth=1
	v_or_b32_e32 v2, 0x10000, v3
	v_cmp_eq_u32_sdwa vcc, v3, v111 src0_sel:WORD_0 src1_sel:DWORD
	s_nop 1
	v_cndmask_b32_e32 v2, v2, v3, vcc
; %bb.101:                              ;   in Loop: Header=BB256_12 Depth=1
	s_or_b64 exec, exec, s[6:7]
	v_add_u32_e32 v4, 1, v110
	v_mov_b32_e32 v5, v111
	v_lshl_add_u64 v[4:5], v[4:5], 1, s[24:25]
	global_store_short_d16_hi v[4:5], v2, off
	s_or_b64 exec, exec, s[10:11]
	s_and_b64 exec, exec, s[8:9]
	s_cbranch_execz .LBB256_107
.LBB256_102:                            ;   in Loop: Header=BB256_12 Depth=1
	v_cvt_f32_i32_e32 v1, v1
	v_add_f32_e32 v0, v0, v1
	s_waitcnt vmcnt(0)
	v_lshlrev_b32_e32 v1, 16, v6
	v_add_f32_e32 v1, v0, v1
	v_and_b32_e32 v0, 0x7f800000, v1
	v_cmp_ne_u32_e32 vcc, s54, v0
                                        ; implicit-def: $vgpr0
	s_and_saveexec_b64 s[6:7], vcc
	s_xor_b64 s[6:7], exec, s[6:7]
; %bb.103:                              ;   in Loop: Header=BB256_12 Depth=1
	v_bfe_u32 v0, v1, 16, 1
	v_add3_u32 v0, v1, v0, s55
                                        ; implicit-def: $vgpr1
; %bb.104:                              ;   in Loop: Header=BB256_12 Depth=1
	s_andn2_saveexec_b64 s[6:7], s[6:7]
; %bb.105:                              ;   in Loop: Header=BB256_12 Depth=1
	v_or_b32_e32 v0, 0x10000, v1
	v_cmp_eq_u32_sdwa vcc, v1, v111 src0_sel:WORD_0 src1_sel:DWORD
	s_nop 1
	v_cndmask_b32_e32 v0, v0, v1, vcc
; %bb.106:                              ;   in Loop: Header=BB256_12 Depth=1
	s_or_b64 exec, exec, s[6:7]
	v_add_u32_e32 v110, 2, v110
	v_lshl_add_u64 v[2:3], v[110:111], 1, s[24:25]
	global_store_short_d16_hi v[2:3], v0, off
.LBB256_107:                            ;   in Loop: Header=BB256_12 Depth=1
	s_or_b64 exec, exec, s[36:37]
	v_add_u32_e32 v108, s46, v108
	v_add_u32_e32 v0, 3, v108
	v_cmp_gt_u32_e32 vcc, s23, v108
	v_cmp_le_u32_e64 s[6:7], s23, v0
	s_and_b64 s[6:7], vcc, s[6:7]
	s_and_saveexec_b64 s[8:9], s[6:7]
	s_cbranch_execz .LBB256_10
; %bb.108:                              ;   in Loop: Header=BB256_12 Depth=1
	v_cmp_ne_u32_e32 vcc, s13, v108
	s_and_saveexec_b64 s[10:11], vcc
	s_cbranch_execz .LBB256_9
; %bb.109:                              ;   in Loop: Header=BB256_12 Depth=1
	v_subrev_u32_e32 v0, s13, v108
	v_cmp_lt_u32_e32 vcc, 1, v0
	s_mov_b64 s[36:37], 0
	s_mov_b64 s[38:39], 0
	v_cndmask_b32_e32 v0, 1, v0, vcc
.LBB256_110:                            ;   Parent Loop BB256_12 Depth=1
                                        ; =>  This Inner Loop Header: Depth=2
	s_cmp_lg_u32 s38, 2
	s_cselect_b64 vcc, -1, 0
	s_cmp_lg_u32 s38, 1
	v_cndmask_b32_e32 v106, 0, v106, vcc
	s_cselect_b64 vcc, -1, 0
	s_cmp_lg_u32 s38, 0
	v_cndmask_b32_e32 v105, 0, v105, vcc
	s_cselect_b64 vcc, -1, 0
	s_add_u32 s38, s38, 1
	s_addc_u32 s39, s39, 0
	v_cmp_eq_u32_e64 s[6:7], s38, v0
	s_or_b64 s[36:37], s[6:7], s[36:37]
	v_cndmask_b32_e32 v104, 0, v104, vcc
	s_andn2_b64 exec, exec, s[36:37]
	s_cbranch_execnz .LBB256_110
; %bb.111:                              ;   in Loop: Header=BB256_12 Depth=1
	s_or_b64 exec, exec, s[36:37]
	s_branch .LBB256_9
.LBB256_112:
	s_endpgm
	.section	.rodata,"a",@progbits
	.p2align	6, 0x0
	.amdhsa_kernel _Z16wvSplitK_hf_big_I14__hip_bfloat16Li32ELi3ELi16ELi8ELi2ELi4EEviiiiiiPKT_S3_S3_PS1_ii
		.amdhsa_group_segment_fixed_size 65536
		.amdhsa_private_segment_fixed_size 0
		.amdhsa_kernarg_size 64
		.amdhsa_user_sgpr_count 2
		.amdhsa_user_sgpr_dispatch_ptr 0
		.amdhsa_user_sgpr_queue_ptr 0
		.amdhsa_user_sgpr_kernarg_segment_ptr 1
		.amdhsa_user_sgpr_dispatch_id 0
		.amdhsa_user_sgpr_kernarg_preload_length 0
		.amdhsa_user_sgpr_kernarg_preload_offset 0
		.amdhsa_user_sgpr_private_segment_size 0
		.amdhsa_uses_dynamic_stack 0
		.amdhsa_enable_private_segment 0
		.amdhsa_system_sgpr_workgroup_id_x 1
		.amdhsa_system_sgpr_workgroup_id_y 0
		.amdhsa_system_sgpr_workgroup_id_z 0
		.amdhsa_system_sgpr_workgroup_info 0
		.amdhsa_system_vgpr_workitem_id 1
		.amdhsa_next_free_vgpr 127
		.amdhsa_next_free_sgpr 56
		.amdhsa_accum_offset 128
		.amdhsa_reserve_vcc 1
		.amdhsa_float_round_mode_32 0
		.amdhsa_float_round_mode_16_64 0
		.amdhsa_float_denorm_mode_32 3
		.amdhsa_float_denorm_mode_16_64 3
		.amdhsa_dx10_clamp 1
		.amdhsa_ieee_mode 1
		.amdhsa_fp16_overflow 0
		.amdhsa_tg_split 0
		.amdhsa_exception_fp_ieee_invalid_op 0
		.amdhsa_exception_fp_denorm_src 0
		.amdhsa_exception_fp_ieee_div_zero 0
		.amdhsa_exception_fp_ieee_overflow 0
		.amdhsa_exception_fp_ieee_underflow 0
		.amdhsa_exception_fp_ieee_inexact 0
		.amdhsa_exception_int_div_zero 0
	.end_amdhsa_kernel
	.section	.text._Z16wvSplitK_hf_big_I14__hip_bfloat16Li32ELi3ELi16ELi8ELi2ELi4EEviiiiiiPKT_S3_S3_PS1_ii,"axG",@progbits,_Z16wvSplitK_hf_big_I14__hip_bfloat16Li32ELi3ELi16ELi8ELi2ELi4EEviiiiiiPKT_S3_S3_PS1_ii,comdat
.Lfunc_end256:
	.size	_Z16wvSplitK_hf_big_I14__hip_bfloat16Li32ELi3ELi16ELi8ELi2ELi4EEviiiiiiPKT_S3_S3_PS1_ii, .Lfunc_end256-_Z16wvSplitK_hf_big_I14__hip_bfloat16Li32ELi3ELi16ELi8ELi2ELi4EEviiiiiiPKT_S3_S3_PS1_ii
                                        ; -- End function
	.section	.AMDGPU.csdata,"",@progbits
; Kernel info:
; codeLenInByte = 6328
; NumSgprs: 62
; NumVgprs: 127
; NumAgprs: 0
; TotalNumVgprs: 127
; ScratchSize: 0
; MemoryBound: 0
; FloatMode: 240
; IeeeMode: 1
; LDSByteSize: 65536 bytes/workgroup (compile time only)
; SGPRBlocks: 7
; VGPRBlocks: 15
; NumSGPRsForWavesPerEU: 62
; NumVGPRsForWavesPerEU: 127
; AccumOffset: 128
; Occupancy: 2
; WaveLimiterHint : 0
; COMPUTE_PGM_RSRC2:SCRATCH_EN: 0
; COMPUTE_PGM_RSRC2:USER_SGPR: 2
; COMPUTE_PGM_RSRC2:TRAP_HANDLER: 0
; COMPUTE_PGM_RSRC2:TGID_X_EN: 1
; COMPUTE_PGM_RSRC2:TGID_Y_EN: 0
; COMPUTE_PGM_RSRC2:TGID_Z_EN: 0
; COMPUTE_PGM_RSRC2:TIDIG_COMP_CNT: 1
; COMPUTE_PGM_RSRC3_GFX90A:ACCUM_OFFSET: 31
; COMPUTE_PGM_RSRC3_GFX90A:TG_SPLIT: 0
	.section	.text._Z16wvSplitK_hf_sml_I14__hip_bfloat16Li32ELi4ELi16ELi8ELi1ELi4EEviiiiiiPKT_S3_S3_PS1_ii,"axG",@progbits,_Z16wvSplitK_hf_sml_I14__hip_bfloat16Li32ELi4ELi16ELi8ELi1ELi4EEviiiiiiPKT_S3_S3_PS1_ii,comdat
	.protected	_Z16wvSplitK_hf_sml_I14__hip_bfloat16Li32ELi4ELi16ELi8ELi1ELi4EEviiiiiiPKT_S3_S3_PS1_ii ; -- Begin function _Z16wvSplitK_hf_sml_I14__hip_bfloat16Li32ELi4ELi16ELi8ELi1ELi4EEviiiiiiPKT_S3_S3_PS1_ii
	.globl	_Z16wvSplitK_hf_sml_I14__hip_bfloat16Li32ELi4ELi16ELi8ELi1ELi4EEviiiiiiPKT_S3_S3_PS1_ii
	.p2align	8
	.type	_Z16wvSplitK_hf_sml_I14__hip_bfloat16Li32ELi4ELi16ELi8ELi1ELi4EEviiiiiiPKT_S3_S3_PS1_ii,@function
_Z16wvSplitK_hf_sml_I14__hip_bfloat16Li32ELi4ELi16ELi8ELi1ELi4EEviiiiiiPKT_S3_S3_PS1_ii: ; @_Z16wvSplitK_hf_sml_I14__hip_bfloat16Li32ELi4ELi16ELi8ELi1ELi4EEviiiiiiPKT_S3_S3_PS1_ii
; %bb.0:
	s_load_dwordx4 s[4:7], s[0:1], 0x0
	v_and_b32_e32 v4, 0x3ff, v0
	v_bfe_u32 v5, v0, 10, 10
	v_lshlrev_b32_e32 v108, 3, v4
	v_lshl_add_u32 v6, v5, 8, v108
	s_waitcnt lgkmcnt(0)
	s_lshl_b32 s24, s6, 2
	s_min_u32 s3, s24, 0x8000
	v_cmp_gt_u32_e32 vcc, s3, v6
	s_and_saveexec_b64 s[8:9], vcc
	s_cbranch_execz .LBB257_9
; %bb.1:
	s_load_dwordx2 s[10:11], s[0:1], 0x20
	v_lshlrev_b32_e32 v0, 1, v6
	v_add_u32_e32 v1, 0x1000, v6
	v_cmp_gt_u32_e32 vcc, s3, v1
	s_waitcnt lgkmcnt(0)
	global_load_dwordx4 v[8:11], v0, s[10:11]
	s_waitcnt vmcnt(0)
	ds_write_b128 v0, v[8:11]
	s_and_saveexec_b64 s[12:13], vcc
	s_xor_b64 s[12:13], exec, s[12:13]
	s_cbranch_execz .LBB257_9
; %bb.2:
	v_mov_b32_e32 v1, 0
	v_lshl_add_u64 v[2:3], s[10:11], 0, v[0:1]
	v_add_co_u32_e32 v8, vcc, 0x2000, v2
	v_add_u32_e32 v1, 0x2000, v6
	s_nop 0
	v_addc_co_u32_e32 v9, vcc, 0, v3, vcc
	global_load_dwordx4 v[8:11], v[8:9], off
	v_cmp_gt_u32_e32 vcc, s3, v1
	s_waitcnt vmcnt(0)
	ds_write_b128 v0, v[8:11] offset:8192
	s_and_saveexec_b64 s[10:11], vcc
	s_xor_b64 s[10:11], exec, s[10:11]
	s_cbranch_execz .LBB257_9
; %bb.3:
	v_add_co_u32_e32 v8, vcc, 0x4000, v2
	v_add_u32_e32 v1, 0x3000, v6
	s_nop 0
	v_addc_co_u32_e32 v9, vcc, 0, v3, vcc
	global_load_dwordx4 v[8:11], v[8:9], off
	v_cmp_gt_u32_e32 vcc, s3, v1
	s_waitcnt vmcnt(0)
	ds_write_b128 v0, v[8:11] offset:16384
	s_and_saveexec_b64 s[10:11], vcc
	s_xor_b64 s[10:11], exec, s[10:11]
	s_cbranch_execz .LBB257_9
; %bb.4:
	;; [unrolled: 12-line block ×6, first 2 shown]
	v_add_co_u32_e32 v2, vcc, 0xe000, v2
	s_nop 1
	v_addc_co_u32_e32 v3, vcc, 0, v3, vcc
	global_load_dwordx4 v[6:9], v[2:3], off
	s_waitcnt vmcnt(0)
	ds_write_b128 v0, v[6:9] offset:57344
.LBB257_9:
	s_or_b64 exec, exec, s[8:9]
	s_load_dwordx2 s[16:17], s[0:1], 0x38
	s_waitcnt lgkmcnt(0)
	s_barrier
	v_cmp_gt_u32_e32 vcc, s16, v5
	s_and_saveexec_b64 s[8:9], vcc
	s_cbranch_execz .LBB257_86
; %bb.10:
	s_load_dwordx2 s[12:13], s[0:1], 0x10
	s_mul_i32 s2, s2, s16
	v_add_lshl_u32 v92, s2, v5, 2
	v_cmp_gt_u32_e32 vcc, s7, v92
	s_and_b64 exec, exec, vcc
	s_cbranch_execz .LBB257_86
; %bb.11:
	s_load_dwordx4 s[8:11], s[0:1], 0x28
	s_load_dwordx2 s[14:15], s[0:1], 0x18
	s_cmp_lg_u32 s4, 0
	s_cselect_b64 s[2:3], -1, 0
	s_add_i32 s25, s4, -8
	s_add_i32 s26, s7, -1
	s_waitcnt lgkmcnt(0)
	s_cmp_lg_u64 s[8:9], 0
	s_cselect_b64 s[18:19], -1, 0
	s_abs_i32 s21, s13
	v_cvt_f32_u32_e32 v0, s12
	v_cvt_f32_u32_e32 v1, s21
	s_mul_i32 s20, s16, s17
	s_lshl_b32 s13, s20, 2
	v_rcp_iflag_f32_e32 v0, v0
	v_rcp_iflag_f32_e32 v1, v1
	s_sub_i32 s20, 0, s12
	v_cmp_eq_u32_e64 s[0:1], 31, v4
	v_mul_f32_e32 v0, 0x4f7ffffe, v0
	v_mul_f32_e32 v1, 0x4f7ffffe, v1
	v_cvt_u32_f32_e32 v0, v0
	v_cvt_u32_f32_e32 v1, v1
	s_mov_b64 s[16:17], 0
	v_mov_b32_e32 v95, 0
	v_mul_lo_u32 v2, s20, v0
	s_sub_i32 s20, 0, s21
	v_readfirstlane_b32 s22, v1
	s_mul_i32 s20, s20, s22
	s_mul_hi_u32 s20, s22, s20
	s_add_i32 s22, s22, s20
	s_sub_i32 s20, 1, s21
	s_cmp_lt_u32 s21, 2
	s_cselect_b32 s20, s20, 1
	s_sub_i32 s23, s20, s21
	s_cmp_ge_u32 s20, s21
	s_cselect_b32 s27, s23, s20
	s_lshr_b32 s20, s22, 31
	s_mul_i32 s20, s20, s21
	s_sub_i32 s20, 2, s20
	s_sub_i32 s23, s20, s21
	s_cmp_ge_u32 s20, s21
	s_cselect_b32 s20, s23, s20
	s_sub_i32 s23, s20, s21
	s_cmp_ge_u32 s20, s21
	s_cselect_b32 s28, s23, s20
	s_mul_hi_u32 s20, s22, 3
	s_mul_i32 s20, s20, s21
	s_sub_i32 s20, 3, s20
	s_sub_i32 s22, s20, s21
	s_cmp_ge_u32 s20, s21
	s_cselect_b32 s20, s22, s20
	s_sub_i32 s22, s20, s21
	v_mul_hi_u32 v2, v0, v2
	s_cmp_ge_u32 s20, s21
	v_add_u32_e32 v109, v0, v2
	s_cselect_b32 s29, s22, s20
	v_cndmask_b32_e64 v0, 0, 1, s[2:3]
	s_mul_i32 s27, s27, s12
	s_mul_i32 s28, s28, s12
	;; [unrolled: 1-line block ×4, first 2 shown]
	v_lshlrev_b32_e32 v110, 4, v4
	s_lshl_b32 s6, s6, 1
	v_cmp_ne_u32_e64 s[2:3], 1, v0
	s_mov_b32 s31, 0x7f800000
	s_movk_i32 s33, 0x7fff
	s_branch .LBB257_14
.LBB257_12:                             ;   in Loop: Header=BB257_14 Depth=1
	s_or_b64 exec, exec, s[22:23]
	v_add_u32_e32 v94, 3, v94
	v_lshl_add_u64 v[2:3], v[94:95], 1, s[10:11]
	global_store_short_d16_hi v[2:3], v0, off
.LBB257_13:                             ;   in Loop: Header=BB257_14 Depth=1
	s_or_b64 exec, exec, s[20:21]
	v_add_u32_e32 v92, s13, v92
	v_cmp_le_u32_e32 vcc, s7, v92
	s_or_b64 s[16:17], vcc, s[16:17]
	s_andn2_b64 exec, exec, s[16:17]
	s_cbranch_execz .LBB257_86
.LBB257_14:                             ; =>This Loop Header: Depth=1
                                        ;     Child Loop BB257_17 Depth 2
	s_and_b64 vcc, exec, s[2:3]
	v_mov_b32_e32 v11, v95
	v_mov_b32_e32 v10, v95
	;; [unrolled: 1-line block ×64, first 2 shown]
	s_cbranch_vccnz .LBB257_19
; %bb.15:                               ;   in Loop: Header=BB257_14 Depth=1
	v_min_u32_e32 v0, s26, v92
	v_mul_lo_u32 v96, v0, s5
	v_or_b32_e32 v0, 1, v92
	v_min_u32_e32 v0, s26, v0
	v_mul_lo_u32 v98, v0, s5
	v_or_b32_e32 v0, 2, v92
	;; [unrolled: 3-line block ×3, first 2 shown]
	v_min_u32_e32 v0, s26, v0
	v_mov_b32_e32 v16, 0
	v_mov_b32_e32 v97, v95
	;; [unrolled: 1-line block ×4, first 2 shown]
	v_mul_lo_u32 v102, v0, s5
	v_mov_b32_e32 v103, v95
	s_mov_b32 s22, 0
	v_mov_b32_e32 v93, v110
	v_mov_b32_e32 v17, v16
	v_mov_b32_e32 v18, v16
	v_mov_b32_e32 v19, v16
	v_mov_b32_e32 v20, v16
	v_mov_b32_e32 v21, v16
	v_mov_b32_e32 v22, v16
	v_mov_b32_e32 v23, v16
	v_mov_b32_e32 v24, v16
	v_mov_b32_e32 v25, v16
	v_mov_b32_e32 v26, v16
	v_mov_b32_e32 v27, v16
	v_mov_b32_e32 v28, v16
	v_mov_b32_e32 v29, v16
	v_mov_b32_e32 v30, v16
	v_mov_b32_e32 v31, v16
	v_mov_b32_e32 v32, v16
	v_mov_b32_e32 v33, v16
	v_mov_b32_e32 v34, v16
	v_mov_b32_e32 v35, v16
	v_mov_b32_e32 v36, v16
	v_mov_b32_e32 v37, v16
	v_mov_b32_e32 v38, v16
	v_mov_b32_e32 v39, v16
	v_mov_b32_e32 v40, v16
	v_mov_b32_e32 v41, v16
	v_mov_b32_e32 v42, v16
	v_mov_b32_e32 v43, v16
	v_mov_b32_e32 v44, v16
	v_mov_b32_e32 v45, v16
	v_mov_b32_e32 v46, v16
	v_mov_b32_e32 v47, v16
	v_mov_b32_e32 v48, v16
	v_mov_b32_e32 v49, v16
	v_mov_b32_e32 v50, v16
	v_mov_b32_e32 v51, v16
	v_mov_b32_e32 v52, v16
	v_mov_b32_e32 v53, v16
	v_mov_b32_e32 v54, v16
	v_mov_b32_e32 v55, v16
	v_mov_b32_e32 v56, v16
	v_mov_b32_e32 v57, v16
	v_mov_b32_e32 v58, v16
	v_mov_b32_e32 v59, v16
	v_mov_b32_e32 v60, v16
	v_mov_b32_e32 v61, v16
	v_mov_b32_e32 v62, v16
	v_mov_b32_e32 v63, v16
	v_mov_b32_e32 v12, v16
	v_mov_b32_e32 v13, v16
	v_mov_b32_e32 v14, v16
	v_mov_b32_e32 v15, v16
	v_mov_b32_e32 v4, v16
	v_mov_b32_e32 v5, v16
	v_mov_b32_e32 v6, v16
	v_mov_b32_e32 v7, v16
	v_mov_b32_e32 v0, v16
	v_mov_b32_e32 v1, v16
	v_mov_b32_e32 v2, v16
	v_mov_b32_e32 v3, v16
	v_mov_b32_e32 v8, v16
	v_mov_b32_e32 v9, v16
	v_mov_b32_e32 v10, v16
	v_mov_b32_e32 v11, v16
	s_branch .LBB257_17
.LBB257_16:                             ;   in Loop: Header=BB257_17 Depth=2
	s_or_b64 exec, exec, s[20:21]
	s_waitcnt vmcnt(3) lgkmcnt(4)
	v_mfma_f32_4x4x4_16b_bf16 v[60:63], v[84:85], v[76:77], v[60:63]
	s_addk_i32 s22, 0x100
	s_waitcnt vmcnt(2)
	v_mfma_f32_4x4x4_16b_bf16 v[56:59], v[84:85], v[72:73], v[56:59]
	v_add_u32_e32 v93, 0x200, v93
	s_waitcnt vmcnt(1)
	v_mfma_f32_4x4x4_16b_bf16 v[52:55], v[84:85], v[80:81], v[52:55]
	s_cmp_ge_u32 s22, s4
	s_waitcnt vmcnt(0)
	v_mfma_f32_4x4x4_16b_bf16 v[48:51], v[84:85], v[64:65], v[48:51]
	s_waitcnt lgkmcnt(3)
	v_mfma_f32_4x4x4_16b_bf16 v[44:47], v[88:89], v[76:77], v[44:47]
	v_mfma_f32_4x4x4_16b_bf16 v[40:43], v[88:89], v[72:73], v[40:43]
	v_mfma_f32_4x4x4_16b_bf16 v[36:39], v[88:89], v[80:81], v[36:39]
	v_mfma_f32_4x4x4_16b_bf16 v[32:35], v[88:89], v[64:65], v[32:35]
	s_waitcnt lgkmcnt(2)
	v_mfma_f32_4x4x4_16b_bf16 v[28:31], v[106:107], v[76:77], v[28:31]
	v_mfma_f32_4x4x4_16b_bf16 v[24:27], v[106:107], v[72:73], v[24:27]
	v_mfma_f32_4x4x4_16b_bf16 v[20:23], v[106:107], v[80:81], v[20:23]
	;; [unrolled: 5-line block ×3, first 2 shown]
	v_mfma_f32_4x4x4_16b_bf16 v[8:11], v[68:69], v[64:65], v[8:11]
	v_mfma_f32_4x4x4_16b_bf16 v[60:63], v[86:87], v[78:79], v[60:63]
	;; [unrolled: 1-line block ×17, first 2 shown]
	s_cbranch_scc1 .LBB257_19
.LBB257_17:                             ;   Parent Loop BB257_14 Depth=1
                                        ; =>  This Inner Loop Header: Depth=2
	v_add_u32_e32 v84, s22, v108
	v_min_u32_e32 v94, s25, v84
	v_lshl_add_u64 v[64:65], v[94:95], 1, s[14:15]
	v_lshl_add_u64 v[66:67], v[96:97], 1, v[64:65]
	;; [unrolled: 1-line block ×3, first 2 shown]
	global_load_dwordx4 v[76:79], v[66:67], off nt
	global_load_dwordx4 v[72:75], v[68:69], off nt
	v_lshl_add_u64 v[68:69], v[100:101], 1, v[64:65]
	v_lshl_add_u64 v[70:71], v[102:103], 1, v[64:65]
	global_load_dwordx4 v[80:83], v[68:69], off nt
	global_load_dwordx4 v[64:67], v[70:71], off nt
	v_cmp_gt_u32_e32 vcc, s4, v84
	v_mov_b32_e32 v70, 0
	v_mov_b32_e32 v71, 0
	;; [unrolled: 1-line block ×16, first 2 shown]
	s_and_saveexec_b64 s[20:21], vcc
	s_cbranch_execz .LBB257_16
; %bb.18:                               ;   in Loop: Header=BB257_17 Depth=2
	v_add_u32_e32 v68, s6, v93
	ds_read_b128 v[84:87], v93
	v_add_u32_e32 v69, s24, v93
	ds_read_b128 v[88:91], v68
	ds_read2_b32 v[106:107], v69 offset1:1
	v_add_u32_e32 v68, s30, v93
	ds_read2_b32 v[104:105], v69 offset0:2 offset1:3
	ds_read_b128 v[68:71], v68
	s_branch .LBB257_16
.LBB257_19:                             ;   in Loop: Header=BB257_14 Depth=1
	; sched_barrier mask(0x00000000)
	v_cvt_i32_f32_e32 v57, v57
	v_cvt_i32_f32_e32 v58, v58
	;; [unrolled: 1-line block ×4, first 2 shown]
	v_cvt_f32_i32_dpp v57, v57 row_shl:1 row_mask:0xf bank_mask:0xf bound_ctrl:1
	v_cvt_f32_i32_dpp v58, v58 row_shl:2 row_mask:0xf bank_mask:0xf bound_ctrl:1
	;; [unrolled: 1-line block ×3, first 2 shown]
	v_cvt_i32_f32_e32 v62, v62
	v_add_f32_e32 v56, v56, v57
	v_add_f32_e32 v56, v56, v58
	;; [unrolled: 1-line block ×3, first 2 shown]
	v_cvt_i32_f32_e32 v57, v56
	v_cvt_i32_f32_e32 v63, v63
	v_cvt_f32_i32_dpp v61, v61 row_shl:1 row_mask:0xf bank_mask:0xf bound_ctrl:1
	v_cvt_f32_i32_dpp v62, v62 row_shl:2 row_mask:0xf bank_mask:0xf bound_ctrl:1
	;; [unrolled: 1-line block ×4, first 2 shown]
	v_add_f32_e32 v60, v60, v61
	v_add_f32_e32 v60, v60, v62
	;; [unrolled: 1-line block ×3, first 2 shown]
	v_cvt_i32_f32_e32 v57, v56
	v_add_f32_e32 v60, v60, v63
	v_cvt_i32_f32_e32 v53, v53
	v_cvt_i32_f32_e32 v61, v60
	v_cvt_f32_i32_dpp v57, v57 row_shl:8 row_mask:0xf bank_mask:0xf bound_ctrl:1
	v_cvt_i32_f32_e32 v54, v54
	v_cvt_i32_f32_e32 v55, v55
	v_cvt_f32_i32_dpp v53, v53 row_shl:1 row_mask:0xf bank_mask:0xf bound_ctrl:1
	v_cvt_f32_i32_dpp v61, v61 row_shl:4 row_mask:0xf bank_mask:0xf bound_ctrl:1
	v_add_f32_e32 v56, v56, v57
	v_cvt_f32_i32_dpp v54, v54 row_shl:2 row_mask:0xf bank_mask:0xf bound_ctrl:1
	v_cvt_f32_i32_dpp v55, v55 row_shl:3 row_mask:0xf bank_mask:0xf bound_ctrl:1
	v_cvt_i32_f32_e32 v56, v56
	v_cvt_i32_f32_e32 v49, v49
	v_add_f32_e32 v52, v52, v53
	v_cvt_i32_f32_e32 v50, v50
	v_add_f32_e32 v58, v60, v61
	v_add_f32_e32 v52, v52, v54
	v_cvt_i32_f32_e32 v51, v51
	v_cvt_i32_f32_e32 v59, v58
	v_add_f32_e32 v52, v52, v55
	v_cvt_f32_i32_dpp v55, v56 row_shr:15 row_mask:0xf bank_mask:0xf bound_ctrl:1
	v_cvt_f32_i32_dpp v49, v49 row_shl:1 row_mask:0xf bank_mask:0xf bound_ctrl:1
	v_cvt_f32_i32_dpp v50, v50 row_shl:2 row_mask:0xf bank_mask:0xf bound_ctrl:1
	;; [unrolled: 1-line block ×4, first 2 shown]
	v_cvt_i32_f32_e32 v53, v52
	v_cvt_i32_f32_e32 v56, v55
	v_add_f32_e32 v48, v48, v49
	v_add_f32_e32 v48, v48, v50
	;; [unrolled: 1-line block ×4, first 2 shown]
	v_cvt_f32_i32_dpp v53, v53 row_shl:4 row_mask:0xf bank_mask:0xf bound_ctrl:1
	v_cvt_f32_i32_dpp v56, v56 row_bcast:15 row_mask:0xf bank_mask:0xf bound_ctrl:1
	v_cvt_i32_f32_e32 v49, v51
	v_cvt_i32_f32_e32 v58, v58
	;; [unrolled: 1-line block ×4, first 2 shown]
	v_add_f32_e32 v53, v52, v53
	v_add_f32_e32 v48, v55, v56
	v_cvt_f32_i32_dpp v56, v49 row_shl:4 row_mask:0xf bank_mask:0xf bound_ctrl:1
	v_cvt_i32_f32_e32 v47, v47
	v_cvt_f32_i32_dpp v58, v58 row_shr:15 row_mask:0xf bank_mask:0xf bound_ctrl:1
	v_cvt_i32_f32_e32 v57, v53
	v_cvt_i32_f32_e32 v55, v48
	v_cvt_f32_i32_dpp v45, v45 row_shl:1 row_mask:0xf bank_mask:0xf bound_ctrl:1
	v_cvt_f32_i32_dpp v46, v46 row_shl:2 row_mask:0xf bank_mask:0xf bound_ctrl:1
	v_add_f32_e32 v51, v51, v56
	v_cvt_f32_i32_dpp v47, v47 row_shl:3 row_mask:0xf bank_mask:0xf bound_ctrl:1
	v_cvt_i32_f32_e32 v54, v58
	v_cvt_f32_i32_dpp v57, v57 row_shl:8 row_mask:0xf bank_mask:0xf bound_ctrl:1
	v_mov_b32_dpp v49, v55 row_bcast:31 row_mask:0xf bank_mask:0xf bound_ctrl:1
	v_cvt_i32_f32_e32 v55, v51
	v_add_f32_e32 v44, v44, v45
	v_add_f32_e32 v44, v44, v46
	;; [unrolled: 1-line block ×3, first 2 shown]
	v_cvt_f32_i32_dpp v54, v54 row_bcast:15 row_mask:0xf bank_mask:0xf bound_ctrl:1
	v_add_f32_e32 v53, v53, v57
	v_cvt_f32_i32_dpp v55, v55 row_shl:8 row_mask:0xf bank_mask:0xf bound_ctrl:1
	v_cvt_i32_f32_e32 v44, v45
	v_cvt_i32_f32_e32 v53, v53
	;; [unrolled: 1-line block ×4, first 2 shown]
	v_add_f32_e32 v52, v58, v54
	v_add_f32_e32 v47, v51, v55
	v_cvt_f32_i32_dpp v51, v44 row_shl:4 row_mask:0xf bank_mask:0xf bound_ctrl:1
	v_cvt_i32_f32_e32 v43, v43
	v_cvt_i32_f32_e32 v54, v52
	v_cvt_f32_i32_dpp v53, v53 row_shr:15 row_mask:0xf bank_mask:0xf bound_ctrl:1
	v_cvt_f32_i32_dpp v41, v41 row_shl:1 row_mask:0xf bank_mask:0xf bound_ctrl:1
	v_cvt_f32_i32_dpp v42, v42 row_shl:2 row_mask:0xf bank_mask:0xf bound_ctrl:1
	v_add_f32_e32 v45, v45, v51
	v_cvt_f32_i32_dpp v43, v43 row_shl:3 row_mask:0xf bank_mask:0xf bound_ctrl:1
	v_mov_b32_dpp v50, v54 row_bcast:31 row_mask:0xf bank_mask:0xf bound_ctrl:1
	v_cvt_i32_f32_e32 v54, v53
	v_cvt_i32_f32_e32 v51, v45
	v_add_f32_e32 v40, v40, v41
	v_add_f32_e32 v40, v40, v42
	;; [unrolled: 1-line block ×3, first 2 shown]
	v_cvt_f32_i32_dpp v46, v54 row_bcast:15 row_mask:0xf bank_mask:0xf bound_ctrl:1
	v_cvt_f32_i32_dpp v51, v51 row_shl:8 row_mask:0xf bank_mask:0xf bound_ctrl:1
	v_cvt_i32_f32_e32 v41, v40
	v_cvt_i32_f32_e32 v47, v47
	v_add_f32_e32 v44, v53, v46
	v_add_f32_e32 v43, v45, v51
	v_cvt_f32_i32_dpp v45, v41 row_shl:4 row_mask:0xf bank_mask:0xf bound_ctrl:1
	v_cvt_i32_f32_e32 v46, v44
	v_cvt_f32_i32_dpp v47, v47 row_shr:15 row_mask:0xf bank_mask:0xf bound_ctrl:1
	v_cvt_i32_f32_e32 v37, v37
	v_add_f32_e32 v45, v40, v45
	v_cvt_i32_f32_e32 v38, v38
	v_cvt_i32_f32_e32 v42, v47
	v_mov_b32_dpp v41, v46 row_bcast:31 row_mask:0xf bank_mask:0xf bound_ctrl:1
	v_cvt_i32_f32_e32 v46, v45
	v_cvt_i32_f32_e32 v39, v39
	v_cvt_f32_i32_dpp v37, v37 row_shl:1 row_mask:0xf bank_mask:0xf bound_ctrl:1
	v_cvt_f32_i32_dpp v38, v38 row_shl:2 row_mask:0xf bank_mask:0xf bound_ctrl:1
	v_cvt_f32_i32_dpp v42, v42 row_bcast:15 row_mask:0xf bank_mask:0xf bound_ctrl:1
	v_cvt_f32_i32_dpp v46, v46 row_shl:8 row_mask:0xf bank_mask:0xf bound_ctrl:1
	v_cvt_f32_i32_dpp v39, v39 row_shl:3 row_mask:0xf bank_mask:0xf bound_ctrl:1
	v_cvt_i32_f32_e32 v43, v43
	v_add_f32_e32 v36, v36, v37
	v_add_f32_e32 v36, v36, v38
	;; [unrolled: 1-line block ×5, first 2 shown]
	v_cvt_i32_f32_e32 v42, v40
	v_cvt_i32_f32_e32 v45, v45
	;; [unrolled: 1-line block ×3, first 2 shown]
	v_cvt_f32_i32_dpp v43, v43 row_shr:15 row_mask:0xf bank_mask:0xf bound_ctrl:1
	v_cvt_i32_f32_e32 v33, v33
	v_cvt_i32_f32_e32 v34, v34
	v_mov_b32_dpp v37, v42 row_bcast:31 row_mask:0xf bank_mask:0xf bound_ctrl:1
	v_cvt_f32_i32_dpp v42, v45 row_shr:15 row_mask:0xf bank_mask:0xf bound_ctrl:1
	v_cvt_f32_i32_dpp v45, v36 row_shl:4 row_mask:0xf bank_mask:0xf bound_ctrl:1
	v_cvt_i32_f32_e32 v35, v35
	v_cvt_i32_f32_e32 v47, v43
	v_cvt_f32_i32_dpp v33, v33 row_shl:1 row_mask:0xf bank_mask:0xf bound_ctrl:1
	v_cvt_f32_i32_dpp v34, v34 row_shl:2 row_mask:0xf bank_mask:0xf bound_ctrl:1
	v_add_f32_e32 v38, v38, v45
	v_cvt_f32_i32_dpp v35, v35 row_shl:3 row_mask:0xf bank_mask:0xf bound_ctrl:1
	v_cvt_f32_i32_dpp v39, v47 row_bcast:15 row_mask:0xf bank_mask:0xf bound_ctrl:1
	v_cvt_i32_f32_e32 v45, v38
	v_add_f32_e32 v32, v32, v33
	v_add_f32_e32 v32, v32, v34
	;; [unrolled: 1-line block ×3, first 2 shown]
	v_cvt_i32_f32_e32 v29, v29
	v_add_f32_e32 v36, v43, v39
	v_cvt_i32_f32_e32 v43, v42
	v_cvt_f32_i32_dpp v45, v45 row_shl:8 row_mask:0xf bank_mask:0xf bound_ctrl:1
	v_cvt_i32_f32_e32 v32, v34
	v_cvt_i32_f32_e32 v30, v30
	;; [unrolled: 1-line block ×3, first 2 shown]
	v_cvt_f32_i32_dpp v29, v29 row_shl:1 row_mask:0xf bank_mask:0xf bound_ctrl:1
	v_cvt_f32_i32_dpp v35, v43 row_bcast:15 row_mask:0xf bank_mask:0xf bound_ctrl:1
	v_add_f32_e32 v33, v38, v45
	v_cvt_f32_i32_dpp v43, v32 row_shl:4 row_mask:0xf bank_mask:0xf bound_ctrl:1
	v_cvt_f32_i32_dpp v30, v30 row_shl:2 row_mask:0xf bank_mask:0xf bound_ctrl:1
	v_cvt_i32_f32_e32 v38, v33
	v_cvt_f32_i32_dpp v31, v31 row_shl:3 row_mask:0xf bank_mask:0xf bound_ctrl:1
	v_add_f32_e32 v28, v28, v29
	v_add_f32_e32 v34, v34, v43
	;; [unrolled: 1-line block ×4, first 2 shown]
	v_cvt_f32_i32_dpp v35, v38 row_shr:15 row_mask:0xf bank_mask:0xf bound_ctrl:1
	v_cvt_i32_f32_e32 v38, v34
	v_add_f32_e32 v28, v28, v31
	v_cvt_i32_f32_e32 v29, v28
	v_cvt_i32_f32_e32 v30, v35
	v_cvt_f32_i32_dpp v38, v38 row_shl:8 row_mask:0xf bank_mask:0xf bound_ctrl:1
	v_cvt_i32_f32_e32 v25, v25
	v_cvt_f32_i32_dpp v29, v29 row_shl:4 row_mask:0xf bank_mask:0xf bound_ctrl:1
	v_cvt_i32_f32_e32 v26, v26
	v_add_f32_e32 v31, v34, v38
	v_cvt_i32_f32_e32 v31, v31
	v_cvt_f32_i32_dpp v30, v30 row_bcast:15 row_mask:0xf bank_mask:0xf bound_ctrl:1
	v_add_f32_e32 v38, v28, v29
	v_cvt_i32_f32_e32 v27, v27
	v_cvt_i32_f32_e32 v29, v38
	v_cvt_f32_i32_dpp v25, v25 row_shl:1 row_mask:0xf bank_mask:0xf bound_ctrl:1
	v_cvt_f32_i32_dpp v26, v26 row_shl:2 row_mask:0xf bank_mask:0xf bound_ctrl:1
	v_cvt_i32_f32_e32 v39, v36
	v_cvt_f32_i32_dpp v31, v31 row_shr:15 row_mask:0xf bank_mask:0xf bound_ctrl:1
	v_add_f32_e32 v28, v35, v30
	v_cvt_f32_i32_dpp v27, v27 row_shl:3 row_mask:0xf bank_mask:0xf bound_ctrl:1
	v_cvt_i32_f32_e32 v35, v28
	v_cvt_f32_i32_dpp v42, v29 row_shl:8 row_mask:0xf bank_mask:0xf bound_ctrl:1
	v_add_f32_e32 v24, v24, v25
	v_cvt_i32_f32_e32 v21, v21
	v_add_f32_e32 v24, v24, v26
	v_cvt_i32_f32_e32 v22, v22
	v_mov_b32_dpp v33, v39 row_bcast:31 row_mask:0xf bank_mask:0xf bound_ctrl:1
	v_cvt_i32_f32_e32 v34, v32
	v_cvt_i32_f32_e32 v39, v31
	v_add_f32_e32 v25, v24, v27
	v_cvt_i32_f32_e32 v23, v23
	v_mov_b32_dpp v29, v35 row_bcast:31 row_mask:0xf bank_mask:0xf bound_ctrl:1
	v_add_f32_e32 v35, v38, v42
	v_cvt_i32_f32_e32 v26, v25
	v_cvt_i32_f32_e32 v35, v35
	v_cvt_f32_i32_dpp v21, v21 row_shl:1 row_mask:0xf bank_mask:0xf bound_ctrl:1
	v_cvt_f32_i32_dpp v22, v22 row_shl:2 row_mask:0xf bank_mask:0xf bound_ctrl:1
	v_mov_b32_dpp v30, v34 row_bcast:31 row_mask:0xf bank_mask:0xf bound_ctrl:1
	v_cvt_f32_i32_dpp v34, v39 row_bcast:15 row_mask:0xf bank_mask:0xf bound_ctrl:1
	v_cvt_f32_i32_dpp v23, v23 row_shl:3 row_mask:0xf bank_mask:0xf bound_ctrl:1
	v_cvt_f32_i32_dpp v26, v26 row_shl:4 row_mask:0xf bank_mask:0xf bound_ctrl:1
	v_cvt_f32_i32_dpp v35, v35 row_shr:15 row_mask:0xf bank_mask:0xf bound_ctrl:1
	v_add_f32_e32 v20, v20, v21
	v_add_f32_e32 v20, v20, v22
	v_cvt_i32_f32_e32 v17, v17
	v_add_f32_e32 v24, v31, v34
	v_add_f32_e32 v22, v20, v23
	v_cvt_i32_f32_e32 v18, v18
	v_cvt_i32_f32_e32 v27, v24
	v_add_f32_e32 v25, v25, v26
	v_cvt_i32_f32_e32 v20, v22
	v_cvt_i32_f32_e32 v19, v19
	;; [unrolled: 1-line block ×4, first 2 shown]
	v_cvt_f32_i32_dpp v17, v17 row_shl:1 row_mask:0xf bank_mask:0xf bound_ctrl:1
	v_cvt_f32_i32_dpp v18, v18 row_shl:2 row_mask:0xf bank_mask:0xf bound_ctrl:1
	v_mov_b32_dpp v21, v27 row_bcast:31 row_mask:0xf bank_mask:0xf bound_ctrl:1
	v_cvt_f32_i32_dpp v27, v20 row_shl:4 row_mask:0xf bank_mask:0xf bound_ctrl:1
	v_cvt_f32_i32_dpp v19, v19 row_shl:3 row_mask:0xf bank_mask:0xf bound_ctrl:1
	v_cvt_f32_i32_dpp v23, v31 row_bcast:15 row_mask:0xf bank_mask:0xf bound_ctrl:1
	v_cvt_f32_i32_dpp v26, v26 row_shl:8 row_mask:0xf bank_mask:0xf bound_ctrl:1
	v_add_f32_e32 v16, v16, v17
	v_add_f32_e32 v16, v16, v18
	;; [unrolled: 1-line block ×6, first 2 shown]
	v_cvt_i32_f32_e32 v25, v22
	v_cvt_i32_f32_e32 v17, v16
	;; [unrolled: 1-line block ×4, first 2 shown]
	v_cvt_f32_i32_dpp v25, v25 row_shl:8 row_mask:0xf bank_mask:0xf bound_ctrl:1
	v_cvt_f32_i32_dpp v17, v17 row_shl:4 row_mask:0xf bank_mask:0xf bound_ctrl:1
	v_cvt_f32_i32_dpp v18, v23 row_shr:15 row_mask:0xf bank_mask:0xf bound_ctrl:1
	v_cvt_i32_f32_e32 v1, v1
	v_add_f32_e32 v19, v22, v25
	v_add_f32_e32 v25, v16, v17
	v_cvt_i32_f32_e32 v19, v19
	v_cvt_i32_f32_e32 v23, v18
	;; [unrolled: 1-line block ×10, first 2 shown]
	v_cvt_f32_i32_dpp v19, v19 row_shr:15 row_mask:0xf bank_mask:0xf bound_ctrl:1
	v_cvt_f32_i32_dpp v23, v23 row_bcast:15 row_mask:0xf bank_mask:0xf bound_ctrl:1
	v_cvt_f32_i32_dpp v26, v16 row_shl:8 row_mask:0xf bank_mask:0xf bound_ctrl:1
	v_cvt_f32_i32_dpp v5, v5 row_shl:1 row_mask:0xf bank_mask:0xf bound_ctrl:1
	;; [unrolled: 1-line block ×6, first 2 shown]
	v_cvt_i32_f32_e32 v3, v3
	v_cvt_f32_i32_dpp v14, v14 row_shl:2 row_mask:0xf bank_mask:0xf bound_ctrl:1
	v_cvt_f32_i32_dpp v7, v7 row_shl:3 row_mask:0xf bank_mask:0xf bound_ctrl:1
	;; [unrolled: 1-line block ×3, first 2 shown]
	v_mov_b32_dpp v17, v22 row_bcast:31 row_mask:0xf bank_mask:0xf bound_ctrl:1
	v_cvt_i32_f32_e32 v22, v19
	v_add_f32_e32 v16, v18, v23
	v_add_f32_e32 v23, v25, v26
	;; [unrolled: 1-line block ×4, first 2 shown]
	v_cvt_i32_f32_e32 v23, v23
	v_add_f32_e32 v12, v12, v13
	v_add_f32_e32 v4, v4, v6
	;; [unrolled: 1-line block ×3, first 2 shown]
	v_cvt_f32_i32_dpp v1, v3 row_shl:3 row_mask:0xf bank_mask:0xf bound_ctrl:1
	v_cvt_i32_f32_e32 v2, v9
	v_add_f32_e32 v12, v12, v14
	v_add_f32_e32 v4, v4, v7
	v_cvt_i32_f32_e32 v3, v10
	v_add_f32_e32 v14, v12, v15
	v_cvt_i32_f32_e32 v5, v4
	v_cvt_i32_f32_e32 v9, v11
	v_cvt_f32_i32_dpp v22, v22 row_bcast:15 row_mask:0xf bank_mask:0xf bound_ctrl:1
	v_cvt_i32_f32_e32 v12, v14
	v_cvt_f32_i32_dpp v23, v23 row_shr:15 row_mask:0xf bank_mask:0xf bound_ctrl:1
	v_add_f32_e32 v0, v0, v1
	v_cvt_f32_i32_dpp v1, v2 row_shl:1 row_mask:0xf bank_mask:0xf bound_ctrl:1
	v_cvt_f32_i32_dpp v2, v3 row_shl:2 row_mask:0xf bank_mask:0xf bound_ctrl:1
	;; [unrolled: 1-line block ×4, first 2 shown]
	v_add_f32_e32 v13, v19, v22
	v_cvt_f32_i32_dpp v19, v12 row_shl:4 row_mask:0xf bank_mask:0xf bound_ctrl:1
	v_cvt_i32_f32_e32 v18, v16
	v_cvt_i32_f32_e32 v25, v23
	v_add_f32_e32 v1, v8, v1
	v_add_f32_e32 v1, v1, v2
	;; [unrolled: 1-line block ×5, first 2 shown]
	v_cvt_i32_f32_e32 v5, v4
	v_cvt_i32_f32_e32 v9, v0
	;; [unrolled: 1-line block ×3, first 2 shown]
	v_mov_b32_dpp v15, v18 row_bcast:31 row_mask:0xf bank_mask:0xf bound_ctrl:1
	v_cvt_f32_i32_dpp v18, v25 row_bcast:15 row_mask:0xf bank_mask:0xf bound_ctrl:1
	v_cvt_i32_f32_e32 v14, v19
	v_cvt_f32_i32_dpp v3, v5 row_shl:8 row_mask:0xf bank_mask:0xf bound_ctrl:1
	v_cvt_f32_i32_dpp v5, v9 row_shl:4 row_mask:0xf bank_mask:0xf bound_ctrl:1
	;; [unrolled: 1-line block ×3, first 2 shown]
	v_add_f32_e32 v12, v23, v18
	v_cvt_f32_i32_dpp v23, v14 row_shl:8 row_mask:0xf bank_mask:0xf bound_ctrl:1
	v_add_f32_e32 v0, v0, v5
	v_add_f32_e32 v1, v1, v2
	;; [unrolled: 1-line block ×4, first 2 shown]
	v_cvt_i32_f32_e32 v4, v0
	v_cvt_i32_f32_e32 v2, v1
	;; [unrolled: 1-line block ×4, first 2 shown]
	v_cvt_f32_i32_dpp v4, v4 row_shl:8 row_mask:0xf bank_mask:0xf bound_ctrl:1
	v_cvt_f32_i32_dpp v2, v2 row_shl:8 row_mask:0xf bank_mask:0xf bound_ctrl:1
	v_cvt_f32_i32_dpp v6, v6 row_shr:15 row_mask:0xf bank_mask:0xf bound_ctrl:1
	v_cvt_f32_i32_dpp v3, v3 row_shr:15 row_mask:0xf bank_mask:0xf bound_ctrl:1
	v_add_f32_e32 v0, v0, v4
	v_add_f32_e32 v1, v1, v2
	v_cvt_i32_f32_e32 v5, v6
	v_cvt_i32_f32_e32 v0, v0
	;; [unrolled: 1-line block ×4, first 2 shown]
	v_cvt_f32_i32_dpp v2, v5 row_bcast:15 row_mask:0xf bank_mask:0xf bound_ctrl:1
	v_cvt_f32_i32_dpp v0, v0 row_shr:15 row_mask:0xf bank_mask:0xf bound_ctrl:1
	v_cvt_f32_i32_dpp v1, v1 row_shr:15 row_mask:0xf bank_mask:0xf bound_ctrl:1
	v_cvt_f32_i32_dpp v4, v4 row_bcast:15 row_mask:0xf bank_mask:0xf bound_ctrl:1
	v_add_f32_e32 v9, v6, v2
	v_cvt_i32_f32_e32 v2, v0
	v_cvt_i32_f32_e32 v5, v1
	v_add_f32_e32 v6, v3, v4
	v_cvt_i32_f32_e32 v22, v13
	v_cvt_f32_i32_dpp v2, v2 row_bcast:15 row_mask:0xf bank_mask:0xf bound_ctrl:1
	v_cvt_f32_i32_dpp v3, v5 row_bcast:15 row_mask:0xf bank_mask:0xf bound_ctrl:1
	v_cvt_i32_f32_e32 v18, v12
	v_cvt_i32_f32_e32 v8, v9
	v_add_f32_e32 v4, v0, v2
	v_add_f32_e32 v2, v1, v3
	v_cvt_i32_f32_e32 v5, v6
	v_cvt_i32_f32_e32 v0, v4
	;; [unrolled: 1-line block ×3, first 2 shown]
	v_mov_b32_dpp v14, v22 row_bcast:31 row_mask:0xf bank_mask:0xf bound_ctrl:1
	v_mov_b32_dpp v7, v18 row_bcast:31 row_mask:0xf bank_mask:0xf bound_ctrl:1
	;; [unrolled: 1-line block ×6, first 2 shown]
	s_and_saveexec_b64 s[20:21], s[0:1]
	s_cbranch_execz .LBB257_13
; %bb.20:                               ;   in Loop: Header=BB257_14 Depth=1
	s_andn2_b64 vcc, exec, s[18:19]
	v_mov_b32_e32 v0, 0
	v_mov_b32_e32 v43, 0
	;; [unrolled: 1-line block ×16, first 2 shown]
	s_cbranch_vccnz .LBB257_22
; %bb.21:                               ;   in Loop: Header=BB257_14 Depth=1
	v_mul_hi_u32 v0, v92, v109
	v_mul_lo_u32 v0, v0, s12
	v_sub_u32_e32 v0, v92, v0
	v_subrev_u32_e32 v1, s12, v0
	v_cmp_le_u32_e32 vcc, s12, v0
	v_mov_b32_e32 v23, v95
	v_mov_b32_e32 v27, v95
	v_cndmask_b32_e32 v0, v0, v1, vcc
	v_subrev_u32_e32 v1, s12, v0
	v_cmp_le_u32_e32 vcc, s12, v0
	v_mov_b32_e32 v57, v95
	s_nop 0
	v_cndmask_b32_e32 v94, v0, v1, vcc
	v_or_b32_e32 v0, 1, v92
	v_mul_hi_u32 v1, v0, v109
	v_mul_lo_u32 v1, v1, s12
	v_sub_u32_e32 v0, v0, v1
	v_subrev_u32_e32 v1, s12, v0
	v_cmp_le_u32_e32 vcc, s12, v0
	v_lshl_add_u64 v[18:19], v[94:95], 1, s[8:9]
	s_nop 0
	v_cndmask_b32_e32 v0, v0, v1, vcc
	v_subrev_u32_e32 v1, s12, v0
	v_cmp_le_u32_e32 vcc, s12, v0
	s_nop 1
	v_cndmask_b32_e32 v22, v0, v1, vcc
	v_or_b32_e32 v0, 2, v92
	v_mul_hi_u32 v1, v0, v109
	v_mul_lo_u32 v1, v1, s12
	v_sub_u32_e32 v0, v0, v1
	v_subrev_u32_e32 v1, s12, v0
	v_cmp_le_u32_e32 vcc, s12, v0
	v_lshl_add_u64 v[46:47], v[22:23], 1, s[8:9]
	s_nop 0
	v_cndmask_b32_e32 v0, v0, v1, vcc
	v_subrev_u32_e32 v1, s12, v0
	v_cmp_le_u32_e32 vcc, s12, v0
	;; [unrolled: 13-line block ×3, first 2 shown]
	s_nop 1
	v_cndmask_b32_e32 v56, v0, v1, vcc
	v_add_u32_e32 v0, s27, v94
	v_mov_b32_e32 v1, v95
	v_lshl_add_u64 v[60:61], v[0:1], 1, s[8:9]
	v_add_u32_e32 v0, s27, v22
	v_lshl_add_u64 v[62:63], v[0:1], 1, s[8:9]
	v_add_u32_e32 v0, s27, v26
	;; [unrolled: 2-line block ×3, first 2 shown]
	v_lshl_add_u64 v[58:59], v[56:57], 1, s[8:9]
	v_lshl_add_u64 v[66:67], v[0:1], 1, s[8:9]
	global_load_ushort v0, v[18:19], off
	global_load_ushort v43, v[46:47], off
	;; [unrolled: 1-line block ×8, first 2 shown]
	v_add_u32_e32 v18, s28, v94
	v_mov_b32_e32 v19, v95
	v_add_u32_e32 v94, s29, v94
	v_lshl_add_u64 v[46:47], v[18:19], 1, s[8:9]
	v_add_u32_e32 v18, s28, v22
	v_lshl_add_u64 v[62:63], v[94:95], 1, s[8:9]
	;; [unrolled: 2-line block ×7, first 2 shown]
	v_lshl_add_u64 v[56:57], v[94:95], 1, s[8:9]
	global_load_ushort v31, v[46:47], off
	global_load_ushort v26, v[54:55], off
	global_load_ushort v25, v[58:59], off
	global_load_ushort v23, v[60:61], off
	global_load_ushort v22, v[62:63], off
	global_load_ushort v19, v[64:65], off
	global_load_ushort v18, v[66:67], off
	global_load_ushort v11, v[56:57], off
.LBB257_22:                             ;   in Loop: Header=BB257_14 Depth=1
	v_cvt_f32_i32_e32 v1, v50
	s_waitcnt vmcnt(15)
	v_lshlrev_b32_e32 v0, 16, v0
                                        ; implicit-def: $vgpr45
	v_add_f32_e32 v1, v52, v1
	v_add_f32_e32 v0, v1, v0
	v_and_b32_e32 v1, 0x7f800000, v0
	v_cmp_ne_u32_e32 vcc, s31, v1
	s_and_saveexec_b64 s[22:23], vcc
	s_xor_b64 s[22:23], exec, s[22:23]
; %bb.23:                               ;   in Loop: Header=BB257_14 Depth=1
	v_bfe_u32 v1, v0, 16, 1
	v_add3_u32 v45, v0, v1, s33
                                        ; implicit-def: $vgpr0
; %bb.24:                               ;   in Loop: Header=BB257_14 Depth=1
	s_andn2_saveexec_b64 s[22:23], s[22:23]
; %bb.25:                               ;   in Loop: Header=BB257_14 Depth=1
	v_or_b32_e32 v1, 0x10000, v0
	v_cmp_eq_u32_sdwa vcc, v0, v95 src0_sel:WORD_0 src1_sel:DWORD
	s_nop 1
	v_cndmask_b32_e32 v45, v1, v0, vcc
; %bb.26:                               ;   in Loop: Header=BB257_14 Depth=1
	s_or_b64 exec, exec, s[22:23]
	v_cvt_f32_i32_e32 v46, v49
	v_mov_b32_e32 v93, v95
	v_lshl_add_u64 v[0:1], v[92:93], 1, s[10:11]
	global_store_short_d16_hi v[0:1], v45, off
	v_add_f32_e32 v45, v48, v46
	s_waitcnt vmcnt(15)
	v_lshlrev_b32_e32 v43, 16, v43
	v_add_f32_e32 v43, v45, v43
	v_and_b32_e32 v45, 0x7f800000, v43
	v_cmp_ne_u32_e32 vcc, s31, v45
                                        ; implicit-def: $vgpr45
	s_and_saveexec_b64 s[22:23], vcc
	s_xor_b64 s[22:23], exec, s[22:23]
; %bb.27:                               ;   in Loop: Header=BB257_14 Depth=1
	v_bfe_u32 v45, v43, 16, 1
	v_add3_u32 v45, v43, v45, s33
                                        ; implicit-def: $vgpr43
; %bb.28:                               ;   in Loop: Header=BB257_14 Depth=1
	s_andn2_saveexec_b64 s[22:23], s[22:23]
; %bb.29:                               ;   in Loop: Header=BB257_14 Depth=1
	v_or_b32_e32 v45, 0x10000, v43
	v_cmp_eq_u32_sdwa vcc, v43, v95 src0_sel:WORD_0 src1_sel:DWORD
	s_nop 1
	v_cndmask_b32_e32 v45, v45, v43, vcc
; %bb.30:                               ;   in Loop: Header=BB257_14 Depth=1
	s_or_b64 exec, exec, s[22:23]
	v_cvt_f32_i32_e32 v41, v41
	s_waitcnt vmcnt(14)
	v_lshlrev_b32_e32 v42, 16, v42
	global_store_short_d16_hi v[0:1], v45, off offset:2
	v_add_f32_e32 v41, v44, v41
	v_add_f32_e32 v41, v41, v42
	v_and_b32_e32 v42, 0x7f800000, v41
	v_cmp_ne_u32_e32 vcc, s31, v42
                                        ; implicit-def: $vgpr42
	s_and_saveexec_b64 s[22:23], vcc
	s_xor_b64 s[22:23], exec, s[22:23]
; %bb.31:                               ;   in Loop: Header=BB257_14 Depth=1
	v_bfe_u32 v42, v41, 16, 1
	v_add3_u32 v42, v41, v42, s33
                                        ; implicit-def: $vgpr41
; %bb.32:                               ;   in Loop: Header=BB257_14 Depth=1
	s_andn2_saveexec_b64 s[22:23], s[22:23]
; %bb.33:                               ;   in Loop: Header=BB257_14 Depth=1
	v_or_b32_e32 v42, 0x10000, v41
	v_cmp_eq_u32_sdwa vcc, v41, v95 src0_sel:WORD_0 src1_sel:DWORD
	s_nop 1
	v_cndmask_b32_e32 v42, v42, v41, vcc
; %bb.34:                               ;   in Loop: Header=BB257_14 Depth=1
	s_or_b64 exec, exec, s[22:23]
	v_cvt_f32_i32_e32 v37, v37
	s_waitcnt vmcnt(14)
	v_lshlrev_b32_e32 v39, 16, v39
	global_store_short_d16_hi v[0:1], v42, off offset:4
	v_add_f32_e32 v37, v40, v37
	v_add_f32_e32 v37, v37, v39
	v_and_b32_e32 v39, 0x7f800000, v37
	v_cmp_ne_u32_e32 vcc, s31, v39
                                        ; implicit-def: $vgpr39
	s_and_saveexec_b64 s[22:23], vcc
	s_xor_b64 s[22:23], exec, s[22:23]
; %bb.35:                               ;   in Loop: Header=BB257_14 Depth=1
	v_bfe_u32 v39, v37, 16, 1
	v_add3_u32 v39, v37, v39, s33
                                        ; implicit-def: $vgpr37
; %bb.36:                               ;   in Loop: Header=BB257_14 Depth=1
	s_andn2_saveexec_b64 s[22:23], s[22:23]
; %bb.37:                               ;   in Loop: Header=BB257_14 Depth=1
	v_or_b32_e32 v39, 0x10000, v37
	v_cmp_eq_u32_sdwa vcc, v37, v95 src0_sel:WORD_0 src1_sel:DWORD
	s_nop 1
	v_cndmask_b32_e32 v39, v39, v37, vcc
; %bb.38:                               ;   in Loop: Header=BB257_14 Depth=1
	s_or_b64 exec, exec, s[22:23]
	v_cvt_f32_i32_e32 v33, v33
	global_store_short_d16_hi v[0:1], v39, off offset:6
	s_waitcnt vmcnt(15)
	v_lshlrev_b32_e32 v1, 16, v38
	v_add_f32_e32 v0, v36, v33
	v_add_f32_e32 v1, v0, v1
	v_and_b32_e32 v0, 0x7f800000, v1
	v_cmp_ne_u32_e32 vcc, s31, v0
                                        ; implicit-def: $vgpr0
	s_and_saveexec_b64 s[22:23], vcc
	s_xor_b64 s[22:23], exec, s[22:23]
; %bb.39:                               ;   in Loop: Header=BB257_14 Depth=1
	v_bfe_u32 v0, v1, 16, 1
	v_add3_u32 v0, v1, v0, s33
                                        ; implicit-def: $vgpr1
; %bb.40:                               ;   in Loop: Header=BB257_14 Depth=1
	s_andn2_saveexec_b64 s[22:23], s[22:23]
; %bb.41:                               ;   in Loop: Header=BB257_14 Depth=1
	v_or_b32_e32 v0, 0x10000, v1
	v_cmp_eq_u32_sdwa vcc, v1, v95 src0_sel:WORD_0 src1_sel:DWORD
	s_nop 1
	v_cndmask_b32_e32 v0, v0, v1, vcc
; %bb.42:                               ;   in Loop: Header=BB257_14 Depth=1
	s_or_b64 exec, exec, s[22:23]
	v_cvt_f32_i32_e32 v1, v30
	v_add_u32_e32 v94, s7, v92
	v_lshl_add_u64 v[36:37], v[94:95], 1, s[10:11]
	global_store_short_d16_hi v[36:37], v0, off
	v_add_f32_e32 v0, v32, v1
	s_waitcnt vmcnt(15)
	v_lshlrev_b32_e32 v1, 16, v35
	v_add_f32_e32 v1, v0, v1
	v_and_b32_e32 v0, 0x7f800000, v1
	v_cmp_ne_u32_e32 vcc, s31, v0
                                        ; implicit-def: $vgpr0
	s_and_saveexec_b64 s[22:23], vcc
	s_xor_b64 s[22:23], exec, s[22:23]
; %bb.43:                               ;   in Loop: Header=BB257_14 Depth=1
	v_bfe_u32 v0, v1, 16, 1
	v_add3_u32 v0, v1, v0, s33
                                        ; implicit-def: $vgpr1
; %bb.44:                               ;   in Loop: Header=BB257_14 Depth=1
	s_andn2_saveexec_b64 s[22:23], s[22:23]
; %bb.45:                               ;   in Loop: Header=BB257_14 Depth=1
	v_or_b32_e32 v0, 0x10000, v1
	v_cmp_eq_u32_sdwa vcc, v1, v95 src0_sel:WORD_0 src1_sel:DWORD
	s_nop 1
	v_cndmask_b32_e32 v0, v0, v1, vcc
; %bb.46:                               ;   in Loop: Header=BB257_14 Depth=1
	s_or_b64 exec, exec, s[22:23]
	v_cvt_f32_i32_e32 v1, v29
	v_add_u32_e32 v32, 1, v94
	v_mov_b32_e32 v33, v95
	v_lshl_add_u64 v[32:33], v[32:33], 1, s[10:11]
	v_add_f32_e32 v1, v28, v1
	global_store_short_d16_hi v[32:33], v0, off
	s_waitcnt vmcnt(15)
	v_lshlrev_b32_e32 v0, 16, v34
	v_add_f32_e32 v1, v1, v0
	v_and_b32_e32 v0, 0x7f800000, v1
	v_cmp_ne_u32_e32 vcc, s31, v0
                                        ; implicit-def: $vgpr0
	s_and_saveexec_b64 s[22:23], vcc
	s_xor_b64 s[22:23], exec, s[22:23]
; %bb.47:                               ;   in Loop: Header=BB257_14 Depth=1
	v_bfe_u32 v0, v1, 16, 1
	v_add3_u32 v0, v1, v0, s33
                                        ; implicit-def: $vgpr1
; %bb.48:                               ;   in Loop: Header=BB257_14 Depth=1
	s_andn2_saveexec_b64 s[22:23], s[22:23]
; %bb.49:                               ;   in Loop: Header=BB257_14 Depth=1
	v_or_b32_e32 v0, 0x10000, v1
	v_cmp_eq_u32_sdwa vcc, v1, v95 src0_sel:WORD_0 src1_sel:DWORD
	s_nop 1
	v_cndmask_b32_e32 v0, v0, v1, vcc
; %bb.50:                               ;   in Loop: Header=BB257_14 Depth=1
	s_or_b64 exec, exec, s[22:23]
	v_cvt_f32_i32_e32 v1, v21
	v_add_u32_e32 v28, 2, v94
	v_mov_b32_e32 v29, v95
	v_lshl_add_u64 v[28:29], v[28:29], 1, s[10:11]
	v_add_f32_e32 v1, v24, v1
	global_store_short_d16_hi v[28:29], v0, off
	;; [unrolled: 27-line block ×3, first 2 shown]
	s_waitcnt vmcnt(15)
	v_lshlrev_b32_e32 v0, 16, v31
	v_add_f32_e32 v0, v1, v0
	v_and_b32_e32 v1, 0x7f800000, v0
	v_cmp_ne_u32_e32 vcc, s31, v1
                                        ; implicit-def: $vgpr17
	s_and_saveexec_b64 s[22:23], vcc
	s_xor_b64 s[22:23], exec, s[22:23]
; %bb.55:                               ;   in Loop: Header=BB257_14 Depth=1
	v_bfe_u32 v1, v0, 16, 1
	v_add3_u32 v17, v0, v1, s33
                                        ; implicit-def: $vgpr0
; %bb.56:                               ;   in Loop: Header=BB257_14 Depth=1
	s_andn2_saveexec_b64 s[22:23], s[22:23]
; %bb.57:                               ;   in Loop: Header=BB257_14 Depth=1
	v_or_b32_e32 v1, 0x10000, v0
	v_cmp_eq_u32_sdwa vcc, v0, v95 src0_sel:WORD_0 src1_sel:DWORD
	s_nop 1
	v_cndmask_b32_e32 v17, v1, v0, vcc
; %bb.58:                               ;   in Loop: Header=BB257_14 Depth=1
	s_or_b64 exec, exec, s[22:23]
	v_cvt_f32_i32_e32 v15, v15
	v_add_u32_e32 v94, s7, v94
	v_lshl_add_u64 v[0:1], v[94:95], 1, s[10:11]
	global_store_short_d16_hi v[0:1], v17, off
	v_add_f32_e32 v15, v16, v15
	s_waitcnt vmcnt(15)
	v_lshlrev_b32_e32 v16, 16, v26
	v_add_f32_e32 v15, v15, v16
	v_and_b32_e32 v16, 0x7f800000, v15
	v_cmp_ne_u32_e32 vcc, s31, v16
                                        ; implicit-def: $vgpr16
	s_and_saveexec_b64 s[22:23], vcc
	s_xor_b64 s[22:23], exec, s[22:23]
; %bb.59:                               ;   in Loop: Header=BB257_14 Depth=1
	v_bfe_u32 v16, v15, 16, 1
	v_add3_u32 v16, v15, v16, s33
                                        ; implicit-def: $vgpr15
; %bb.60:                               ;   in Loop: Header=BB257_14 Depth=1
	s_andn2_saveexec_b64 s[22:23], s[22:23]
; %bb.61:                               ;   in Loop: Header=BB257_14 Depth=1
	v_or_b32_e32 v16, 0x10000, v15
	v_cmp_eq_u32_sdwa vcc, v15, v95 src0_sel:WORD_0 src1_sel:DWORD
	s_nop 1
	v_cndmask_b32_e32 v16, v16, v15, vcc
; %bb.62:                               ;   in Loop: Header=BB257_14 Depth=1
	s_or_b64 exec, exec, s[22:23]
	v_cvt_f32_i32_e32 v14, v14
	global_store_short_d16_hi v[0:1], v16, off offset:2
	s_waitcnt vmcnt(15)
	v_lshlrev_b32_e32 v1, 16, v25
	v_add_f32_e32 v0, v13, v14
	v_add_f32_e32 v1, v0, v1
	v_and_b32_e32 v0, 0x7f800000, v1
	v_cmp_ne_u32_e32 vcc, s31, v0
                                        ; implicit-def: $vgpr0
	s_and_saveexec_b64 s[22:23], vcc
	s_xor_b64 s[22:23], exec, s[22:23]
; %bb.63:                               ;   in Loop: Header=BB257_14 Depth=1
	v_bfe_u32 v0, v1, 16, 1
	v_add3_u32 v0, v1, v0, s33
                                        ; implicit-def: $vgpr1
; %bb.64:                               ;   in Loop: Header=BB257_14 Depth=1
	s_andn2_saveexec_b64 s[22:23], s[22:23]
; %bb.65:                               ;   in Loop: Header=BB257_14 Depth=1
	v_or_b32_e32 v0, 0x10000, v1
	v_cmp_eq_u32_sdwa vcc, v1, v95 src0_sel:WORD_0 src1_sel:DWORD
	s_nop 1
	v_cndmask_b32_e32 v0, v0, v1, vcc
; %bb.66:                               ;   in Loop: Header=BB257_14 Depth=1
	s_or_b64 exec, exec, s[22:23]
	v_cvt_f32_i32_e32 v1, v7
	v_add_u32_e32 v14, 2, v94
	v_mov_b32_e32 v15, v95
	v_lshl_add_u64 v[14:15], v[14:15], 1, s[10:11]
	v_add_f32_e32 v1, v12, v1
	global_store_short_d16_hi v[14:15], v0, off
	s_waitcnt vmcnt(15)
	v_lshlrev_b32_e32 v0, 16, v23
	v_add_f32_e32 v1, v1, v0
	v_and_b32_e32 v0, 0x7f800000, v1
	v_cmp_ne_u32_e32 vcc, s31, v0
                                        ; implicit-def: $vgpr0
	s_and_saveexec_b64 s[22:23], vcc
	s_xor_b64 s[22:23], exec, s[22:23]
; %bb.67:                               ;   in Loop: Header=BB257_14 Depth=1
	v_bfe_u32 v0, v1, 16, 1
	v_add3_u32 v0, v1, v0, s33
                                        ; implicit-def: $vgpr1
; %bb.68:                               ;   in Loop: Header=BB257_14 Depth=1
	s_andn2_saveexec_b64 s[22:23], s[22:23]
; %bb.69:                               ;   in Loop: Header=BB257_14 Depth=1
	v_or_b32_e32 v0, 0x10000, v1
	v_cmp_eq_u32_sdwa vcc, v1, v95 src0_sel:WORD_0 src1_sel:DWORD
	s_nop 1
	v_cndmask_b32_e32 v0, v0, v1, vcc
; %bb.70:                               ;   in Loop: Header=BB257_14 Depth=1
	s_or_b64 exec, exec, s[22:23]
	v_cvt_f32_i32_e32 v1, v10
	v_add_u32_e32 v12, 3, v94
	v_mov_b32_e32 v13, v95
	v_lshl_add_u64 v[12:13], v[12:13], 1, s[10:11]
	v_add_f32_e32 v1, v9, v1
	global_store_short_d16_hi v[12:13], v0, off
	s_waitcnt vmcnt(15)
	v_lshlrev_b32_e32 v0, 16, v22
	v_add_f32_e32 v1, v1, v0
	v_and_b32_e32 v0, 0x7f800000, v1
	v_cmp_ne_u32_e32 vcc, s31, v0
                                        ; implicit-def: $vgpr0
	s_and_saveexec_b64 s[22:23], vcc
	s_xor_b64 s[22:23], exec, s[22:23]
; %bb.71:                               ;   in Loop: Header=BB257_14 Depth=1
	v_bfe_u32 v0, v1, 16, 1
	v_add3_u32 v0, v1, v0, s33
                                        ; implicit-def: $vgpr1
; %bb.72:                               ;   in Loop: Header=BB257_14 Depth=1
	s_andn2_saveexec_b64 s[22:23], s[22:23]
; %bb.73:                               ;   in Loop: Header=BB257_14 Depth=1
	v_or_b32_e32 v0, 0x10000, v1
	v_cmp_eq_u32_sdwa vcc, v1, v95 src0_sel:WORD_0 src1_sel:DWORD
	s_nop 1
	v_cndmask_b32_e32 v0, v0, v1, vcc
; %bb.74:                               ;   in Loop: Header=BB257_14 Depth=1
	s_or_b64 exec, exec, s[22:23]
	v_cvt_f32_i32_e32 v1, v8
	v_add_u32_e32 v94, s7, v94
	v_lshl_add_u64 v[8:9], v[94:95], 1, s[10:11]
	global_store_short_d16_hi v[8:9], v0, off
	v_add_f32_e32 v0, v6, v1
	s_waitcnt vmcnt(15)
	v_lshlrev_b32_e32 v1, 16, v19
	v_add_f32_e32 v1, v0, v1
	v_and_b32_e32 v0, 0x7f800000, v1
	v_cmp_ne_u32_e32 vcc, s31, v0
                                        ; implicit-def: $vgpr0
	s_and_saveexec_b64 s[22:23], vcc
	s_xor_b64 s[22:23], exec, s[22:23]
; %bb.75:                               ;   in Loop: Header=BB257_14 Depth=1
	v_bfe_u32 v0, v1, 16, 1
	v_add3_u32 v0, v1, v0, s33
                                        ; implicit-def: $vgpr1
; %bb.76:                               ;   in Loop: Header=BB257_14 Depth=1
	s_andn2_saveexec_b64 s[22:23], s[22:23]
; %bb.77:                               ;   in Loop: Header=BB257_14 Depth=1
	v_or_b32_e32 v0, 0x10000, v1
	v_cmp_eq_u32_sdwa vcc, v1, v95 src0_sel:WORD_0 src1_sel:DWORD
	s_nop 1
	v_cndmask_b32_e32 v0, v0, v1, vcc
; %bb.78:                               ;   in Loop: Header=BB257_14 Depth=1
	s_or_b64 exec, exec, s[22:23]
	v_cvt_f32_i32_e32 v1, v5
	v_add_u32_e32 v6, 1, v94
	v_mov_b32_e32 v7, v95
	v_lshl_add_u64 v[6:7], v[6:7], 1, s[10:11]
	v_add_f32_e32 v1, v4, v1
	global_store_short_d16_hi v[6:7], v0, off
	s_waitcnt vmcnt(15)
	v_lshlrev_b32_e32 v0, 16, v18
	v_add_f32_e32 v1, v1, v0
	v_and_b32_e32 v0, 0x7f800000, v1
	v_cmp_ne_u32_e32 vcc, s31, v0
                                        ; implicit-def: $vgpr0
	s_and_saveexec_b64 s[22:23], vcc
	s_xor_b64 s[22:23], exec, s[22:23]
; %bb.79:                               ;   in Loop: Header=BB257_14 Depth=1
	v_bfe_u32 v0, v1, 16, 1
	v_add3_u32 v0, v1, v0, s33
                                        ; implicit-def: $vgpr1
; %bb.80:                               ;   in Loop: Header=BB257_14 Depth=1
	s_andn2_saveexec_b64 s[22:23], s[22:23]
; %bb.81:                               ;   in Loop: Header=BB257_14 Depth=1
	v_or_b32_e32 v0, 0x10000, v1
	v_cmp_eq_u32_sdwa vcc, v1, v95 src0_sel:WORD_0 src1_sel:DWORD
	s_nop 1
	v_cndmask_b32_e32 v0, v0, v1, vcc
; %bb.82:                               ;   in Loop: Header=BB257_14 Depth=1
	s_or_b64 exec, exec, s[22:23]
	v_cvt_f32_i32_e32 v1, v3
	v_add_u32_e32 v4, 2, v94
	v_mov_b32_e32 v5, v95
	v_lshl_add_u64 v[4:5], v[4:5], 1, s[10:11]
	v_add_f32_e32 v1, v2, v1
	global_store_short_d16_hi v[4:5], v0, off
	s_waitcnt vmcnt(15)
	v_lshlrev_b32_e32 v0, 16, v11
	v_add_f32_e32 v1, v1, v0
	v_and_b32_e32 v0, 0x7f800000, v1
	v_cmp_ne_u32_e32 vcc, s31, v0
                                        ; implicit-def: $vgpr0
	s_and_saveexec_b64 s[22:23], vcc
	s_xor_b64 s[22:23], exec, s[22:23]
; %bb.83:                               ;   in Loop: Header=BB257_14 Depth=1
	v_bfe_u32 v0, v1, 16, 1
	v_add3_u32 v0, v1, v0, s33
                                        ; implicit-def: $vgpr1
; %bb.84:                               ;   in Loop: Header=BB257_14 Depth=1
	s_andn2_saveexec_b64 s[22:23], s[22:23]
	s_cbranch_execz .LBB257_12
; %bb.85:                               ;   in Loop: Header=BB257_14 Depth=1
	v_or_b32_e32 v0, 0x10000, v1
	v_cmp_eq_u32_sdwa vcc, v1, v95 src0_sel:WORD_0 src1_sel:DWORD
	s_nop 1
	v_cndmask_b32_e32 v0, v0, v1, vcc
	s_branch .LBB257_12
.LBB257_86:
	s_endpgm
	.section	.rodata,"a",@progbits
	.p2align	6, 0x0
	.amdhsa_kernel _Z16wvSplitK_hf_sml_I14__hip_bfloat16Li32ELi4ELi16ELi8ELi1ELi4EEviiiiiiPKT_S3_S3_PS1_ii
		.amdhsa_group_segment_fixed_size 65536
		.amdhsa_private_segment_fixed_size 0
		.amdhsa_kernarg_size 64
		.amdhsa_user_sgpr_count 2
		.amdhsa_user_sgpr_dispatch_ptr 0
		.amdhsa_user_sgpr_queue_ptr 0
		.amdhsa_user_sgpr_kernarg_segment_ptr 1
		.amdhsa_user_sgpr_dispatch_id 0
		.amdhsa_user_sgpr_kernarg_preload_length 0
		.amdhsa_user_sgpr_kernarg_preload_offset 0
		.amdhsa_user_sgpr_private_segment_size 0
		.amdhsa_uses_dynamic_stack 0
		.amdhsa_enable_private_segment 0
		.amdhsa_system_sgpr_workgroup_id_x 1
		.amdhsa_system_sgpr_workgroup_id_y 0
		.amdhsa_system_sgpr_workgroup_id_z 0
		.amdhsa_system_sgpr_workgroup_info 0
		.amdhsa_system_vgpr_workitem_id 1
		.amdhsa_next_free_vgpr 111
		.amdhsa_next_free_sgpr 34
		.amdhsa_accum_offset 112
		.amdhsa_reserve_vcc 1
		.amdhsa_float_round_mode_32 0
		.amdhsa_float_round_mode_16_64 0
		.amdhsa_float_denorm_mode_32 3
		.amdhsa_float_denorm_mode_16_64 3
		.amdhsa_dx10_clamp 1
		.amdhsa_ieee_mode 1
		.amdhsa_fp16_overflow 0
		.amdhsa_tg_split 0
		.amdhsa_exception_fp_ieee_invalid_op 0
		.amdhsa_exception_fp_denorm_src 0
		.amdhsa_exception_fp_ieee_div_zero 0
		.amdhsa_exception_fp_ieee_overflow 0
		.amdhsa_exception_fp_ieee_underflow 0
		.amdhsa_exception_fp_ieee_inexact 0
		.amdhsa_exception_int_div_zero 0
	.end_amdhsa_kernel
	.section	.text._Z16wvSplitK_hf_sml_I14__hip_bfloat16Li32ELi4ELi16ELi8ELi1ELi4EEviiiiiiPKT_S3_S3_PS1_ii,"axG",@progbits,_Z16wvSplitK_hf_sml_I14__hip_bfloat16Li32ELi4ELi16ELi8ELi1ELi4EEviiiiiiPKT_S3_S3_PS1_ii,comdat
.Lfunc_end257:
	.size	_Z16wvSplitK_hf_sml_I14__hip_bfloat16Li32ELi4ELi16ELi8ELi1ELi4EEviiiiiiPKT_S3_S3_PS1_ii, .Lfunc_end257-_Z16wvSplitK_hf_sml_I14__hip_bfloat16Li32ELi4ELi16ELi8ELi1ELi4EEviiiiiiPKT_S3_S3_PS1_ii
                                        ; -- End function
	.section	.AMDGPU.csdata,"",@progbits
; Kernel info:
; codeLenInByte = 6316
; NumSgprs: 40
; NumVgprs: 111
; NumAgprs: 0
; TotalNumVgprs: 111
; ScratchSize: 0
; MemoryBound: 0
; FloatMode: 240
; IeeeMode: 1
; LDSByteSize: 65536 bytes/workgroup (compile time only)
; SGPRBlocks: 4
; VGPRBlocks: 13
; NumSGPRsForWavesPerEU: 40
; NumVGPRsForWavesPerEU: 111
; AccumOffset: 112
; Occupancy: 2
; WaveLimiterHint : 0
; COMPUTE_PGM_RSRC2:SCRATCH_EN: 0
; COMPUTE_PGM_RSRC2:USER_SGPR: 2
; COMPUTE_PGM_RSRC2:TRAP_HANDLER: 0
; COMPUTE_PGM_RSRC2:TGID_X_EN: 1
; COMPUTE_PGM_RSRC2:TGID_Y_EN: 0
; COMPUTE_PGM_RSRC2:TGID_Z_EN: 0
; COMPUTE_PGM_RSRC2:TIDIG_COMP_CNT: 1
; COMPUTE_PGM_RSRC3_GFX90A:ACCUM_OFFSET: 27
; COMPUTE_PGM_RSRC3_GFX90A:TG_SPLIT: 0
	.section	.text._Z12wvSplitK_hf_I14__hip_bfloat16Li32ELi4ELi16ELi8ELi1ELi4EEviiiiiiPKT_S3_S3_PS1_ii,"axG",@progbits,_Z12wvSplitK_hf_I14__hip_bfloat16Li32ELi4ELi16ELi8ELi1ELi4EEviiiiiiPKT_S3_S3_PS1_ii,comdat
	.protected	_Z12wvSplitK_hf_I14__hip_bfloat16Li32ELi4ELi16ELi8ELi1ELi4EEviiiiiiPKT_S3_S3_PS1_ii ; -- Begin function _Z12wvSplitK_hf_I14__hip_bfloat16Li32ELi4ELi16ELi8ELi1ELi4EEviiiiiiPKT_S3_S3_PS1_ii
	.globl	_Z12wvSplitK_hf_I14__hip_bfloat16Li32ELi4ELi16ELi8ELi1ELi4EEviiiiiiPKT_S3_S3_PS1_ii
	.p2align	8
	.type	_Z12wvSplitK_hf_I14__hip_bfloat16Li32ELi4ELi16ELi8ELi1ELi4EEviiiiiiPKT_S3_S3_PS1_ii,@function
_Z12wvSplitK_hf_I14__hip_bfloat16Li32ELi4ELi16ELi8ELi1ELi4EEviiiiiiPKT_S3_S3_PS1_ii: ; @_Z12wvSplitK_hf_I14__hip_bfloat16Li32ELi4ELi16ELi8ELi1ELi4EEviiiiiiPKT_S3_S3_PS1_ii
; %bb.0:
	s_load_dwordx2 s[8:9], s[0:1], 0x38
	s_load_dwordx2 s[20:21], s[0:1], 0x20
	s_load_dwordx4 s[12:15], s[0:1], 0x0
	s_load_dwordx2 s[22:23], s[0:1], 0x10
	v_bfe_u32 v1, v0, 10, 10
	s_waitcnt lgkmcnt(0)
	s_mul_i32 s2, s2, s8
	v_add_lshl_u32 v102, s2, v1, 2
	s_mov_b32 s4, 1
	v_add_u32_e32 v2, 4, v102
	s_mov_b32 s5, s4
	v_cmp_gt_u32_e32 vcc, s15, v102
	v_cmp_le_u32_e64 s[2:3], s15, v2
	s_mov_b32 s6, s4
	s_mov_b32 s7, s4
	v_mov_b64_e32 v[2:3], s[4:5]
	s_and_b64 s[10:11], vcc, s[2:3]
	v_mov_b64_e32 v[4:5], s[6:7]
	s_and_saveexec_b64 s[2:3], s[10:11]
	s_cbranch_execz .LBB258_6
; %bb.1:
	s_add_i32 s24, s15, -4
	v_mov_b64_e32 v[2:3], s[4:5]
	v_cmp_ne_u32_e32 vcc, s24, v102
	v_mov_b64_e32 v[4:5], s[6:7]
	s_and_saveexec_b64 s[10:11], vcc
	s_cbranch_execz .LBB258_5
; %bb.2:
	v_subrev_u32_e32 v2, s24, v102
	v_cmp_lt_u32_e32 vcc, 1, v2
	s_mov_b64 s[16:17], 0
	s_mov_b64 s[18:19], 0
	v_cndmask_b32_e32 v6, 1, v2, vcc
	s_mov_b32 s5, s4
	s_mov_b32 s6, s4
	;; [unrolled: 1-line block ×3, first 2 shown]
.LBB258_3:                              ; =>This Inner Loop Header: Depth=1
	s_cmp_lg_u32 s18, 3
	s_cselect_b32 s7, s7, 0
	s_cmp_lg_u32 s18, 2
	s_cselect_b32 s6, s6, 0
	;; [unrolled: 2-line block ×4, first 2 shown]
	s_add_u32 s18, s18, 1
	s_addc_u32 s19, s19, 0
	v_cmp_eq_u32_e32 vcc, s18, v6
	v_mov_b64_e32 v[2:3], s[4:5]
	s_or_b64 s[16:17], vcc, s[16:17]
	v_mov_b64_e32 v[4:5], s[6:7]
	s_andn2_b64 exec, exec, s[16:17]
	s_cbranch_execnz .LBB258_3
; %bb.4:
	s_or_b64 exec, exec, s[16:17]
	v_mov_b32_e32 v102, s24
.LBB258_5:
	s_or_b64 exec, exec, s[10:11]
.LBB258_6:
	s_or_b64 exec, exec, s[2:3]
	v_and_b32_e32 v10, 0x3ff, v0
	v_lshlrev_b32_e32 v0, 3, v10
	s_lshl_b32 s33, s14, 2
	v_lshl_add_u32 v11, v1, 8, v0
	s_min_u32 s4, s33, 0x8000
	v_cmp_gt_u32_e32 vcc, s4, v11
	s_and_saveexec_b64 s[2:3], vcc
	s_cbranch_execz .LBB258_15
; %bb.7:
	v_lshlrev_b32_e32 v6, 1, v11
	global_load_dwordx4 v[12:15], v6, s[20:21]
	v_add_u32_e32 v7, 0x1000, v11
	v_cmp_gt_u32_e32 vcc, s4, v7
	s_waitcnt vmcnt(0)
	ds_write_b128 v6, v[12:15]
	s_and_saveexec_b64 s[6:7], vcc
	s_xor_b64 s[6:7], exec, s[6:7]
	s_cbranch_execz .LBB258_15
; %bb.8:
	v_mov_b32_e32 v7, 0
	v_lshl_add_u64 v[8:9], s[20:21], 0, v[6:7]
	v_add_co_u32_e32 v12, vcc, 0x2000, v8
	v_add_u32_e32 v7, 0x2000, v11
	s_nop 0
	v_addc_co_u32_e32 v13, vcc, 0, v9, vcc
	global_load_dwordx4 v[12:15], v[12:13], off
	v_cmp_gt_u32_e32 vcc, s4, v7
	s_waitcnt vmcnt(0)
	ds_write_b128 v6, v[12:15] offset:8192
	s_and_saveexec_b64 s[6:7], vcc
	s_xor_b64 s[6:7], exec, s[6:7]
	s_cbranch_execz .LBB258_15
; %bb.9:
	v_add_co_u32_e32 v12, vcc, 0x4000, v8
	v_add_u32_e32 v7, 0x3000, v11
	s_nop 0
	v_addc_co_u32_e32 v13, vcc, 0, v9, vcc
	global_load_dwordx4 v[12:15], v[12:13], off
	v_cmp_gt_u32_e32 vcc, s4, v7
	s_waitcnt vmcnt(0)
	ds_write_b128 v6, v[12:15] offset:16384
	s_and_saveexec_b64 s[6:7], vcc
	s_xor_b64 s[6:7], exec, s[6:7]
	s_cbranch_execz .LBB258_15
; %bb.10:
	;; [unrolled: 12-line block ×6, first 2 shown]
	v_add_co_u32_e32 v8, vcc, 0xe000, v8
	s_nop 1
	v_addc_co_u32_e32 v9, vcc, 0, v9, vcc
	global_load_dwordx4 v[12:15], v[8:9], off
	s_waitcnt vmcnt(0)
	ds_write_b128 v6, v[12:15] offset:57344
.LBB258_15:
	s_or_b64 exec, exec, s[2:3]
	v_cmp_gt_u32_e32 vcc, s8, v1
	v_cmp_gt_u32_e64 s[2:3], s15, v102
	s_and_b64 s[2:3], vcc, s[2:3]
	s_waitcnt lgkmcnt(0)
	s_barrier
	s_and_saveexec_b64 s[4:5], s[2:3]
	s_cbranch_execz .LBB258_144
; %bb.16:
	s_load_dwordx4 s[16:19], s[0:1], 0x28
	s_load_dwordx2 s[24:25], s[0:1], 0x18
	s_cmp_lg_u32 s12, 0
	s_cselect_b64 s[2:3], -1, 0
	s_add_i32 s38, s12, -8
	s_add_i32 s39, s15, -1
	s_mul_i32 s4, s8, s9
	s_waitcnt lgkmcnt(0)
	s_cmp_lg_u64 s[16:17], 0
	s_cselect_b64 s[28:29], -1, 0
	s_lshl_b32 s40, s4, 2
	s_abs_i32 s4, s23
	v_cvt_f32_u32_e32 v1, s22
	v_cvt_f32_u32_e32 v6, s4
	s_sub_i32 s5, 0, s22
	s_add_i32 s23, s15, -4
	v_rcp_iflag_f32_e32 v1, v1
	v_rcp_iflag_f32_e32 v6, v6
	v_cmp_eq_u32_e64 s[0:1], 31, v10
	s_mov_b64 s[26:27], 0
	v_mul_f32_e32 v1, 0x4f7ffffe, v1
	v_mul_f32_e32 v6, 0x4f7ffffe, v6
	v_cvt_u32_f32_e32 v1, v1
	v_cvt_u32_f32_e32 v6, v6
	v_mov_b32_e32 v105, 0
	v_lshlrev_b32_e32 v124, 4, v10
	v_mul_lo_u32 v7, s5, v1
	s_sub_i32 s5, 0, s4
	v_readfirstlane_b32 s6, v6
	s_mul_i32 s5, s5, s6
	s_mul_hi_u32 s5, s6, s5
	s_add_i32 s6, s6, s5
	s_sub_i32 s5, 1, s4
	s_cmp_lt_u32 s4, 2
	s_cselect_b32 s5, s5, 1
	s_sub_i32 s7, s5, s4
	s_cmp_ge_u32 s5, s4
	s_cselect_b32 s41, s7, s5
	s_lshr_b32 s5, s6, 31
	s_mul_i32 s5, s5, s4
	s_sub_i32 s5, 2, s5
	s_sub_i32 s7, s5, s4
	s_cmp_ge_u32 s5, s4
	s_cselect_b32 s5, s7, s5
	s_sub_i32 s7, s5, s4
	s_cmp_ge_u32 s5, s4
	s_cselect_b32 s42, s7, s5
	s_mul_hi_u32 s5, s6, 3
	s_mul_i32 s5, s5, s4
	s_sub_i32 s5, 3, s5
	s_sub_i32 s6, s5, s4
	s_cmp_ge_u32 s5, s4
	s_cselect_b32 s5, s6, s5
	v_mul_hi_u32 v7, v1, v7
	s_sub_i32 s6, s5, s4
	v_add_u32_e32 v1, v1, v7
	s_cmp_ge_u32 s5, s4
	s_cselect_b32 s43, s6, s5
	s_lshl_b32 s44, s14, 1
	v_mad_u64_u32 v[106:107], s[4:5], s14, 3, v[0:1]
	v_cndmask_b32_e64 v6, 0, 1, s[2:3]
	s_mul_i32 s41, s41, s22
	s_mul_i32 s42, s42, s22
	;; [unrolled: 1-line block ×3, first 2 shown]
	v_add_u32_e32 v125, s44, v0
	s_mul_i32 s45, s14, 6
	v_add_u32_e32 v107, s14, v0
	v_cmp_ne_u32_e64 s[2:3], 1, v6
	s_movk_i32 s14, 0x7fff
	s_mov_b32 s46, 0x7f800000
	s_branch .LBB258_19
.LBB258_17:                             ;   in Loop: Header=BB258_19 Depth=1
	s_or_b64 exec, exec, s[8:9]
	v_mov_b32_e32 v102, s23
.LBB258_18:                             ;   in Loop: Header=BB258_19 Depth=1
	s_or_b64 exec, exec, s[6:7]
	v_cmp_le_u32_e32 vcc, s15, v102
	s_or_b64 s[26:27], vcc, s[26:27]
	s_andn2_b64 exec, exec, s[26:27]
	s_cbranch_execz .LBB258_144
.LBB258_19:                             ; =>This Loop Header: Depth=1
                                        ;     Child Loop BB258_23 Depth 2
                                        ;     Child Loop BB258_142 Depth 2
	s_and_b64 vcc, exec, s[2:3]
	v_add_u32_e32 v112, 1, v102
	v_add_u32_e32 v110, 2, v102
	;; [unrolled: 1-line block ×3, first 2 shown]
	s_waitcnt vmcnt(2)
	v_mov_b32_e32 v17, v105
	s_waitcnt vmcnt(1)
	v_mov_b32_e32 v16, v105
	;; [unrolled: 2-line block ×3, first 2 shown]
	v_mov_b32_e32 v14, v105
	v_mov_b32_e32 v9, v105
	;; [unrolled: 1-line block ×61, first 2 shown]
	s_cbranch_vccnz .LBB258_40
; %bb.20:                               ;   in Loop: Header=BB258_19 Depth=1
	v_min_u32_e32 v6, s39, v102
	v_mul_lo_u32 v114, v6, s13
	v_min_u32_e32 v6, s39, v112
	v_mul_lo_u32 v116, v6, s13
	;; [unrolled: 2-line block ×3, first 2 shown]
	v_min_u32_e32 v6, s39, v108
	v_mov_b32_e32 v22, 0
	v_mov_b32_e32 v115, v105
	;; [unrolled: 1-line block ×4, first 2 shown]
	v_mul_lo_u32 v120, v6, s13
	v_mov_b32_e32 v121, v105
	s_mov_b32 s4, 0
	v_mov_b32_e32 v103, v124
	s_mov_b32 s10, 0
	v_mov_b32_e32 v23, v22
	v_mov_b32_e32 v24, v22
	;; [unrolled: 1-line block ×63, first 2 shown]
	s_branch .LBB258_23
.LBB258_21:                             ;   in Loop: Header=BB258_23 Depth=2
	s_or_b64 exec, exec, s[8:9]
.LBB258_22:                             ;   in Loop: Header=BB258_23 Depth=2
	s_or_b64 exec, exec, s[6:7]
	s_waitcnt vmcnt(0) lgkmcnt(0)
	v_mfma_f32_4x4x4_16b_bf16 v[66:69], v[86:87], v[78:79], v[66:69]
	s_addk_i32 s10, 0x100
	v_mfma_f32_4x4x4_16b_bf16 v[62:65], v[86:87], v[74:75], v[62:65]
	v_add_u32_e32 v103, 0x200, v103
	v_mfma_f32_4x4x4_16b_bf16 v[58:61], v[86:87], v[82:83], v[58:61]
	s_cmp_ge_u32 s10, s12
	v_mfma_f32_4x4x4_16b_bf16 v[54:57], v[86:87], v[70:71], v[54:57]
	v_mfma_f32_4x4x4_16b_bf16 v[50:53], v[90:91], v[78:79], v[50:53]
	v_mfma_f32_4x4x4_16b_bf16 v[46:49], v[90:91], v[74:75], v[46:49]
	v_mfma_f32_4x4x4_16b_bf16 v[42:45], v[90:91], v[82:83], v[42:45]
	v_mfma_f32_4x4x4_16b_bf16 v[38:41], v[90:91], v[70:71], v[38:41]
	v_mfma_f32_4x4x4_16b_bf16 v[34:37], v[98:99], v[78:79], v[34:37]
	v_mfma_f32_4x4x4_16b_bf16 v[30:33], v[98:99], v[74:75], v[30:33]
	v_mfma_f32_4x4x4_16b_bf16 v[26:29], v[98:99], v[82:83], v[26:29]
	v_mfma_f32_4x4x4_16b_bf16 v[22:25], v[98:99], v[70:71], v[22:25]
	v_mfma_f32_4x4x4_16b_bf16 v[18:21], v[94:95], v[78:79], v[18:21]
	v_mfma_f32_4x4x4_16b_bf16 v[10:13], v[94:95], v[74:75], v[10:13]
	v_mfma_f32_4x4x4_16b_bf16 v[6:9], v[94:95], v[82:83], v[6:9]
	v_mfma_f32_4x4x4_16b_bf16 v[14:17], v[94:95], v[70:71], v[14:17]
	v_mfma_f32_4x4x4_16b_bf16 v[66:69], v[88:89], v[80:81], v[66:69]
	v_mfma_f32_4x4x4_16b_bf16 v[62:65], v[88:89], v[76:77], v[62:65]
	v_mfma_f32_4x4x4_16b_bf16 v[58:61], v[88:89], v[84:85], v[58:61]
	v_mfma_f32_4x4x4_16b_bf16 v[54:57], v[88:89], v[72:73], v[54:57]
	v_mfma_f32_4x4x4_16b_bf16 v[50:53], v[92:93], v[80:81], v[50:53]
	v_mfma_f32_4x4x4_16b_bf16 v[46:49], v[92:93], v[76:77], v[46:49]
	v_mfma_f32_4x4x4_16b_bf16 v[42:45], v[92:93], v[84:85], v[42:45]
	v_mfma_f32_4x4x4_16b_bf16 v[38:41], v[92:93], v[72:73], v[38:41]
	v_mfma_f32_4x4x4_16b_bf16 v[34:37], v[100:101], v[80:81], v[34:37]
	v_mfma_f32_4x4x4_16b_bf16 v[30:33], v[100:101], v[76:77], v[30:33]
	v_mfma_f32_4x4x4_16b_bf16 v[26:29], v[100:101], v[84:85], v[26:29]
	v_mfma_f32_4x4x4_16b_bf16 v[22:25], v[100:101], v[72:73], v[22:25]
	v_mfma_f32_4x4x4_16b_bf16 v[18:21], v[96:97], v[80:81], v[18:21]
	v_mfma_f32_4x4x4_16b_bf16 v[10:13], v[96:97], v[76:77], v[10:13]
	v_mfma_f32_4x4x4_16b_bf16 v[6:9], v[96:97], v[84:85], v[6:9]
	v_mfma_f32_4x4x4_16b_bf16 v[14:17], v[96:97], v[72:73], v[14:17]
	s_cbranch_scc1 .LBB258_40
.LBB258_23:                             ;   Parent Loop BB258_19 Depth=1
                                        ; =>  This Inner Loop Header: Depth=2
	v_add_u32_e32 v122, s10, v0
	v_min_u32_e32 v104, s38, v122
	v_lshl_add_u64 v[70:71], v[104:105], 1, s[24:25]
	v_lshl_add_u64 v[72:73], v[114:115], 1, v[70:71]
	;; [unrolled: 1-line block ×4, first 2 shown]
	global_load_dwordx4 v[78:81], v[72:73], off nt
	global_load_dwordx4 v[74:77], v[82:83], off nt
	v_lshl_add_u64 v[88:89], v[120:121], 1, v[70:71]
	global_load_dwordx4 v[82:85], v[86:87], off nt
	global_load_dwordx4 v[70:73], v[88:89], off nt
	s_mov_b32 s5, s4
	v_cmp_gt_u32_e32 vcc, s12, v122
	v_mov_b64_e32 v[86:87], s[4:5]
	v_mov_b32_e32 v95, 0
	v_mov_b32_e32 v94, 0
	;; [unrolled: 1-line block ×4, first 2 shown]
	v_mov_b64_e32 v[88:89], s[4:5]
	v_mov_b64_e32 v[90:91], s[4:5]
	v_mov_b64_e32 v[92:93], s[4:5]
	v_mov_b64_e32 v[98:99], s[4:5]
	v_mov_b64_e32 v[100:101], s[4:5]
	s_and_saveexec_b64 s[6:7], vcc
	s_cbranch_execz .LBB258_22
; %bb.24:                               ;   in Loop: Header=BB258_23 Depth=2
	v_cmp_lt_u32_e32 vcc, s14, v122
                                        ; implicit-def: $vgpr86_vgpr87
	s_and_saveexec_b64 s[8:9], vcc
	s_xor_b64 s[8:9], exec, s[8:9]
	s_cbranch_execz .LBB258_26
; %bb.25:                               ;   in Loop: Header=BB258_23 Depth=2
	v_mov_b32_e32 v123, v105
	v_lshl_add_u64 v[86:87], v[122:123], 1, s[20:21]
	global_load_dwordx4 v[86:89], v[86:87], off
.LBB258_26:                             ;   in Loop: Header=BB258_23 Depth=2
	s_andn2_saveexec_b64 s[8:9], s[8:9]
	s_cbranch_execz .LBB258_28
; %bb.27:                               ;   in Loop: Header=BB258_23 Depth=2
	s_waitcnt vmcnt(0)
	ds_read_b128 v[86:89], v103
.LBB258_28:                             ;   in Loop: Header=BB258_23 Depth=2
	s_or_b64 exec, exec, s[8:9]
	v_add_u32_e32 v104, s10, v107
	v_cmp_lt_u32_e32 vcc, s14, v104
                                        ; implicit-def: $vgpr90_vgpr91
	s_and_saveexec_b64 s[8:9], vcc
	s_xor_b64 s[8:9], exec, s[8:9]
	s_cbranch_execz .LBB258_30
; %bb.29:                               ;   in Loop: Header=BB258_23 Depth=2
	v_lshl_add_u64 v[90:91], v[104:105], 1, s[20:21]
	global_load_dwordx4 v[90:93], v[90:91], off
.LBB258_30:                             ;   in Loop: Header=BB258_23 Depth=2
	s_andn2_saveexec_b64 s[8:9], s[8:9]
	s_cbranch_execz .LBB258_32
; %bb.31:                               ;   in Loop: Header=BB258_23 Depth=2
	s_waitcnt vmcnt(0)
	v_add_u32_e32 v90, s44, v103
	ds_read_b128 v[90:93], v90
.LBB258_32:                             ;   in Loop: Header=BB258_23 Depth=2
	s_or_b64 exec, exec, s[8:9]
	v_add_u32_e32 v104, s10, v125
	v_cmp_lt_u32_e32 vcc, s14, v104
                                        ; implicit-def: $vgpr98_vgpr99
	s_and_saveexec_b64 s[8:9], vcc
	s_xor_b64 s[8:9], exec, s[8:9]
	s_cbranch_execz .LBB258_34
; %bb.33:                               ;   in Loop: Header=BB258_23 Depth=2
	v_lshl_add_u64 v[94:95], v[104:105], 1, s[20:21]
	global_load_dwordx4 v[98:101], v[94:95], off
.LBB258_34:                             ;   in Loop: Header=BB258_23 Depth=2
	s_andn2_saveexec_b64 s[8:9], s[8:9]
	s_cbranch_execz .LBB258_36
; %bb.35:                               ;   in Loop: Header=BB258_23 Depth=2
	v_add_u32_e32 v94, s33, v103
	s_waitcnt vmcnt(0)
	ds_read2_b32 v[98:99], v94 offset1:1
	ds_read2_b32 v[100:101], v94 offset0:2 offset1:3
.LBB258_36:                             ;   in Loop: Header=BB258_23 Depth=2
	s_or_b64 exec, exec, s[8:9]
	v_add_u32_e32 v104, s10, v106
	v_cmp_lt_u32_e32 vcc, s14, v104
                                        ; implicit-def: $vgpr95
	s_and_saveexec_b64 s[8:9], vcc
	s_xor_b64 s[8:9], exec, s[8:9]
	s_cbranch_execz .LBB258_38
; %bb.37:                               ;   in Loop: Header=BB258_23 Depth=2
	v_lshl_add_u64 v[94:95], v[104:105], 1, s[20:21]
	global_load_dwordx4 v[94:97], v[94:95], off
.LBB258_38:                             ;   in Loop: Header=BB258_23 Depth=2
	s_andn2_saveexec_b64 s[8:9], s[8:9]
	s_cbranch_execz .LBB258_21
; %bb.39:                               ;   in Loop: Header=BB258_23 Depth=2
	s_waitcnt vmcnt(0)
	v_add_u32_e32 v94, s45, v103
	ds_read_b128 v[94:97], v94
	s_branch .LBB258_21
.LBB258_40:                             ;   in Loop: Header=BB258_19 Depth=1
	v_cvt_i32_f32_e32 v63, v63
	v_cvt_i32_f32_e32 v64, v64
	;; [unrolled: 1-line block ×4, first 2 shown]
	v_cvt_f32_i32_dpp v63, v63 row_shl:1 row_mask:0xf bank_mask:0xf bound_ctrl:1
	v_cvt_f32_i32_dpp v64, v64 row_shl:2 row_mask:0xf bank_mask:0xf bound_ctrl:1
	;; [unrolled: 1-line block ×3, first 2 shown]
	v_cvt_i32_f32_e32 v68, v68
	v_add_f32_e32 v62, v62, v63
	v_add_f32_e32 v62, v62, v64
	v_add_f32_e32 v62, v62, v65
	v_cvt_i32_f32_e32 v63, v62
	v_cvt_i32_f32_e32 v69, v69
	v_cvt_f32_i32_dpp v67, v67 row_shl:1 row_mask:0xf bank_mask:0xf bound_ctrl:1
	v_cvt_f32_i32_dpp v68, v68 row_shl:2 row_mask:0xf bank_mask:0xf bound_ctrl:1
	;; [unrolled: 1-line block ×4, first 2 shown]
	v_add_f32_e32 v66, v66, v67
	v_add_f32_e32 v66, v66, v68
	;; [unrolled: 1-line block ×3, first 2 shown]
	v_cvt_i32_f32_e32 v63, v62
	v_add_f32_e32 v66, v66, v69
	v_cvt_i32_f32_e32 v59, v59
	v_cvt_i32_f32_e32 v67, v66
	v_cvt_f32_i32_dpp v63, v63 row_shl:8 row_mask:0xf bank_mask:0xf bound_ctrl:1
	v_cvt_i32_f32_e32 v60, v60
	v_cvt_i32_f32_e32 v61, v61
	v_cvt_f32_i32_dpp v59, v59 row_shl:1 row_mask:0xf bank_mask:0xf bound_ctrl:1
	v_cvt_f32_i32_dpp v67, v67 row_shl:4 row_mask:0xf bank_mask:0xf bound_ctrl:1
	v_add_f32_e32 v62, v62, v63
	v_cvt_f32_i32_dpp v60, v60 row_shl:2 row_mask:0xf bank_mask:0xf bound_ctrl:1
	v_cvt_f32_i32_dpp v61, v61 row_shl:3 row_mask:0xf bank_mask:0xf bound_ctrl:1
	v_cvt_i32_f32_e32 v62, v62
	v_cvt_i32_f32_e32 v55, v55
	v_add_f32_e32 v58, v58, v59
	v_cvt_i32_f32_e32 v56, v56
	v_add_f32_e32 v64, v66, v67
	v_add_f32_e32 v58, v58, v60
	v_cvt_i32_f32_e32 v57, v57
	v_cvt_i32_f32_e32 v65, v64
	v_add_f32_e32 v58, v58, v61
	v_cvt_f32_i32_dpp v61, v62 row_shr:15 row_mask:0xf bank_mask:0xf bound_ctrl:1
	v_cvt_f32_i32_dpp v55, v55 row_shl:1 row_mask:0xf bank_mask:0xf bound_ctrl:1
	v_cvt_f32_i32_dpp v56, v56 row_shl:2 row_mask:0xf bank_mask:0xf bound_ctrl:1
	;; [unrolled: 1-line block ×4, first 2 shown]
	v_cvt_i32_f32_e32 v59, v58
	v_cvt_i32_f32_e32 v62, v61
	v_add_f32_e32 v54, v54, v55
	v_add_f32_e32 v54, v54, v56
	;; [unrolled: 1-line block ×4, first 2 shown]
	v_cvt_f32_i32_dpp v59, v59 row_shl:4 row_mask:0xf bank_mask:0xf bound_ctrl:1
	v_cvt_f32_i32_dpp v62, v62 row_bcast:15 row_mask:0xf bank_mask:0xf bound_ctrl:1
	v_cvt_i32_f32_e32 v55, v57
	v_cvt_i32_f32_e32 v64, v64
	;; [unrolled: 1-line block ×4, first 2 shown]
	v_add_f32_e32 v59, v58, v59
	v_add_f32_e32 v54, v61, v62
	v_cvt_f32_i32_dpp v62, v55 row_shl:4 row_mask:0xf bank_mask:0xf bound_ctrl:1
	v_cvt_i32_f32_e32 v53, v53
	v_cvt_f32_i32_dpp v64, v64 row_shr:15 row_mask:0xf bank_mask:0xf bound_ctrl:1
	v_cvt_i32_f32_e32 v63, v59
	v_cvt_i32_f32_e32 v61, v54
	v_cvt_f32_i32_dpp v51, v51 row_shl:1 row_mask:0xf bank_mask:0xf bound_ctrl:1
	v_cvt_f32_i32_dpp v52, v52 row_shl:2 row_mask:0xf bank_mask:0xf bound_ctrl:1
	v_add_f32_e32 v57, v57, v62
	v_cvt_f32_i32_dpp v53, v53 row_shl:3 row_mask:0xf bank_mask:0xf bound_ctrl:1
	v_cvt_i32_f32_e32 v60, v64
	v_cvt_f32_i32_dpp v63, v63 row_shl:8 row_mask:0xf bank_mask:0xf bound_ctrl:1
	v_mov_b32_dpp v55, v61 row_bcast:31 row_mask:0xf bank_mask:0xf bound_ctrl:1
	v_cvt_i32_f32_e32 v61, v57
	v_add_f32_e32 v50, v50, v51
	v_add_f32_e32 v50, v50, v52
	;; [unrolled: 1-line block ×3, first 2 shown]
	v_cvt_f32_i32_dpp v60, v60 row_bcast:15 row_mask:0xf bank_mask:0xf bound_ctrl:1
	v_add_f32_e32 v59, v59, v63
	v_cvt_f32_i32_dpp v61, v61 row_shl:8 row_mask:0xf bank_mask:0xf bound_ctrl:1
	v_cvt_i32_f32_e32 v50, v51
	v_cvt_i32_f32_e32 v59, v59
	;; [unrolled: 1-line block ×4, first 2 shown]
	v_add_f32_e32 v58, v64, v60
	v_add_f32_e32 v53, v57, v61
	v_cvt_f32_i32_dpp v57, v50 row_shl:4 row_mask:0xf bank_mask:0xf bound_ctrl:1
	v_cvt_i32_f32_e32 v49, v49
	v_cvt_i32_f32_e32 v60, v58
	v_cvt_f32_i32_dpp v59, v59 row_shr:15 row_mask:0xf bank_mask:0xf bound_ctrl:1
	v_cvt_f32_i32_dpp v47, v47 row_shl:1 row_mask:0xf bank_mask:0xf bound_ctrl:1
	v_cvt_f32_i32_dpp v48, v48 row_shl:2 row_mask:0xf bank_mask:0xf bound_ctrl:1
	v_add_f32_e32 v51, v51, v57
	v_cvt_f32_i32_dpp v49, v49 row_shl:3 row_mask:0xf bank_mask:0xf bound_ctrl:1
	v_mov_b32_dpp v56, v60 row_bcast:31 row_mask:0xf bank_mask:0xf bound_ctrl:1
	v_cvt_i32_f32_e32 v60, v59
	v_cvt_i32_f32_e32 v57, v51
	v_add_f32_e32 v46, v46, v47
	v_add_f32_e32 v46, v46, v48
	;; [unrolled: 1-line block ×3, first 2 shown]
	v_cvt_f32_i32_dpp v52, v60 row_bcast:15 row_mask:0xf bank_mask:0xf bound_ctrl:1
	v_cvt_f32_i32_dpp v57, v57 row_shl:8 row_mask:0xf bank_mask:0xf bound_ctrl:1
	v_cvt_i32_f32_e32 v47, v46
	v_cvt_i32_f32_e32 v53, v53
	v_add_f32_e32 v50, v59, v52
	v_add_f32_e32 v49, v51, v57
	v_cvt_f32_i32_dpp v51, v47 row_shl:4 row_mask:0xf bank_mask:0xf bound_ctrl:1
	v_cvt_i32_f32_e32 v52, v50
	v_cvt_f32_i32_dpp v53, v53 row_shr:15 row_mask:0xf bank_mask:0xf bound_ctrl:1
	v_cvt_i32_f32_e32 v43, v43
	v_add_f32_e32 v51, v46, v51
	v_cvt_i32_f32_e32 v44, v44
	v_cvt_i32_f32_e32 v48, v53
	v_mov_b32_dpp v47, v52 row_bcast:31 row_mask:0xf bank_mask:0xf bound_ctrl:1
	v_cvt_i32_f32_e32 v52, v51
	v_cvt_i32_f32_e32 v45, v45
	v_cvt_f32_i32_dpp v43, v43 row_shl:1 row_mask:0xf bank_mask:0xf bound_ctrl:1
	v_cvt_f32_i32_dpp v44, v44 row_shl:2 row_mask:0xf bank_mask:0xf bound_ctrl:1
	v_cvt_f32_i32_dpp v48, v48 row_bcast:15 row_mask:0xf bank_mask:0xf bound_ctrl:1
	v_cvt_f32_i32_dpp v52, v52 row_shl:8 row_mask:0xf bank_mask:0xf bound_ctrl:1
	v_cvt_f32_i32_dpp v45, v45 row_shl:3 row_mask:0xf bank_mask:0xf bound_ctrl:1
	v_cvt_i32_f32_e32 v49, v49
	v_add_f32_e32 v42, v42, v43
	v_add_f32_e32 v42, v42, v44
	;; [unrolled: 1-line block ×5, first 2 shown]
	v_cvt_i32_f32_e32 v48, v46
	v_cvt_i32_f32_e32 v51, v51
	v_cvt_i32_f32_e32 v42, v44
	v_cvt_f32_i32_dpp v49, v49 row_shr:15 row_mask:0xf bank_mask:0xf bound_ctrl:1
	v_cvt_i32_f32_e32 v39, v39
	v_cvt_i32_f32_e32 v40, v40
	v_mov_b32_dpp v43, v48 row_bcast:31 row_mask:0xf bank_mask:0xf bound_ctrl:1
	v_cvt_f32_i32_dpp v48, v51 row_shr:15 row_mask:0xf bank_mask:0xf bound_ctrl:1
	v_cvt_f32_i32_dpp v51, v42 row_shl:4 row_mask:0xf bank_mask:0xf bound_ctrl:1
	v_cvt_i32_f32_e32 v41, v41
	v_cvt_i32_f32_e32 v53, v49
	v_cvt_f32_i32_dpp v39, v39 row_shl:1 row_mask:0xf bank_mask:0xf bound_ctrl:1
	v_cvt_f32_i32_dpp v40, v40 row_shl:2 row_mask:0xf bank_mask:0xf bound_ctrl:1
	v_add_f32_e32 v44, v44, v51
	v_cvt_f32_i32_dpp v41, v41 row_shl:3 row_mask:0xf bank_mask:0xf bound_ctrl:1
	v_cvt_f32_i32_dpp v45, v53 row_bcast:15 row_mask:0xf bank_mask:0xf bound_ctrl:1
	v_cvt_i32_f32_e32 v51, v44
	v_add_f32_e32 v38, v38, v39
	v_add_f32_e32 v38, v38, v40
	;; [unrolled: 1-line block ×3, first 2 shown]
	v_cvt_i32_f32_e32 v35, v35
	v_add_f32_e32 v42, v49, v45
	v_cvt_i32_f32_e32 v49, v48
	v_cvt_f32_i32_dpp v51, v51 row_shl:8 row_mask:0xf bank_mask:0xf bound_ctrl:1
	v_cvt_i32_f32_e32 v38, v40
	v_cvt_i32_f32_e32 v36, v36
	;; [unrolled: 1-line block ×3, first 2 shown]
	v_cvt_f32_i32_dpp v35, v35 row_shl:1 row_mask:0xf bank_mask:0xf bound_ctrl:1
	v_cvt_f32_i32_dpp v41, v49 row_bcast:15 row_mask:0xf bank_mask:0xf bound_ctrl:1
	v_add_f32_e32 v39, v44, v51
	v_cvt_f32_i32_dpp v49, v38 row_shl:4 row_mask:0xf bank_mask:0xf bound_ctrl:1
	v_cvt_f32_i32_dpp v36, v36 row_shl:2 row_mask:0xf bank_mask:0xf bound_ctrl:1
	v_cvt_i32_f32_e32 v44, v39
	v_cvt_f32_i32_dpp v37, v37 row_shl:3 row_mask:0xf bank_mask:0xf bound_ctrl:1
	v_add_f32_e32 v34, v34, v35
	v_add_f32_e32 v40, v40, v49
	;; [unrolled: 1-line block ×4, first 2 shown]
	v_cvt_f32_i32_dpp v41, v44 row_shr:15 row_mask:0xf bank_mask:0xf bound_ctrl:1
	v_cvt_i32_f32_e32 v44, v40
	v_add_f32_e32 v34, v34, v37
	v_cvt_i32_f32_e32 v35, v34
	v_cvt_i32_f32_e32 v36, v41
	v_cvt_f32_i32_dpp v44, v44 row_shl:8 row_mask:0xf bank_mask:0xf bound_ctrl:1
	v_cvt_i32_f32_e32 v31, v31
	v_cvt_f32_i32_dpp v35, v35 row_shl:4 row_mask:0xf bank_mask:0xf bound_ctrl:1
	v_cvt_i32_f32_e32 v32, v32
	v_add_f32_e32 v37, v40, v44
	v_cvt_i32_f32_e32 v37, v37
	v_cvt_f32_i32_dpp v36, v36 row_bcast:15 row_mask:0xf bank_mask:0xf bound_ctrl:1
	v_add_f32_e32 v44, v34, v35
	v_cvt_i32_f32_e32 v33, v33
	v_cvt_i32_f32_e32 v35, v44
	v_cvt_f32_i32_dpp v31, v31 row_shl:1 row_mask:0xf bank_mask:0xf bound_ctrl:1
	v_cvt_f32_i32_dpp v32, v32 row_shl:2 row_mask:0xf bank_mask:0xf bound_ctrl:1
	v_cvt_i32_f32_e32 v45, v42
	v_cvt_f32_i32_dpp v37, v37 row_shr:15 row_mask:0xf bank_mask:0xf bound_ctrl:1
	v_add_f32_e32 v34, v41, v36
	v_cvt_f32_i32_dpp v33, v33 row_shl:3 row_mask:0xf bank_mask:0xf bound_ctrl:1
	v_cvt_i32_f32_e32 v41, v34
	v_cvt_f32_i32_dpp v48, v35 row_shl:8 row_mask:0xf bank_mask:0xf bound_ctrl:1
	v_add_f32_e32 v30, v30, v31
	v_cvt_i32_f32_e32 v27, v27
	v_add_f32_e32 v30, v30, v32
	v_cvt_i32_f32_e32 v28, v28
	v_mov_b32_dpp v39, v45 row_bcast:31 row_mask:0xf bank_mask:0xf bound_ctrl:1
	v_cvt_i32_f32_e32 v40, v38
	v_cvt_i32_f32_e32 v45, v37
	v_add_f32_e32 v31, v30, v33
	v_cvt_i32_f32_e32 v29, v29
	v_mov_b32_dpp v35, v41 row_bcast:31 row_mask:0xf bank_mask:0xf bound_ctrl:1
	v_add_f32_e32 v41, v44, v48
	v_cvt_i32_f32_e32 v32, v31
	v_cvt_i32_f32_e32 v41, v41
	v_cvt_f32_i32_dpp v27, v27 row_shl:1 row_mask:0xf bank_mask:0xf bound_ctrl:1
	v_cvt_f32_i32_dpp v28, v28 row_shl:2 row_mask:0xf bank_mask:0xf bound_ctrl:1
	v_mov_b32_dpp v36, v40 row_bcast:31 row_mask:0xf bank_mask:0xf bound_ctrl:1
	v_cvt_f32_i32_dpp v40, v45 row_bcast:15 row_mask:0xf bank_mask:0xf bound_ctrl:1
	v_cvt_f32_i32_dpp v29, v29 row_shl:3 row_mask:0xf bank_mask:0xf bound_ctrl:1
	v_cvt_f32_i32_dpp v32, v32 row_shl:4 row_mask:0xf bank_mask:0xf bound_ctrl:1
	v_cvt_f32_i32_dpp v41, v41 row_shr:15 row_mask:0xf bank_mask:0xf bound_ctrl:1
	v_add_f32_e32 v26, v26, v27
	v_add_f32_e32 v26, v26, v28
	v_cvt_i32_f32_e32 v23, v23
	v_add_f32_e32 v30, v37, v40
	v_add_f32_e32 v28, v26, v29
	v_cvt_i32_f32_e32 v24, v24
	v_cvt_i32_f32_e32 v33, v30
	v_add_f32_e32 v31, v31, v32
	v_cvt_i32_f32_e32 v26, v28
	v_cvt_i32_f32_e32 v25, v25
	;; [unrolled: 1-line block ×4, first 2 shown]
	v_cvt_f32_i32_dpp v23, v23 row_shl:1 row_mask:0xf bank_mask:0xf bound_ctrl:1
	v_cvt_f32_i32_dpp v24, v24 row_shl:2 row_mask:0xf bank_mask:0xf bound_ctrl:1
	v_mov_b32_dpp v27, v33 row_bcast:31 row_mask:0xf bank_mask:0xf bound_ctrl:1
	v_cvt_f32_i32_dpp v33, v26 row_shl:4 row_mask:0xf bank_mask:0xf bound_ctrl:1
	v_cvt_f32_i32_dpp v25, v25 row_shl:3 row_mask:0xf bank_mask:0xf bound_ctrl:1
	v_cvt_f32_i32_dpp v29, v37 row_bcast:15 row_mask:0xf bank_mask:0xf bound_ctrl:1
	v_cvt_f32_i32_dpp v32, v32 row_shl:8 row_mask:0xf bank_mask:0xf bound_ctrl:1
	v_add_f32_e32 v22, v22, v23
	v_add_f32_e32 v22, v22, v24
	;; [unrolled: 1-line block ×6, first 2 shown]
	v_cvt_i32_f32_e32 v31, v28
	v_cvt_i32_f32_e32 v23, v22
	;; [unrolled: 1-line block ×4, first 2 shown]
	v_cvt_f32_i32_dpp v31, v31 row_shl:8 row_mask:0xf bank_mask:0xf bound_ctrl:1
	v_cvt_f32_i32_dpp v23, v23 row_shl:4 row_mask:0xf bank_mask:0xf bound_ctrl:1
	v_cvt_f32_i32_dpp v24, v29 row_shr:15 row_mask:0xf bank_mask:0xf bound_ctrl:1
	v_cvt_i32_f32_e32 v7, v7
	v_add_f32_e32 v25, v28, v31
	v_add_f32_e32 v31, v22, v23
	v_cvt_i32_f32_e32 v25, v25
	v_cvt_i32_f32_e32 v29, v24
	;; [unrolled: 1-line block ×10, first 2 shown]
	v_cvt_f32_i32_dpp v25, v25 row_shr:15 row_mask:0xf bank_mask:0xf bound_ctrl:1
	v_cvt_f32_i32_dpp v29, v29 row_bcast:15 row_mask:0xf bank_mask:0xf bound_ctrl:1
	v_cvt_f32_i32_dpp v32, v22 row_shl:8 row_mask:0xf bank_mask:0xf bound_ctrl:1
	v_cvt_f32_i32_dpp v11, v11 row_shl:1 row_mask:0xf bank_mask:0xf bound_ctrl:1
	;; [unrolled: 1-line block ×6, first 2 shown]
	v_cvt_i32_f32_e32 v9, v9
	v_cvt_f32_i32_dpp v20, v20 row_shl:2 row_mask:0xf bank_mask:0xf bound_ctrl:1
	v_cvt_f32_i32_dpp v13, v13 row_shl:3 row_mask:0xf bank_mask:0xf bound_ctrl:1
	;; [unrolled: 1-line block ×3, first 2 shown]
	v_mov_b32_dpp v23, v28 row_bcast:31 row_mask:0xf bank_mask:0xf bound_ctrl:1
	v_cvt_i32_f32_e32 v28, v25
	v_add_f32_e32 v22, v24, v29
	v_add_f32_e32 v29, v31, v32
	;; [unrolled: 1-line block ×4, first 2 shown]
	v_cvt_i32_f32_e32 v29, v29
	v_add_f32_e32 v18, v18, v19
	v_add_f32_e32 v10, v10, v12
	;; [unrolled: 1-line block ×3, first 2 shown]
	v_cvt_f32_i32_dpp v7, v9 row_shl:3 row_mask:0xf bank_mask:0xf bound_ctrl:1
	v_cvt_i32_f32_e32 v8, v15
	v_add_f32_e32 v18, v18, v20
	v_add_f32_e32 v10, v10, v13
	v_cvt_i32_f32_e32 v9, v16
	v_add_f32_e32 v20, v18, v21
	v_cvt_i32_f32_e32 v11, v10
	v_cvt_i32_f32_e32 v15, v17
	v_cvt_f32_i32_dpp v28, v28 row_bcast:15 row_mask:0xf bank_mask:0xf bound_ctrl:1
	v_cvt_i32_f32_e32 v18, v20
	v_cvt_f32_i32_dpp v29, v29 row_shr:15 row_mask:0xf bank_mask:0xf bound_ctrl:1
	v_add_f32_e32 v6, v6, v7
	v_cvt_f32_i32_dpp v7, v8 row_shl:1 row_mask:0xf bank_mask:0xf bound_ctrl:1
	v_cvt_f32_i32_dpp v8, v9 row_shl:2 row_mask:0xf bank_mask:0xf bound_ctrl:1
	;; [unrolled: 1-line block ×4, first 2 shown]
	v_add_f32_e32 v19, v25, v28
	v_cvt_f32_i32_dpp v25, v18 row_shl:4 row_mask:0xf bank_mask:0xf bound_ctrl:1
	v_cvt_i32_f32_e32 v24, v22
	v_cvt_i32_f32_e32 v31, v29
	v_add_f32_e32 v7, v14, v7
	v_add_f32_e32 v7, v7, v8
	;; [unrolled: 1-line block ×5, first 2 shown]
	v_cvt_i32_f32_e32 v11, v10
	v_cvt_i32_f32_e32 v15, v6
	;; [unrolled: 1-line block ×3, first 2 shown]
	v_mov_b32_dpp v21, v24 row_bcast:31 row_mask:0xf bank_mask:0xf bound_ctrl:1
	v_cvt_f32_i32_dpp v24, v31 row_bcast:15 row_mask:0xf bank_mask:0xf bound_ctrl:1
	v_cvt_i32_f32_e32 v20, v25
	v_cvt_f32_i32_dpp v9, v11 row_shl:8 row_mask:0xf bank_mask:0xf bound_ctrl:1
	v_cvt_f32_i32_dpp v11, v15 row_shl:4 row_mask:0xf bank_mask:0xf bound_ctrl:1
	;; [unrolled: 1-line block ×3, first 2 shown]
	v_add_f32_e32 v18, v29, v24
	v_cvt_f32_i32_dpp v29, v20 row_shl:8 row_mask:0xf bank_mask:0xf bound_ctrl:1
	v_add_f32_e32 v6, v6, v11
	v_add_f32_e32 v7, v7, v8
	v_add_f32_e32 v9, v10, v9
	v_add_f32_e32 v13, v25, v29
	v_cvt_i32_f32_e32 v10, v6
	v_cvt_i32_f32_e32 v8, v7
	;; [unrolled: 1-line block ×4, first 2 shown]
	v_cvt_f32_i32_dpp v10, v10 row_shl:8 row_mask:0xf bank_mask:0xf bound_ctrl:1
	v_cvt_f32_i32_dpp v8, v8 row_shl:8 row_mask:0xf bank_mask:0xf bound_ctrl:1
	v_cvt_f32_i32_dpp v13, v13 row_shr:15 row_mask:0xf bank_mask:0xf bound_ctrl:1
	v_cvt_f32_i32_dpp v9, v9 row_shr:15 row_mask:0xf bank_mask:0xf bound_ctrl:1
	v_add_f32_e32 v6, v6, v10
	v_add_f32_e32 v7, v7, v8
	v_cvt_i32_f32_e32 v11, v13
	v_cvt_i32_f32_e32 v6, v6
	;; [unrolled: 1-line block ×4, first 2 shown]
	v_cvt_f32_i32_dpp v8, v11 row_bcast:15 row_mask:0xf bank_mask:0xf bound_ctrl:1
	v_cvt_f32_i32_dpp v6, v6 row_shr:15 row_mask:0xf bank_mask:0xf bound_ctrl:1
	v_cvt_f32_i32_dpp v7, v7 row_shr:15 row_mask:0xf bank_mask:0xf bound_ctrl:1
	v_cvt_f32_i32_dpp v10, v10 row_bcast:15 row_mask:0xf bank_mask:0xf bound_ctrl:1
	v_add_f32_e32 v13, v13, v8
	v_cvt_i32_f32_e32 v8, v6
	v_cvt_i32_f32_e32 v11, v7
	v_add_f32_e32 v10, v9, v10
	v_cvt_i32_f32_e32 v28, v19
	v_cvt_f32_i32_dpp v8, v8 row_bcast:15 row_mask:0xf bank_mask:0xf bound_ctrl:1
	v_cvt_f32_i32_dpp v9, v11 row_bcast:15 row_mask:0xf bank_mask:0xf bound_ctrl:1
	v_cvt_i32_f32_e32 v24, v18
	v_cvt_i32_f32_e32 v14, v13
	v_add_f32_e32 v8, v6, v8
	v_add_f32_e32 v6, v7, v9
	v_cvt_i32_f32_e32 v11, v10
	v_cvt_i32_f32_e32 v15, v8
	;; [unrolled: 1-line block ×3, first 2 shown]
	v_mov_b32_dpp v20, v28 row_bcast:31 row_mask:0xf bank_mask:0xf bound_ctrl:1
	v_mov_b32_dpp v12, v24 row_bcast:31 row_mask:0xf bank_mask:0xf bound_ctrl:1
	v_mov_b32_dpp v14, v14 row_bcast:31 row_mask:0xf bank_mask:0xf bound_ctrl:1
	v_mov_b32_dpp v11, v11 row_bcast:31 row_mask:0xf bank_mask:0xf bound_ctrl:1
	v_mov_b32_dpp v9, v15 row_bcast:31 row_mask:0xf bank_mask:0xf bound_ctrl:1
	v_mov_b32_dpp v7, v7 row_bcast:31 row_mask:0xf bank_mask:0xf bound_ctrl:1
	s_and_saveexec_b64 s[30:31], s[0:1]
	s_cbranch_execz .LBB258_139
; %bb.41:                               ;   in Loop: Header=BB258_19 Depth=1
	s_andn2_b64 vcc, exec, s[28:29]
	v_mov_b32_e32 v48, 0
	v_mov_b32_e32 v45, 0
	v_mov_b32_e32 v44, 0
	v_mov_b32_e32 v41, 0
	v_mov_b32_e32 v40, 0
	v_mov_b32_e32 v37, 0
	v_mov_b32_e32 v33, 0
	v_mov_b32_e32 v32, 0
	v_mov_b32_e32 v31, 0
	v_mov_b32_e32 v29, 0
	v_mov_b32_e32 v28, 0
	v_mov_b32_e32 v25, 0
	v_mov_b32_e32 v24, 0
	v_mov_b32_e32 v17, 0
	v_mov_b32_e32 v16, 0
	v_mov_b32_e32 v15, 0
	s_cbranch_vccnz .LBB258_43
; %bb.42:                               ;   in Loop: Header=BB258_19 Depth=1
	v_mul_hi_u32 v15, v102, v1
	v_mul_lo_u32 v15, v15, s22
	v_sub_u32_e32 v15, v102, v15
	v_subrev_u32_e32 v16, s22, v15
	v_cmp_le_u32_e32 vcc, s22, v15
	v_mov_b32_e32 v25, v105
	v_mov_b32_e32 v33, v105
	v_cndmask_b32_e32 v15, v15, v16, vcc
	v_subrev_u32_e32 v16, s22, v15
	v_cmp_le_u32_e32 vcc, s22, v15
	v_mov_b32_e32 v53, v105
	v_mov_b32_e32 v63, v105
	v_cndmask_b32_e32 v104, v15, v16, vcc
	v_mul_hi_u32 v15, v112, v1
	v_mul_lo_u32 v15, v15, s22
	v_sub_u32_e32 v15, v112, v15
	v_subrev_u32_e32 v24, s22, v15
	v_cmp_le_u32_e32 vcc, s22, v15
	v_add_u32_e32 v32, s41, v104
	v_lshl_add_u64 v[66:67], v[32:33], 1, s[16:17]
	v_cndmask_b32_e32 v15, v15, v24, vcc
	v_subrev_u32_e32 v24, s22, v15
	v_cmp_le_u32_e32 vcc, s22, v15
	v_lshl_add_u64 v[16:17], v[104:105], 1, s[16:17]
	s_nop 0
	v_cndmask_b32_e32 v24, v15, v24, vcc
	v_mul_hi_u32 v15, v110, v1
	v_mul_lo_u32 v15, v15, s22
	v_sub_u32_e32 v15, v110, v15
	v_lshl_add_u64 v[28:29], v[24:25], 1, s[16:17]
	v_subrev_u32_e32 v25, s22, v15
	v_cmp_le_u32_e32 vcc, s22, v15
	v_add_u32_e32 v32, s41, v24
	v_lshl_add_u64 v[68:69], v[32:33], 1, s[16:17]
	v_cndmask_b32_e32 v15, v15, v25, vcc
	v_subrev_u32_e32 v25, s22, v15
	v_cmp_le_u32_e32 vcc, s22, v15
	s_nop 1
	v_cndmask_b32_e32 v52, v15, v25, vcc
	v_mul_hi_u32 v15, v108, v1
	v_mul_lo_u32 v15, v15, s22
	v_sub_u32_e32 v15, v108, v15
	v_subrev_u32_e32 v25, s22, v15
	v_cmp_le_u32_e32 vcc, s22, v15
	v_add_u32_e32 v32, s41, v52
	v_lshl_add_u64 v[70:71], v[32:33], 1, s[16:17]
	v_cndmask_b32_e32 v15, v15, v25, vcc
	v_subrev_u32_e32 v25, s22, v15
	v_cmp_le_u32_e32 vcc, s22, v15
	v_lshl_add_u64 v[60:61], v[52:53], 1, s[16:17]
	s_nop 0
	v_cndmask_b32_e32 v62, v15, v25, vcc
	v_add_u32_e32 v32, s41, v62
	v_lshl_add_u64 v[64:65], v[62:63], 1, s[16:17]
	v_lshl_add_u64 v[72:73], v[32:33], 1, s[16:17]
	global_load_ushort v48, v[16:17], off
	global_load_ushort v45, v[28:29], off
	;; [unrolled: 1-line block ×8, first 2 shown]
	v_add_u32_e32 v16, s42, v104
	v_mov_b32_e32 v17, v105
	v_add_u32_e32 v104, s43, v104
	v_lshl_add_u64 v[60:61], v[16:17], 1, s[16:17]
	v_add_u32_e32 v16, s42, v24
	v_lshl_add_u64 v[70:71], v[104:105], 1, s[16:17]
	;; [unrolled: 2-line block ×7, first 2 shown]
	v_lshl_add_u64 v[62:63], v[104:105], 1, s[16:17]
	global_load_ushort v31, v[60:61], off
	global_load_ushort v29, v[64:65], off
	;; [unrolled: 1-line block ×8, first 2 shown]
.LBB258_43:                             ;   in Loop: Header=BB258_19 Depth=1
	v_cmp_ne_u32_e32 vcc, 0, v2
	s_and_saveexec_b64 s[6:7], vcc
	s_cbranch_execnz .LBB258_59
; %bb.44:                               ;   in Loop: Header=BB258_19 Depth=1
	s_or_b64 exec, exec, s[6:7]
	v_cmp_ne_u32_e64 s[4:5], 0, v3
	s_and_saveexec_b64 s[8:9], s[4:5]
	s_cbranch_execnz .LBB258_64
.LBB258_45:                             ;   in Loop: Header=BB258_19 Depth=1
	s_or_b64 exec, exec, s[8:9]
	v_cmp_ne_u32_e64 s[6:7], 0, v4
	s_and_saveexec_b64 s[10:11], s[6:7]
	s_cbranch_execnz .LBB258_69
.LBB258_46:                             ;   in Loop: Header=BB258_19 Depth=1
	s_or_b64 exec, exec, s[10:11]
	v_cmp_ne_u32_e64 s[8:9], 0, v5
	s_and_saveexec_b64 s[34:35], s[8:9]
	s_cbranch_execnz .LBB258_74
.LBB258_47:                             ;   in Loop: Header=BB258_19 Depth=1
	s_or_b64 exec, exec, s[34:35]
	v_add_u32_e32 v104, s15, v102
	s_and_saveexec_b64 s[34:35], vcc
	s_cbranch_execnz .LBB258_79
.LBB258_48:                             ;   in Loop: Header=BB258_19 Depth=1
	s_or_b64 exec, exec, s[34:35]
	s_and_saveexec_b64 s[34:35], s[4:5]
	s_cbranch_execnz .LBB258_84
.LBB258_49:                             ;   in Loop: Header=BB258_19 Depth=1
	s_or_b64 exec, exec, s[34:35]
	s_and_saveexec_b64 s[34:35], s[6:7]
	s_cbranch_execnz .LBB258_89
.LBB258_50:                             ;   in Loop: Header=BB258_19 Depth=1
	s_or_b64 exec, exec, s[34:35]
	s_and_saveexec_b64 s[34:35], s[8:9]
	s_cbranch_execnz .LBB258_94
.LBB258_51:                             ;   in Loop: Header=BB258_19 Depth=1
	s_or_b64 exec, exec, s[34:35]
	v_add_u32_e32 v104, s15, v104
	s_and_saveexec_b64 s[34:35], vcc
	s_cbranch_execnz .LBB258_99
.LBB258_52:                             ;   in Loop: Header=BB258_19 Depth=1
	s_or_b64 exec, exec, s[34:35]
	s_and_saveexec_b64 s[34:35], s[4:5]
	s_cbranch_execnz .LBB258_104
.LBB258_53:                             ;   in Loop: Header=BB258_19 Depth=1
	s_or_b64 exec, exec, s[34:35]
	s_and_saveexec_b64 s[34:35], s[6:7]
	s_cbranch_execnz .LBB258_109
.LBB258_54:                             ;   in Loop: Header=BB258_19 Depth=1
	s_or_b64 exec, exec, s[34:35]
	s_and_saveexec_b64 s[34:35], s[8:9]
	s_cbranch_execnz .LBB258_114
.LBB258_55:                             ;   in Loop: Header=BB258_19 Depth=1
	s_or_b64 exec, exec, s[34:35]
	v_add_u32_e32 v104, s15, v104
	s_and_saveexec_b64 s[10:11], vcc
	s_cbranch_execnz .LBB258_119
.LBB258_56:                             ;   in Loop: Header=BB258_19 Depth=1
	s_or_b64 exec, exec, s[10:11]
	s_and_saveexec_b64 s[10:11], s[4:5]
	s_cbranch_execnz .LBB258_124
.LBB258_57:                             ;   in Loop: Header=BB258_19 Depth=1
	s_or_b64 exec, exec, s[10:11]
	s_and_saveexec_b64 s[4:5], s[6:7]
	s_cbranch_execnz .LBB258_129
.LBB258_58:                             ;   in Loop: Header=BB258_19 Depth=1
	s_or_b64 exec, exec, s[4:5]
	s_and_b64 exec, exec, s[8:9]
	s_cbranch_execnz .LBB258_134
	s_branch .LBB258_139
.LBB258_59:                             ;   in Loop: Header=BB258_19 Depth=1
	v_cvt_f32_i32_e32 v49, v56
	s_waitcnt vmcnt(15)
	v_lshlrev_b32_e32 v48, 16, v48
	v_add_f32_e32 v49, v58, v49
	v_add_f32_e32 v49, v49, v48
	v_and_b32_e32 v48, 0x7f800000, v49
	v_cmp_ne_u32_e64 s[4:5], s46, v48
                                        ; implicit-def: $vgpr48
	s_and_saveexec_b64 s[8:9], s[4:5]
	s_xor_b64 s[4:5], exec, s[8:9]
; %bb.60:                               ;   in Loop: Header=BB258_19 Depth=1
	v_bfe_u32 v48, v49, 16, 1
	v_add3_u32 v48, v49, v48, s14
                                        ; implicit-def: $vgpr49
; %bb.61:                               ;   in Loop: Header=BB258_19 Depth=1
	s_andn2_saveexec_b64 s[8:9], s[4:5]
; %bb.62:                               ;   in Loop: Header=BB258_19 Depth=1
	v_or_b32_e32 v48, 0x10000, v49
	v_cmp_eq_u32_sdwa s[4:5], v49, v105 src0_sel:WORD_0 src1_sel:DWORD
	s_nop 1
	v_cndmask_b32_e64 v48, v48, v49, s[4:5]
; %bb.63:                               ;   in Loop: Header=BB258_19 Depth=1
	s_or_b64 exec, exec, s[8:9]
	v_mov_b32_e32 v103, v105
	v_lshl_add_u64 v[52:53], v[102:103], 1, s[18:19]
	global_store_short_d16_hi v[52:53], v48, off
	s_or_b64 exec, exec, s[6:7]
	v_cmp_ne_u32_e64 s[4:5], 0, v3
	s_and_saveexec_b64 s[8:9], s[4:5]
	s_cbranch_execz .LBB258_45
.LBB258_64:                             ;   in Loop: Header=BB258_19 Depth=1
	s_waitcnt vmcnt(15)
	v_cvt_f32_i32_e32 v48, v55
	s_waitcnt vmcnt(14)
	v_lshlrev_b32_e32 v45, 16, v45
	v_add_f32_e32 v48, v54, v48
	v_add_f32_e32 v48, v48, v45
	v_and_b32_e32 v45, 0x7f800000, v48
	v_cmp_ne_u32_e64 s[6:7], s46, v45
                                        ; implicit-def: $vgpr45
	s_and_saveexec_b64 s[10:11], s[6:7]
	s_xor_b64 s[6:7], exec, s[10:11]
; %bb.65:                               ;   in Loop: Header=BB258_19 Depth=1
	v_bfe_u32 v45, v48, 16, 1
	v_add3_u32 v45, v48, v45, s14
                                        ; implicit-def: $vgpr48
; %bb.66:                               ;   in Loop: Header=BB258_19 Depth=1
	s_andn2_saveexec_b64 s[10:11], s[6:7]
; %bb.67:                               ;   in Loop: Header=BB258_19 Depth=1
	v_or_b32_e32 v45, 0x10000, v48
	v_cmp_eq_u32_sdwa s[6:7], v48, v105 src0_sel:WORD_0 src1_sel:DWORD
	s_nop 1
	v_cndmask_b32_e64 v45, v45, v48, s[6:7]
; %bb.68:                               ;   in Loop: Header=BB258_19 Depth=1
	s_or_b64 exec, exec, s[10:11]
	v_mov_b32_e32 v113, v105
	v_lshl_add_u64 v[48:49], v[112:113], 1, s[18:19]
	global_store_short_d16_hi v[48:49], v45, off
	s_or_b64 exec, exec, s[8:9]
	v_cmp_ne_u32_e64 s[6:7], 0, v4
	s_and_saveexec_b64 s[10:11], s[6:7]
	s_cbranch_execz .LBB258_46
.LBB258_69:                             ;   in Loop: Header=BB258_19 Depth=1
	s_waitcnt vmcnt(14)
	v_cvt_f32_i32_e32 v45, v47
	s_waitcnt vmcnt(13)
	v_lshlrev_b32_e32 v44, 16, v44
	v_add_f32_e32 v45, v50, v45
	v_add_f32_e32 v45, v45, v44
	v_and_b32_e32 v44, 0x7f800000, v45
	v_cmp_ne_u32_e64 s[8:9], s46, v44
                                        ; implicit-def: $vgpr44
	s_and_saveexec_b64 s[34:35], s[8:9]
	s_xor_b64 s[8:9], exec, s[34:35]
; %bb.70:                               ;   in Loop: Header=BB258_19 Depth=1
	v_bfe_u32 v44, v45, 16, 1
	v_add3_u32 v44, v45, v44, s14
                                        ; implicit-def: $vgpr45
; %bb.71:                               ;   in Loop: Header=BB258_19 Depth=1
	s_andn2_saveexec_b64 s[34:35], s[8:9]
; %bb.72:                               ;   in Loop: Header=BB258_19 Depth=1
	v_or_b32_e32 v44, 0x10000, v45
	v_cmp_eq_u32_sdwa s[8:9], v45, v105 src0_sel:WORD_0 src1_sel:DWORD
	s_nop 1
	v_cndmask_b32_e64 v44, v44, v45, s[8:9]
; %bb.73:                               ;   in Loop: Header=BB258_19 Depth=1
	s_or_b64 exec, exec, s[34:35]
	v_mov_b32_e32 v111, v105
	v_lshl_add_u64 v[48:49], v[110:111], 1, s[18:19]
	global_store_short_d16_hi v[48:49], v44, off
	s_or_b64 exec, exec, s[10:11]
	v_cmp_ne_u32_e64 s[8:9], 0, v5
	s_and_saveexec_b64 s[34:35], s[8:9]
	s_cbranch_execz .LBB258_47
.LBB258_74:                             ;   in Loop: Header=BB258_19 Depth=1
	v_cvt_f32_i32_e32 v43, v43
	s_waitcnt vmcnt(12)
	v_lshlrev_b32_e32 v41, 16, v41
	v_add_f32_e32 v43, v46, v43
	v_add_f32_e32 v43, v43, v41
	v_and_b32_e32 v41, 0x7f800000, v43
	v_cmp_ne_u32_e64 s[10:11], s46, v41
                                        ; implicit-def: $vgpr41
	s_and_saveexec_b64 s[36:37], s[10:11]
	s_xor_b64 s[10:11], exec, s[36:37]
; %bb.75:                               ;   in Loop: Header=BB258_19 Depth=1
	v_bfe_u32 v41, v43, 16, 1
	v_add3_u32 v41, v43, v41, s14
                                        ; implicit-def: $vgpr43
; %bb.76:                               ;   in Loop: Header=BB258_19 Depth=1
	s_andn2_saveexec_b64 s[36:37], s[10:11]
; %bb.77:                               ;   in Loop: Header=BB258_19 Depth=1
	v_or_b32_e32 v41, 0x10000, v43
	v_cmp_eq_u32_sdwa s[10:11], v43, v105 src0_sel:WORD_0 src1_sel:DWORD
	s_nop 1
	v_cndmask_b32_e64 v41, v41, v43, s[10:11]
; %bb.78:                               ;   in Loop: Header=BB258_19 Depth=1
	s_or_b64 exec, exec, s[36:37]
	v_mov_b32_e32 v109, v105
	v_lshl_add_u64 v[44:45], v[108:109], 1, s[18:19]
	global_store_short_d16_hi v[44:45], v41, off
	s_or_b64 exec, exec, s[34:35]
	v_add_u32_e32 v104, s15, v102
	s_and_saveexec_b64 s[34:35], vcc
	s_cbranch_execz .LBB258_48
.LBB258_79:                             ;   in Loop: Header=BB258_19 Depth=1
	v_cvt_f32_i32_e32 v39, v39
	s_waitcnt vmcnt(11)
	v_lshlrev_b32_e32 v40, 16, v40
	v_add_f32_e32 v39, v42, v39
	v_add_f32_e32 v40, v39, v40
	v_and_b32_e32 v39, 0x7f800000, v40
	v_cmp_ne_u32_e64 s[10:11], s46, v39
                                        ; implicit-def: $vgpr39
	s_and_saveexec_b64 s[36:37], s[10:11]
	s_xor_b64 s[10:11], exec, s[36:37]
; %bb.80:                               ;   in Loop: Header=BB258_19 Depth=1
	v_bfe_u32 v39, v40, 16, 1
	v_add3_u32 v39, v40, v39, s14
                                        ; implicit-def: $vgpr40
; %bb.81:                               ;   in Loop: Header=BB258_19 Depth=1
	s_andn2_saveexec_b64 s[36:37], s[10:11]
; %bb.82:                               ;   in Loop: Header=BB258_19 Depth=1
	v_or_b32_e32 v39, 0x10000, v40
	v_cmp_eq_u32_sdwa s[10:11], v40, v105 src0_sel:WORD_0 src1_sel:DWORD
	s_nop 1
	v_cndmask_b32_e64 v39, v39, v40, s[10:11]
; %bb.83:                               ;   in Loop: Header=BB258_19 Depth=1
	s_or_b64 exec, exec, s[36:37]
	v_lshl_add_u64 v[40:41], v[104:105], 1, s[18:19]
	global_store_short_d16_hi v[40:41], v39, off
	s_or_b64 exec, exec, s[34:35]
	s_and_saveexec_b64 s[34:35], s[4:5]
	s_cbranch_execz .LBB258_49
.LBB258_84:                             ;   in Loop: Header=BB258_19 Depth=1
	v_cvt_f32_i32_e32 v36, v36
	s_waitcnt vmcnt(10)
	v_lshlrev_b32_e32 v37, 16, v37
	v_add_f32_e32 v36, v38, v36
	v_add_f32_e32 v37, v36, v37
	v_and_b32_e32 v36, 0x7f800000, v37
	v_cmp_ne_u32_e64 s[10:11], s46, v36
                                        ; implicit-def: $vgpr36
	s_and_saveexec_b64 s[36:37], s[10:11]
	s_xor_b64 s[10:11], exec, s[36:37]
; %bb.85:                               ;   in Loop: Header=BB258_19 Depth=1
	v_bfe_u32 v36, v37, 16, 1
	v_add3_u32 v36, v37, v36, s14
                                        ; implicit-def: $vgpr37
; %bb.86:                               ;   in Loop: Header=BB258_19 Depth=1
	s_andn2_saveexec_b64 s[36:37], s[10:11]
; %bb.87:                               ;   in Loop: Header=BB258_19 Depth=1
	v_or_b32_e32 v36, 0x10000, v37
	v_cmp_eq_u32_sdwa s[10:11], v37, v105 src0_sel:WORD_0 src1_sel:DWORD
	s_nop 1
	v_cndmask_b32_e64 v36, v36, v37, s[10:11]
; %bb.88:                               ;   in Loop: Header=BB258_19 Depth=1
	s_or_b64 exec, exec, s[36:37]
	v_add_u32_e32 v38, 1, v104
	v_mov_b32_e32 v39, v105
	v_lshl_add_u64 v[38:39], v[38:39], 1, s[18:19]
	global_store_short_d16_hi v[38:39], v36, off
	s_or_b64 exec, exec, s[34:35]
	s_and_saveexec_b64 s[34:35], s[6:7]
	s_cbranch_execz .LBB258_50
.LBB258_89:                             ;   in Loop: Header=BB258_19 Depth=1
	v_cvt_f32_i32_e32 v35, v35
	s_waitcnt vmcnt(9)
	v_lshlrev_b32_e32 v33, 16, v33
	v_add_f32_e32 v34, v34, v35
	v_add_f32_e32 v34, v34, v33
	v_and_b32_e32 v33, 0x7f800000, v34
	v_cmp_ne_u32_e64 s[10:11], s46, v33
                                        ; implicit-def: $vgpr33
	s_and_saveexec_b64 s[36:37], s[10:11]
	s_xor_b64 s[10:11], exec, s[36:37]
; %bb.90:                               ;   in Loop: Header=BB258_19 Depth=1
	v_bfe_u32 v33, v34, 16, 1
	v_add3_u32 v33, v34, v33, s14
                                        ; implicit-def: $vgpr34
; %bb.91:                               ;   in Loop: Header=BB258_19 Depth=1
	s_andn2_saveexec_b64 s[36:37], s[10:11]
; %bb.92:                               ;   in Loop: Header=BB258_19 Depth=1
	v_or_b32_e32 v33, 0x10000, v34
	v_cmp_eq_u32_sdwa s[10:11], v34, v105 src0_sel:WORD_0 src1_sel:DWORD
	s_nop 1
	v_cndmask_b32_e64 v33, v33, v34, s[10:11]
; %bb.93:                               ;   in Loop: Header=BB258_19 Depth=1
	s_or_b64 exec, exec, s[36:37]
	v_add_u32_e32 v34, 2, v104
	v_mov_b32_e32 v35, v105
	v_lshl_add_u64 v[34:35], v[34:35], 1, s[18:19]
	global_store_short_d16_hi v[34:35], v33, off
	s_or_b64 exec, exec, s[34:35]
	s_and_saveexec_b64 s[34:35], s[8:9]
	s_cbranch_execz .LBB258_51
.LBB258_94:                             ;   in Loop: Header=BB258_19 Depth=1
	v_cvt_f32_i32_e32 v27, v27
	v_add_f32_e32 v27, v30, v27
	s_waitcnt vmcnt(8)
	v_lshlrev_b32_e32 v30, 16, v32
	v_add_f32_e32 v30, v27, v30
	v_and_b32_e32 v27, 0x7f800000, v30
	v_cmp_ne_u32_e64 s[10:11], s46, v27
                                        ; implicit-def: $vgpr27
	s_and_saveexec_b64 s[36:37], s[10:11]
	s_xor_b64 s[10:11], exec, s[36:37]
; %bb.95:                               ;   in Loop: Header=BB258_19 Depth=1
	v_bfe_u32 v27, v30, 16, 1
	v_add3_u32 v27, v30, v27, s14
                                        ; implicit-def: $vgpr30
; %bb.96:                               ;   in Loop: Header=BB258_19 Depth=1
	s_andn2_saveexec_b64 s[36:37], s[10:11]
; %bb.97:                               ;   in Loop: Header=BB258_19 Depth=1
	v_or_b32_e32 v27, 0x10000, v30
	v_cmp_eq_u32_sdwa s[10:11], v30, v105 src0_sel:WORD_0 src1_sel:DWORD
	s_nop 1
	v_cndmask_b32_e64 v27, v27, v30, s[10:11]
; %bb.98:                               ;   in Loop: Header=BB258_19 Depth=1
	s_or_b64 exec, exec, s[36:37]
	v_add_u32_e32 v32, 3, v104
	v_mov_b32_e32 v33, v105
	v_lshl_add_u64 v[32:33], v[32:33], 1, s[18:19]
	global_store_short_d16_hi v[32:33], v27, off
	s_or_b64 exec, exec, s[34:35]
	v_add_u32_e32 v104, s15, v104
	s_and_saveexec_b64 s[34:35], vcc
	s_cbranch_execz .LBB258_52
.LBB258_99:                             ;   in Loop: Header=BB258_19 Depth=1
	v_cvt_f32_i32_e32 v23, v23
	v_add_f32_e32 v23, v26, v23
	s_waitcnt vmcnt(7)
	v_lshlrev_b32_e32 v26, 16, v31
	v_add_f32_e32 v26, v23, v26
	v_and_b32_e32 v23, 0x7f800000, v26
	v_cmp_ne_u32_e64 s[10:11], s46, v23
                                        ; implicit-def: $vgpr23
	s_and_saveexec_b64 s[36:37], s[10:11]
	s_xor_b64 s[10:11], exec, s[36:37]
; %bb.100:                              ;   in Loop: Header=BB258_19 Depth=1
	v_bfe_u32 v23, v26, 16, 1
	v_add3_u32 v23, v26, v23, s14
                                        ; implicit-def: $vgpr26
; %bb.101:                              ;   in Loop: Header=BB258_19 Depth=1
	s_andn2_saveexec_b64 s[36:37], s[10:11]
; %bb.102:                              ;   in Loop: Header=BB258_19 Depth=1
	v_or_b32_e32 v23, 0x10000, v26
	v_cmp_eq_u32_sdwa s[10:11], v26, v105 src0_sel:WORD_0 src1_sel:DWORD
	s_nop 1
	v_cndmask_b32_e64 v23, v23, v26, s[10:11]
; %bb.103:                              ;   in Loop: Header=BB258_19 Depth=1
	s_or_b64 exec, exec, s[36:37]
	v_lshl_add_u64 v[26:27], v[104:105], 1, s[18:19]
	global_store_short_d16_hi v[26:27], v23, off
	s_or_b64 exec, exec, s[34:35]
	s_and_saveexec_b64 s[34:35], s[4:5]
	s_cbranch_execz .LBB258_53
.LBB258_104:                            ;   in Loop: Header=BB258_19 Depth=1
	v_cvt_f32_i32_e32 v21, v21
	v_add_f32_e32 v21, v22, v21
	s_waitcnt vmcnt(6)
	v_lshlrev_b32_e32 v22, 16, v29
	v_add_f32_e32 v22, v21, v22
	v_and_b32_e32 v21, 0x7f800000, v22
	v_cmp_ne_u32_e64 s[10:11], s46, v21
                                        ; implicit-def: $vgpr21
	s_and_saveexec_b64 s[36:37], s[10:11]
	s_xor_b64 s[10:11], exec, s[36:37]
; %bb.105:                              ;   in Loop: Header=BB258_19 Depth=1
	v_bfe_u32 v21, v22, 16, 1
	v_add3_u32 v21, v22, v21, s14
                                        ; implicit-def: $vgpr22
; %bb.106:                              ;   in Loop: Header=BB258_19 Depth=1
	s_andn2_saveexec_b64 s[36:37], s[10:11]
; %bb.107:                              ;   in Loop: Header=BB258_19 Depth=1
	v_or_b32_e32 v21, 0x10000, v22
	v_cmp_eq_u32_sdwa s[10:11], v22, v105 src0_sel:WORD_0 src1_sel:DWORD
	s_nop 1
	v_cndmask_b32_e64 v21, v21, v22, s[10:11]
; %bb.108:                              ;   in Loop: Header=BB258_19 Depth=1
	s_or_b64 exec, exec, s[36:37]
	v_add_u32_e32 v22, 1, v104
	v_mov_b32_e32 v23, v105
	v_lshl_add_u64 v[22:23], v[22:23], 1, s[18:19]
	global_store_short_d16_hi v[22:23], v21, off
	s_or_b64 exec, exec, s[34:35]
	s_and_saveexec_b64 s[34:35], s[6:7]
	s_cbranch_execz .LBB258_54
.LBB258_109:                            ;   in Loop: Header=BB258_19 Depth=1
	v_cvt_f32_i32_e32 v20, v20
	v_add_f32_e32 v19, v19, v20
	s_waitcnt vmcnt(5)
	v_lshlrev_b32_e32 v20, 16, v28
	v_add_f32_e32 v20, v19, v20
	v_and_b32_e32 v19, 0x7f800000, v20
	v_cmp_ne_u32_e64 s[10:11], s46, v19
                                        ; implicit-def: $vgpr19
	s_and_saveexec_b64 s[36:37], s[10:11]
	s_xor_b64 s[10:11], exec, s[36:37]
; %bb.110:                              ;   in Loop: Header=BB258_19 Depth=1
	v_bfe_u32 v19, v20, 16, 1
	v_add3_u32 v19, v20, v19, s14
                                        ; implicit-def: $vgpr20
; %bb.111:                              ;   in Loop: Header=BB258_19 Depth=1
	s_andn2_saveexec_b64 s[36:37], s[10:11]
; %bb.112:                              ;   in Loop: Header=BB258_19 Depth=1
	v_or_b32_e32 v19, 0x10000, v20
	v_cmp_eq_u32_sdwa s[10:11], v20, v105 src0_sel:WORD_0 src1_sel:DWORD
	s_nop 1
	v_cndmask_b32_e64 v19, v19, v20, s[10:11]
; %bb.113:                              ;   in Loop: Header=BB258_19 Depth=1
	s_or_b64 exec, exec, s[36:37]
	v_add_u32_e32 v20, 2, v104
	v_mov_b32_e32 v21, v105
	v_lshl_add_u64 v[20:21], v[20:21], 1, s[18:19]
	global_store_short_d16_hi v[20:21], v19, off
	s_or_b64 exec, exec, s[34:35]
	s_and_saveexec_b64 s[34:35], s[8:9]
	s_cbranch_execz .LBB258_55
.LBB258_114:                            ;   in Loop: Header=BB258_19 Depth=1
	v_cvt_f32_i32_e32 v12, v12
	v_add_f32_e32 v12, v18, v12
	s_waitcnt vmcnt(4)
	v_lshlrev_b32_e32 v18, 16, v25
	v_add_f32_e32 v18, v12, v18
	v_and_b32_e32 v12, 0x7f800000, v18
	v_cmp_ne_u32_e64 s[10:11], s46, v12
                                        ; implicit-def: $vgpr12
	s_and_saveexec_b64 s[36:37], s[10:11]
	s_xor_b64 s[10:11], exec, s[36:37]
; %bb.115:                              ;   in Loop: Header=BB258_19 Depth=1
	v_bfe_u32 v12, v18, 16, 1
	v_add3_u32 v12, v18, v12, s14
                                        ; implicit-def: $vgpr18
; %bb.116:                              ;   in Loop: Header=BB258_19 Depth=1
	s_andn2_saveexec_b64 s[36:37], s[10:11]
; %bb.117:                              ;   in Loop: Header=BB258_19 Depth=1
	v_or_b32_e32 v12, 0x10000, v18
	v_cmp_eq_u32_sdwa s[10:11], v18, v105 src0_sel:WORD_0 src1_sel:DWORD
	s_nop 1
	v_cndmask_b32_e64 v12, v12, v18, s[10:11]
; %bb.118:                              ;   in Loop: Header=BB258_19 Depth=1
	s_or_b64 exec, exec, s[36:37]
	v_add_u32_e32 v18, 3, v104
	v_mov_b32_e32 v19, v105
	v_lshl_add_u64 v[18:19], v[18:19], 1, s[18:19]
	global_store_short_d16_hi v[18:19], v12, off
	s_or_b64 exec, exec, s[34:35]
	v_add_u32_e32 v104, s15, v104
	s_and_saveexec_b64 s[10:11], vcc
	s_cbranch_execz .LBB258_56
.LBB258_119:                            ;   in Loop: Header=BB258_19 Depth=1
	v_cvt_f32_i32_e32 v12, v14
	v_add_f32_e32 v12, v13, v12
	s_waitcnt vmcnt(3)
	v_lshlrev_b32_e32 v13, 16, v24
	v_add_f32_e32 v13, v12, v13
	v_and_b32_e32 v12, 0x7f800000, v13
	v_cmp_ne_u32_e32 vcc, s46, v12
                                        ; implicit-def: $vgpr12
	s_and_saveexec_b64 s[34:35], vcc
	s_xor_b64 s[34:35], exec, s[34:35]
; %bb.120:                              ;   in Loop: Header=BB258_19 Depth=1
	v_bfe_u32 v12, v13, 16, 1
	v_add3_u32 v12, v13, v12, s14
                                        ; implicit-def: $vgpr13
; %bb.121:                              ;   in Loop: Header=BB258_19 Depth=1
	s_andn2_saveexec_b64 s[34:35], s[34:35]
; %bb.122:                              ;   in Loop: Header=BB258_19 Depth=1
	v_or_b32_e32 v12, 0x10000, v13
	v_cmp_eq_u32_sdwa vcc, v13, v105 src0_sel:WORD_0 src1_sel:DWORD
	s_nop 1
	v_cndmask_b32_e32 v12, v12, v13, vcc
; %bb.123:                              ;   in Loop: Header=BB258_19 Depth=1
	s_or_b64 exec, exec, s[34:35]
	v_lshl_add_u64 v[18:19], v[104:105], 1, s[18:19]
	global_store_short_d16_hi v[18:19], v12, off
	s_or_b64 exec, exec, s[10:11]
	s_and_saveexec_b64 s[10:11], s[4:5]
	s_cbranch_execz .LBB258_57
.LBB258_124:                            ;   in Loop: Header=BB258_19 Depth=1
	v_cvt_f32_i32_e32 v11, v11
	v_add_f32_e32 v10, v10, v11
	s_waitcnt vmcnt(2)
	v_lshlrev_b32_e32 v11, 16, v17
	v_add_f32_e32 v11, v10, v11
	v_and_b32_e32 v10, 0x7f800000, v11
	v_cmp_ne_u32_e32 vcc, s46, v10
                                        ; implicit-def: $vgpr10
	s_and_saveexec_b64 s[4:5], vcc
	s_xor_b64 s[4:5], exec, s[4:5]
; %bb.125:                              ;   in Loop: Header=BB258_19 Depth=1
	v_bfe_u32 v10, v11, 16, 1
	v_add3_u32 v10, v11, v10, s14
                                        ; implicit-def: $vgpr11
; %bb.126:                              ;   in Loop: Header=BB258_19 Depth=1
	s_andn2_saveexec_b64 s[4:5], s[4:5]
; %bb.127:                              ;   in Loop: Header=BB258_19 Depth=1
	v_or_b32_e32 v10, 0x10000, v11
	v_cmp_eq_u32_sdwa vcc, v11, v105 src0_sel:WORD_0 src1_sel:DWORD
	s_nop 1
	v_cndmask_b32_e32 v10, v10, v11, vcc
; %bb.128:                              ;   in Loop: Header=BB258_19 Depth=1
	s_or_b64 exec, exec, s[4:5]
	v_add_u32_e32 v12, 1, v104
	v_mov_b32_e32 v13, v105
	v_lshl_add_u64 v[12:13], v[12:13], 1, s[18:19]
	global_store_short_d16_hi v[12:13], v10, off
	s_or_b64 exec, exec, s[10:11]
	s_and_saveexec_b64 s[4:5], s[6:7]
	s_cbranch_execz .LBB258_58
.LBB258_129:                            ;   in Loop: Header=BB258_19 Depth=1
	v_cvt_f32_i32_e32 v9, v9
	v_add_f32_e32 v8, v8, v9
	s_waitcnt vmcnt(1)
	v_lshlrev_b32_e32 v9, 16, v16
	v_add_f32_e32 v9, v8, v9
	v_and_b32_e32 v8, 0x7f800000, v9
	v_cmp_ne_u32_e32 vcc, s46, v8
                                        ; implicit-def: $vgpr8
	s_and_saveexec_b64 s[6:7], vcc
	s_xor_b64 s[6:7], exec, s[6:7]
; %bb.130:                              ;   in Loop: Header=BB258_19 Depth=1
	v_bfe_u32 v8, v9, 16, 1
	v_add3_u32 v8, v9, v8, s14
                                        ; implicit-def: $vgpr9
; %bb.131:                              ;   in Loop: Header=BB258_19 Depth=1
	s_andn2_saveexec_b64 s[6:7], s[6:7]
; %bb.132:                              ;   in Loop: Header=BB258_19 Depth=1
	v_or_b32_e32 v8, 0x10000, v9
	v_cmp_eq_u32_sdwa vcc, v9, v105 src0_sel:WORD_0 src1_sel:DWORD
	s_nop 1
	v_cndmask_b32_e32 v8, v8, v9, vcc
; %bb.133:                              ;   in Loop: Header=BB258_19 Depth=1
	s_or_b64 exec, exec, s[6:7]
	v_add_u32_e32 v10, 2, v104
	v_mov_b32_e32 v11, v105
	v_lshl_add_u64 v[10:11], v[10:11], 1, s[18:19]
	global_store_short_d16_hi v[10:11], v8, off
	s_or_b64 exec, exec, s[4:5]
	s_and_b64 exec, exec, s[8:9]
	s_cbranch_execz .LBB258_139
.LBB258_134:                            ;   in Loop: Header=BB258_19 Depth=1
	v_cvt_f32_i32_e32 v7, v7
	v_add_f32_e32 v6, v6, v7
	s_waitcnt vmcnt(0)
	v_lshlrev_b32_e32 v7, 16, v15
	v_add_f32_e32 v7, v6, v7
	v_and_b32_e32 v6, 0x7f800000, v7
	v_cmp_ne_u32_e32 vcc, s46, v6
                                        ; implicit-def: $vgpr6
	s_and_saveexec_b64 s[4:5], vcc
	s_xor_b64 s[4:5], exec, s[4:5]
; %bb.135:                              ;   in Loop: Header=BB258_19 Depth=1
	v_bfe_u32 v6, v7, 16, 1
	v_add3_u32 v6, v7, v6, s14
                                        ; implicit-def: $vgpr7
; %bb.136:                              ;   in Loop: Header=BB258_19 Depth=1
	s_andn2_saveexec_b64 s[4:5], s[4:5]
; %bb.137:                              ;   in Loop: Header=BB258_19 Depth=1
	v_or_b32_e32 v6, 0x10000, v7
	v_cmp_eq_u32_sdwa vcc, v7, v105 src0_sel:WORD_0 src1_sel:DWORD
	s_nop 1
	v_cndmask_b32_e32 v6, v6, v7, vcc
; %bb.138:                              ;   in Loop: Header=BB258_19 Depth=1
	s_or_b64 exec, exec, s[4:5]
	v_add_u32_e32 v104, 3, v104
	v_lshl_add_u64 v[8:9], v[104:105], 1, s[18:19]
	global_store_short_d16_hi v[8:9], v6, off
.LBB258_139:                            ;   in Loop: Header=BB258_19 Depth=1
	s_or_b64 exec, exec, s[30:31]
	v_add_u32_e32 v102, s40, v102
	v_add_u32_e32 v6, 4, v102
	v_cmp_gt_u32_e32 vcc, s15, v102
	v_cmp_le_u32_e64 s[4:5], s15, v6
	s_and_b64 s[4:5], vcc, s[4:5]
	s_and_saveexec_b64 s[6:7], s[4:5]
	s_cbranch_execz .LBB258_18
; %bb.140:                              ;   in Loop: Header=BB258_19 Depth=1
	v_cmp_ne_u32_e32 vcc, s23, v102
	s_and_saveexec_b64 s[8:9], vcc
	s_cbranch_execz .LBB258_17
; %bb.141:                              ;   in Loop: Header=BB258_19 Depth=1
	v_subrev_u32_e32 v6, s23, v102
	v_cmp_lt_u32_e32 vcc, 1, v6
	s_mov_b64 s[10:11], 0
	s_mov_b64 s[30:31], 0
	v_cndmask_b32_e32 v6, 1, v6, vcc
.LBB258_142:                            ;   Parent Loop BB258_19 Depth=1
                                        ; =>  This Inner Loop Header: Depth=2
	s_cmp_lg_u32 s30, 3
	s_cselect_b64 vcc, -1, 0
	s_cmp_lg_u32 s30, 2
	v_cndmask_b32_e32 v5, 0, v5, vcc
	s_cselect_b64 vcc, -1, 0
	s_cmp_lg_u32 s30, 1
	v_cndmask_b32_e32 v4, 0, v4, vcc
	;; [unrolled: 3-line block ×3, first 2 shown]
	s_cselect_b64 vcc, -1, 0
	s_add_u32 s30, s30, 1
	s_addc_u32 s31, s31, 0
	v_cmp_eq_u32_e64 s[4:5], s30, v6
	s_or_b64 s[10:11], s[4:5], s[10:11]
	v_cndmask_b32_e32 v2, 0, v2, vcc
	s_andn2_b64 exec, exec, s[10:11]
	s_cbranch_execnz .LBB258_142
; %bb.143:                              ;   in Loop: Header=BB258_19 Depth=1
	s_or_b64 exec, exec, s[10:11]
	s_branch .LBB258_17
.LBB258_144:
	s_endpgm
	.section	.rodata,"a",@progbits
	.p2align	6, 0x0
	.amdhsa_kernel _Z12wvSplitK_hf_I14__hip_bfloat16Li32ELi4ELi16ELi8ELi1ELi4EEviiiiiiPKT_S3_S3_PS1_ii
		.amdhsa_group_segment_fixed_size 65536
		.amdhsa_private_segment_fixed_size 0
		.amdhsa_kernarg_size 64
		.amdhsa_user_sgpr_count 2
		.amdhsa_user_sgpr_dispatch_ptr 0
		.amdhsa_user_sgpr_queue_ptr 0
		.amdhsa_user_sgpr_kernarg_segment_ptr 1
		.amdhsa_user_sgpr_dispatch_id 0
		.amdhsa_user_sgpr_kernarg_preload_length 0
		.amdhsa_user_sgpr_kernarg_preload_offset 0
		.amdhsa_user_sgpr_private_segment_size 0
		.amdhsa_uses_dynamic_stack 0
		.amdhsa_enable_private_segment 0
		.amdhsa_system_sgpr_workgroup_id_x 1
		.amdhsa_system_sgpr_workgroup_id_y 0
		.amdhsa_system_sgpr_workgroup_id_z 0
		.amdhsa_system_sgpr_workgroup_info 0
		.amdhsa_system_vgpr_workitem_id 1
		.amdhsa_next_free_vgpr 126
		.amdhsa_next_free_sgpr 47
		.amdhsa_accum_offset 128
		.amdhsa_reserve_vcc 1
		.amdhsa_float_round_mode_32 0
		.amdhsa_float_round_mode_16_64 0
		.amdhsa_float_denorm_mode_32 3
		.amdhsa_float_denorm_mode_16_64 3
		.amdhsa_dx10_clamp 1
		.amdhsa_ieee_mode 1
		.amdhsa_fp16_overflow 0
		.amdhsa_tg_split 0
		.amdhsa_exception_fp_ieee_invalid_op 0
		.amdhsa_exception_fp_denorm_src 0
		.amdhsa_exception_fp_ieee_div_zero 0
		.amdhsa_exception_fp_ieee_overflow 0
		.amdhsa_exception_fp_ieee_underflow 0
		.amdhsa_exception_fp_ieee_inexact 0
		.amdhsa_exception_int_div_zero 0
	.end_amdhsa_kernel
	.section	.text._Z12wvSplitK_hf_I14__hip_bfloat16Li32ELi4ELi16ELi8ELi1ELi4EEviiiiiiPKT_S3_S3_PS1_ii,"axG",@progbits,_Z12wvSplitK_hf_I14__hip_bfloat16Li32ELi4ELi16ELi8ELi1ELi4EEviiiiiiPKT_S3_S3_PS1_ii,comdat
.Lfunc_end258:
	.size	_Z12wvSplitK_hf_I14__hip_bfloat16Li32ELi4ELi16ELi8ELi1ELi4EEviiiiiiPKT_S3_S3_PS1_ii, .Lfunc_end258-_Z12wvSplitK_hf_I14__hip_bfloat16Li32ELi4ELi16ELi8ELi1ELi4EEviiiiiiPKT_S3_S3_PS1_ii
                                        ; -- End function
	.section	.AMDGPU.csdata,"",@progbits
; Kernel info:
; codeLenInByte = 7412
; NumSgprs: 53
; NumVgprs: 126
; NumAgprs: 0
; TotalNumVgprs: 126
; ScratchSize: 0
; MemoryBound: 1
; FloatMode: 240
; IeeeMode: 1
; LDSByteSize: 65536 bytes/workgroup (compile time only)
; SGPRBlocks: 6
; VGPRBlocks: 15
; NumSGPRsForWavesPerEU: 53
; NumVGPRsForWavesPerEU: 126
; AccumOffset: 128
; Occupancy: 2
; WaveLimiterHint : 0
; COMPUTE_PGM_RSRC2:SCRATCH_EN: 0
; COMPUTE_PGM_RSRC2:USER_SGPR: 2
; COMPUTE_PGM_RSRC2:TRAP_HANDLER: 0
; COMPUTE_PGM_RSRC2:TGID_X_EN: 1
; COMPUTE_PGM_RSRC2:TGID_Y_EN: 0
; COMPUTE_PGM_RSRC2:TGID_Z_EN: 0
; COMPUTE_PGM_RSRC2:TIDIG_COMP_CNT: 1
; COMPUTE_PGM_RSRC3_GFX90A:ACCUM_OFFSET: 31
; COMPUTE_PGM_RSRC3_GFX90A:TG_SPLIT: 0
	.section	.text._Z16wvSplitK_hf_big_I14__hip_bfloat16Li32ELi4ELi16ELi8ELi1ELi4EEviiiiiiPKT_S3_S3_PS1_ii,"axG",@progbits,_Z16wvSplitK_hf_big_I14__hip_bfloat16Li32ELi4ELi16ELi8ELi1ELi4EEviiiiiiPKT_S3_S3_PS1_ii,comdat
	.protected	_Z16wvSplitK_hf_big_I14__hip_bfloat16Li32ELi4ELi16ELi8ELi1ELi4EEviiiiiiPKT_S3_S3_PS1_ii ; -- Begin function _Z16wvSplitK_hf_big_I14__hip_bfloat16Li32ELi4ELi16ELi8ELi1ELi4EEviiiiiiPKT_S3_S3_PS1_ii
	.globl	_Z16wvSplitK_hf_big_I14__hip_bfloat16Li32ELi4ELi16ELi8ELi1ELi4EEviiiiiiPKT_S3_S3_PS1_ii
	.p2align	8
	.type	_Z16wvSplitK_hf_big_I14__hip_bfloat16Li32ELi4ELi16ELi8ELi1ELi4EEviiiiiiPKT_S3_S3_PS1_ii,@function
_Z16wvSplitK_hf_big_I14__hip_bfloat16Li32ELi4ELi16ELi8ELi1ELi4EEviiiiiiPKT_S3_S3_PS1_ii: ; @_Z16wvSplitK_hf_big_I14__hip_bfloat16Li32ELi4ELi16ELi8ELi1ELi4EEviiiiiiPKT_S3_S3_PS1_ii
; %bb.0:
	s_load_dwordx2 s[8:9], s[0:1], 0x38
	v_bfe_u32 v7, v0, 10, 10
	s_waitcnt lgkmcnt(0)
	v_cmp_gt_u32_e32 vcc, s8, v7
	s_and_saveexec_b64 s[4:5], vcc
	s_cbranch_execz .LBB259_134
; %bb.1:
	s_load_dwordx4 s[24:27], s[0:1], 0x0
	s_mul_i32 s2, s2, s8
	v_add_lshl_u32 v102, s2, v7, 2
	s_mov_b32 s4, 1
	v_add_u32_e32 v1, 4, v102
	s_mov_b32 s5, s4
	s_waitcnt lgkmcnt(0)
	v_cmp_gt_u32_e32 vcc, s27, v102
	v_cmp_le_u32_e64 s[2:3], s27, v1
	s_mov_b32 s6, s4
	s_mov_b32 s7, s4
	v_mov_b64_e32 v[2:3], s[4:5]
	s_and_b64 s[10:11], vcc, s[2:3]
	v_mov_b64_e32 v[4:5], s[6:7]
	s_and_saveexec_b64 s[2:3], s[10:11]
	s_cbranch_execz .LBB259_7
; %bb.2:
	s_add_i32 s16, s27, -4
	v_mov_b64_e32 v[2:3], s[4:5]
	v_cmp_ne_u32_e32 vcc, s16, v102
	v_mov_b64_e32 v[4:5], s[6:7]
	s_and_saveexec_b64 s[10:11], vcc
	s_cbranch_execz .LBB259_6
; %bb.3:
	v_subrev_u32_e32 v1, s16, v102
	v_cmp_lt_u32_e32 vcc, 1, v1
	s_mov_b64 s[12:13], 0
	s_mov_b64 s[14:15], 0
	v_cndmask_b32_e32 v6, 1, v1, vcc
	s_mov_b32 s5, s4
	s_mov_b32 s6, s4
	;; [unrolled: 1-line block ×3, first 2 shown]
.LBB259_4:                              ; =>This Inner Loop Header: Depth=1
	s_cmp_lg_u32 s14, 3
	s_cselect_b32 s7, s7, 0
	s_cmp_lg_u32 s14, 2
	s_cselect_b32 s6, s6, 0
	;; [unrolled: 2-line block ×4, first 2 shown]
	s_add_u32 s14, s14, 1
	s_addc_u32 s15, s15, 0
	v_cmp_eq_u32_e32 vcc, s14, v6
	v_mov_b64_e32 v[2:3], s[4:5]
	s_or_b64 s[12:13], vcc, s[12:13]
	v_mov_b64_e32 v[4:5], s[6:7]
	s_andn2_b64 exec, exec, s[12:13]
	s_cbranch_execnz .LBB259_4
; %bb.5:
	s_or_b64 exec, exec, s[12:13]
	v_mov_b32_e32 v102, s16
.LBB259_6:
	s_or_b64 exec, exec, s[10:11]
.LBB259_7:
	s_or_b64 exec, exec, s[2:3]
	s_lshl_b32 s2, s8, 2
	s_abs_i32 s3, s2
	v_cvt_f32_u32_e32 v1, s3
	s_sub_i32 s6, 0, s3
	s_abs_i32 s5, s27
	s_ashr_i32 s4, s27, 31
	v_rcp_iflag_f32_e32 v1, v1
	s_nop 0
	v_mul_f32_e32 v1, 0x4f7ffffe, v1
	v_cvt_u32_f32_e32 v1, v1
	s_nop 0
	v_readfirstlane_b32 s7, v1
	s_mul_i32 s6, s6, s7
	s_mul_hi_u32 s6, s7, s6
	s_add_i32 s7, s7, s6
	s_mul_hi_u32 s6, s5, s7
	s_mul_i32 s6, s6, s3
	s_sub_i32 s5, s5, s6
	s_sub_i32 s6, s5, s3
	s_cmp_ge_u32 s5, s3
	s_cselect_b32 s5, s6, s5
	s_sub_i32 s6, s5, s3
	s_cmp_ge_u32 s5, s3
	s_cselect_b32 s3, s6, s5
	s_xor_b32 s3, s3, s4
	s_sub_i32 s3, s3, s4
	s_add_i32 s2, s2, s27
	s_sub_i32 s2, s2, s3
	s_cmp_eq_u32 s3, 0
	s_cselect_b32 s33, s27, s2
	v_cmp_gt_u32_e32 vcc, s33, v102
	s_and_b64 exec, exec, vcc
	s_cbranch_execz .LBB259_134
; %bb.8:
	s_load_dwordx8 s[16:23], s[0:1], 0x10
	s_min_u32 s44, s26, 0x2000
	s_cmp_lg_u32 s24, 0
	s_load_dwordx2 s[14:15], s[0:1], 0x30
	s_cselect_b64 s[2:3], -1, 0
	s_cmp_lg_u32 s26, 0
	s_mul_i32 s0, s9, s8
	s_cselect_b64 s[4:5], -1, 0
	s_lshl_b32 s45, s8, 8
	s_add_i32 s46, s24, -8
	s_add_i32 s47, s27, -1
	s_lshl_b32 s48, s0, 2
	s_waitcnt lgkmcnt(0)
	s_cmp_lg_u64 s[22:23], 0
	s_cselect_b64 s[30:31], -1, 0
	s_abs_i32 s6, s17
	v_cvt_f32_u32_e32 v1, s16
	v_cvt_f32_u32_e32 v6, s6
	s_sub_i32 s7, 0, s16
	s_add_i32 s17, s27, -4
	v_rcp_iflag_f32_e32 v1, v1
	v_rcp_iflag_f32_e32 v6, v6
	v_and_b32_e32 v0, 0x3ff, v0
	v_lshlrev_b32_e32 v105, 3, v0
	v_mul_f32_e32 v1, 0x4f7ffffe, v1
	v_mul_f32_e32 v6, 0x4f7ffffe, v6
	v_cvt_u32_f32_e32 v1, v1
	v_cvt_u32_f32_e32 v6, v6
	v_cmp_eq_u32_e64 s[0:1], 31, v0
	v_lshlrev_b32_e32 v0, 4, v0
	v_mul_lo_u32 v8, s7, v1
	s_sub_i32 s7, 0, s6
	v_readfirstlane_b32 s9, v6
	s_mul_i32 s7, s7, s9
	s_mul_hi_u32 s7, s9, s7
	s_add_i32 s9, s9, s7
	s_sub_i32 s7, 1, s6
	s_cmp_lt_u32 s6, 2
	s_cselect_b32 s7, s7, 1
	s_sub_i32 s10, s7, s6
	s_cmp_ge_u32 s7, s6
	s_cselect_b32 s49, s10, s7
	s_lshr_b32 s7, s9, 31
	s_mul_i32 s7, s7, s6
	s_sub_i32 s7, 2, s7
	s_sub_i32 s10, s7, s6
	s_cmp_ge_u32 s7, s6
	s_cselect_b32 s7, s10, s7
	s_sub_i32 s10, s7, s6
	s_cmp_ge_u32 s7, s6
	s_cselect_b32 s50, s10, s7
	s_mul_hi_u32 s7, s9, 3
	s_mul_i32 s7, s7, s6
	s_sub_i32 s7, 3, s7
	s_sub_i32 s9, s7, s6
	s_cmp_ge_u32 s7, s6
	s_cselect_b32 s7, s9, s7
	s_sub_i32 s9, s7, s6
	s_cmp_ge_u32 s7, s6
	v_lshl_add_u32 v117, v7, 9, v0
	v_lshl_add_u32 v104, v7, 8, v105
	v_cndmask_b32_e64 v0, 0, 1, s[2:3]
	v_mul_hi_u32 v8, v1, v8
	s_cselect_b32 s51, s9, s7
	s_add_u32 s34, s14, 2
	v_mad_u64_u32 v[106:107], s[6:7], s26, 3, v[104:105]
	v_cmp_ne_u32_e64 s[2:3], 1, v0
	v_cndmask_b32_e64 v0, 0, 1, s[4:5]
	s_mov_b64 s[28:29], 0
	v_add_u32_e32 v116, v1, v8
	v_mov_b32_e32 v1, 0
	s_mul_i32 s49, s49, s16
	s_mul_i32 s50, s50, s16
	;; [unrolled: 1-line block ×3, first 2 shown]
	s_addc_u32 s35, s15, 0
	s_mul_i32 s52, s44, 6
	s_lshl_b32 s53, s8, 9
	s_lshl_b32 s54, s44, 2
	s_lshl_b32 s55, s44, 1
	v_lshl_add_u32 v118, s26, 1, v104
	v_add_u32_e32 v107, s26, v104
	v_cmp_ne_u32_e64 s[4:5], 1, v0
	s_mov_b32 s56, 0x7f800000
	s_movk_i32 s57, 0x7fff
	s_branch .LBB259_12
.LBB259_9:                              ;   in Loop: Header=BB259_12 Depth=1
	s_or_b64 exec, exec, s[10:11]
	v_mov_b32_e32 v102, s17
.LBB259_10:                             ;   in Loop: Header=BB259_12 Depth=1
	s_or_b64 exec, exec, s[8:9]
.LBB259_11:                             ;   in Loop: Header=BB259_12 Depth=1
	s_or_b64 exec, exec, s[36:37]
	v_cmp_le_u32_e32 vcc, s33, v102
	s_or_b64 s[28:29], vcc, s[28:29]
	s_andn2_b64 exec, exec, s[28:29]
	s_cbranch_execz .LBB259_134
.LBB259_12:                             ; =>This Loop Header: Depth=1
                                        ;     Child Loop BB259_16 Depth 2
                                        ;       Child Loop BB259_21 Depth 3
                                        ;     Child Loop BB259_132 Depth 2
	s_and_b64 vcc, exec, s[2:3]
	v_mov_b32_e32 v9, v1
	v_mov_b32_e32 v8, v1
	s_waitcnt vmcnt(12)
	v_mov_b32_e32 v7, v1
	v_mov_b32_e32 v6, v1
	;; [unrolled: 1-line block ×6, first 2 shown]
	s_waitcnt vmcnt(0)
	v_mov_b32_e32 v17, v1
	v_mov_b32_e32 v16, v1
	;; [unrolled: 1-line block ×56, first 2 shown]
	s_cbranch_vccnz .LBB259_27
; %bb.13:                               ;   in Loop: Header=BB259_12 Depth=1
	v_min_u32_e32 v0, s47, v102
	v_mul_lo_u32 v108, v0, s25
	v_add_u32_e32 v0, 1, v102
	v_min_u32_e32 v0, s47, v0
	v_mul_lo_u32 v110, v0, s25
	v_add_u32_e32 v0, 2, v102
	;; [unrolled: 3-line block ×3, first 2 shown]
	v_min_u32_e32 v0, s47, v0
	v_mov_b32_e32 v22, 0
	v_cmp_gt_u32_e64 s[6:7], s27, v102
	v_mov_b32_e32 v109, v1
	v_mov_b32_e32 v111, v1
	;; [unrolled: 1-line block ×3, first 2 shown]
	v_mul_lo_u32 v114, v0, s25
	v_mov_b32_e32 v115, v1
	s_mov_b32 s36, 0
	s_mov_b32 s37, 0
	v_mov_b32_e32 v23, v22
	v_mov_b32_e32 v24, v22
	;; [unrolled: 1-line block ×63, first 2 shown]
	s_branch .LBB259_16
.LBB259_14:                             ;   in Loop: Header=BB259_16 Depth=2
	s_or_b64 exec, exec, s[10:11]
	s_waitcnt vmcnt(3) lgkmcnt(3)
	v_mfma_f32_4x4x4_16b_bf16 v[66:69], v[98:99], v[74:75], v[66:69]
	s_waitcnt vmcnt(2)
	v_mfma_f32_4x4x4_16b_bf16 v[62:65], v[98:99], v[70:71], v[62:65]
	s_waitcnt vmcnt(1)
	;; [unrolled: 2-line block ×3, first 2 shown]
	v_mfma_f32_4x4x4_16b_bf16 v[54:57], v[98:99], v[78:79], v[54:57]
	s_waitcnt lgkmcnt(2)
	v_mfma_f32_4x4x4_16b_bf16 v[50:53], v[90:91], v[74:75], v[50:53]
	v_mfma_f32_4x4x4_16b_bf16 v[46:49], v[90:91], v[70:71], v[46:49]
	v_mfma_f32_4x4x4_16b_bf16 v[42:45], v[90:91], v[82:83], v[42:45]
	v_mfma_f32_4x4x4_16b_bf16 v[38:41], v[90:91], v[78:79], v[38:41]
	s_waitcnt lgkmcnt(1)
	v_mfma_f32_4x4x4_16b_bf16 v[34:37], v[94:95], v[74:75], v[34:37]
	v_mfma_f32_4x4x4_16b_bf16 v[30:33], v[94:95], v[70:71], v[30:33]
	v_mfma_f32_4x4x4_16b_bf16 v[26:29], v[94:95], v[82:83], v[26:29]
	;; [unrolled: 5-line block ×3, first 2 shown]
	v_mfma_f32_4x4x4_16b_bf16 v[6:9], v[86:87], v[78:79], v[6:9]
	v_mfma_f32_4x4x4_16b_bf16 v[66:69], v[100:101], v[76:77], v[66:69]
	;; [unrolled: 1-line block ×17, first 2 shown]
.LBB259_15:                             ;   in Loop: Header=BB259_16 Depth=2
	s_or_b64 exec, exec, s[8:9]
	s_addk_i32 s37, 0x100
	s_cmp_ge_u32 s37, s24
	s_cbranch_scc1 .LBB259_27
.LBB259_16:                             ;   Parent Loop BB259_12 Depth=1
                                        ; =>  This Loop Header: Depth=2
                                        ;       Child Loop BB259_21 Depth 3
	s_cmp_eq_u32 s37, 0
	s_cselect_b64 s[8:9], -1, 0
	s_add_i32 s10, s36, s44
	s_cmp_eq_u32 s37, s10
	s_cselect_b64 s[12:13], -1, 0
	s_or_b64 s[12:13], s[8:9], s[12:13]
	s_andn2_b64 vcc, exec, s[12:13]
	s_cbranch_vccz .LBB259_18
; %bb.17:                               ;   in Loop: Header=BB259_16 Depth=2
	s_and_saveexec_b64 s[8:9], s[6:7]
	s_cbranch_execz .LBB259_15
	s_branch .LBB259_25
.LBB259_18:                             ;   in Loop: Header=BB259_16 Depth=2
	s_and_b64 s[8:9], s[8:9], exec
	s_cselect_b32 s36, s36, s10
	s_and_b64 vcc, exec, s[4:5]
	s_barrier
	s_cbranch_vccnz .LBB259_24
; %bb.19:                               ;   in Loop: Header=BB259_16 Depth=2
	v_add_u32_e32 v70, s36, v118
	v_add_u32_e32 v71, s36, v106
	v_add_u32_e32 v72, s36, v107
	v_add_u32_e32 v73, s36, v104
	s_mov_b32 s38, 0
	s_mov_b64 s[10:11], 0
	v_mov_b32_e32 v74, v117
                                        ; implicit-def: $sgpr12_sgpr13
	s_branch .LBB259_21
.LBB259_20:                             ;   in Loop: Header=BB259_21 Depth=3
	s_or_b64 exec, exec, s[8:9]
	s_and_b64 s[8:9], exec, s[12:13]
	s_or_b64 s[10:11], s[8:9], s[10:11]
	s_andn2_b64 exec, exec, s[10:11]
	s_cbranch_execz .LBB259_23
.LBB259_21:                             ;   Parent Loop BB259_12 Depth=1
                                        ;     Parent Loop BB259_16 Depth=2
                                        ; =>    This Inner Loop Header: Depth=3
	v_add_u32_e32 v75, s38, v104
	v_add_u32_e32 v0, s38, v73
	v_cmp_gt_u32_e32 vcc, s26, v0
	v_cmp_gt_u32_e64 s[8:9], s44, v75
	s_and_b64 s[40:41], s[8:9], vcc
	s_or_b64 s[12:13], s[12:13], exec
	s_and_saveexec_b64 s[8:9], s[40:41]
	s_cbranch_execz .LBB259_20
; %bb.22:                               ;   in Loop: Header=BB259_21 Depth=3
	v_lshl_add_u64 v[76:77], v[0:1], 1, s[20:21]
	v_add_u32_e32 v0, s38, v72
	v_lshl_add_u64 v[80:81], v[0:1], 1, s[20:21]
	v_add_u32_e32 v0, s38, v70
	global_load_dwordx4 v[76:79], v[76:77], off
	s_nop 0
	global_load_dwordx4 v[80:83], v[80:81], off
	v_lshl_add_u64 v[84:85], v[0:1], 1, s[20:21]
	v_add_u32_e32 v0, s38, v71
	global_load_dwordx4 v[84:87], v[84:85], off
	v_lshl_add_u64 v[88:89], v[0:1], 1, s[20:21]
	global_load_dwordx4 v[88:91], v[88:89], off
	s_add_i32 s38, s38, s45
	s_cmp_ge_u32 s38, s44
	s_cselect_b64 s[40:41], -1, 0
	s_andn2_b64 s[12:13], s[12:13], exec
	s_and_b64 s[40:41], s[40:41], exec
	v_add_u32_e32 v0, s55, v74
	v_add_u32_e32 v75, s54, v74
	;; [unrolled: 1-line block ×3, first 2 shown]
	s_or_b64 s[12:13], s[12:13], s[40:41]
	s_waitcnt vmcnt(3)
	ds_write_b128 v74, v[76:79]
	v_add_u32_e32 v74, s53, v74
	s_waitcnt vmcnt(2)
	ds_write2_b64 v0, v[80:81], v[82:83] offset1:1
	s_waitcnt vmcnt(1)
	ds_write2_b32 v75, v84, v85 offset1:1
	ds_write2_b32 v75, v86, v87 offset0:2 offset1:3
	s_waitcnt vmcnt(0)
	ds_write2_b64 v92, v[88:89], v[90:91] offset1:1
	s_branch .LBB259_20
.LBB259_23:                             ;   in Loop: Header=BB259_16 Depth=2
	s_or_b64 exec, exec, s[10:11]
.LBB259_24:                             ;   in Loop: Header=BB259_16 Depth=2
	s_waitcnt lgkmcnt(0)
	s_barrier
	s_and_saveexec_b64 s[8:9], s[6:7]
	s_cbranch_execz .LBB259_15
.LBB259_25:                             ;   in Loop: Header=BB259_16 Depth=2
	v_add_u32_e32 v103, s37, v105
	v_min_u32_e32 v0, s46, v103
	v_lshl_add_u64 v[78:79], v[0:1], 1, s[18:19]
	v_lshl_add_u64 v[80:81], v[108:109], 1, v[78:79]
	v_lshl_add_u64 v[82:83], v[110:111], 1, v[78:79]
	v_lshl_add_u64 v[86:87], v[112:113], 1, v[78:79]
	global_load_dwordx4 v[74:77], v[80:81], off nt
	global_load_dwordx4 v[70:73], v[82:83], off nt
	v_lshl_add_u64 v[88:89], v[114:115], 1, v[78:79]
	global_load_dwordx4 v[82:85], v[86:87], off nt
	global_load_dwordx4 v[78:81], v[88:89], off nt
	v_cmp_gt_u32_e32 vcc, s24, v103
	v_mov_b32_e32 v88, 0
	v_mov_b32_e32 v89, 0
	;; [unrolled: 1-line block ×16, first 2 shown]
	s_and_saveexec_b64 s[10:11], vcc
	s_cbranch_execz .LBB259_14
; %bb.26:                               ;   in Loop: Header=BB259_16 Depth=2
	v_subrev_u32_e32 v0, s36, v103
	v_lshlrev_b32_e32 v0, 1, v0
	v_add_u32_e32 v86, s55, v0
	ds_read_b128 v[98:101], v0
	ds_read_b128 v[90:93], v86
	v_add_u32_e32 v0, s55, v86
	v_add_u32_e32 v86, s55, v0
	ds_read_b128 v[94:97], v0
	ds_read_b128 v[86:89], v86
	s_branch .LBB259_14
.LBB259_27:                             ;   in Loop: Header=BB259_12 Depth=1
	v_cmp_le_u32_e32 vcc, s27, v102
	s_and_saveexec_b64 s[6:7], vcc
	s_xor_b64 s[6:7], exec, s[6:7]
; %bb.28:                               ;   in Loop: Header=BB259_12 Depth=1
	v_add_u32_e32 v102, s48, v102
                                        ; implicit-def: $vgpr9
                                        ; implicit-def: $vgpr13
                                        ; implicit-def: $vgpr17
                                        ; implicit-def: $vgpr21
                                        ; implicit-def: $vgpr69
                                        ; implicit-def: $vgpr65
                                        ; implicit-def: $vgpr61
                                        ; implicit-def: $vgpr57
                                        ; implicit-def: $vgpr53
                                        ; implicit-def: $vgpr49
                                        ; implicit-def: $vgpr45
                                        ; implicit-def: $vgpr41
                                        ; implicit-def: $vgpr37
                                        ; implicit-def: $vgpr33
                                        ; implicit-def: $vgpr29
                                        ; implicit-def: $vgpr25
; %bb.29:                               ;   in Loop: Header=BB259_12 Depth=1
	s_andn2_saveexec_b64 s[36:37], s[6:7]
	s_cbranch_execz .LBB259_11
; %bb.30:                               ;   in Loop: Header=BB259_12 Depth=1
	v_cvt_i32_f32_e32 v0, v67
	v_cvt_i32_f32_e32 v67, v68
	;; [unrolled: 1-line block ×4, first 2 shown]
	v_cvt_f32_i32_dpp v0, v0 row_shl:1 row_mask:0xf bank_mask:0xf bound_ctrl:1
	v_cvt_f32_i32_dpp v67, v67 row_shl:2 row_mask:0xf bank_mask:0xf bound_ctrl:1
	v_cvt_i32_f32_e32 v64, v64
	v_cvt_f32_i32_dpp v68, v68 row_shl:3 row_mask:0xf bank_mask:0xf bound_ctrl:1
	v_cvt_i32_f32_e32 v65, v65
	v_add_f32_e32 v0, v66, v0
	v_cvt_f32_i32_dpp v63, v63 row_shl:1 row_mask:0xf bank_mask:0xf bound_ctrl:1
	v_add_f32_e32 v0, v0, v67
	v_cvt_f32_i32_dpp v64, v64 row_shl:2 row_mask:0xf bank_mask:0xf bound_ctrl:1
	;; [unrolled: 2-line block ×3, first 2 shown]
	v_cvt_i32_f32_e32 v66, v0
	v_add_f32_e32 v62, v62, v63
	v_add_f32_e32 v62, v62, v64
	v_add_f32_e32 v62, v62, v65
	v_cvt_f32_i32_dpp v66, v66 row_shl:4 row_mask:0xf bank_mask:0xf bound_ctrl:1
	v_cvt_i32_f32_e32 v63, v62
	v_cvt_i32_f32_e32 v59, v59
	;; [unrolled: 1-line block ×3, first 2 shown]
	v_add_f32_e32 v0, v0, v66
	v_cvt_f32_i32_dpp v63, v63 row_shl:4 row_mask:0xf bank_mask:0xf bound_ctrl:1
	v_cvt_i32_f32_e32 v64, v0
	v_cvt_i32_f32_e32 v61, v61
	v_cvt_f32_i32_dpp v59, v59 row_shl:1 row_mask:0xf bank_mask:0xf bound_ctrl:1
	v_add_f32_e32 v62, v62, v63
	v_cvt_f32_i32_dpp v64, v64 row_shl:8 row_mask:0xf bank_mask:0xf bound_ctrl:1
	v_cvt_i32_f32_e32 v63, v62
	v_cvt_f32_i32_dpp v60, v60 row_shl:2 row_mask:0xf bank_mask:0xf bound_ctrl:1
	v_cvt_f32_i32_dpp v61, v61 row_shl:3 row_mask:0xf bank_mask:0xf bound_ctrl:1
	v_add_f32_e32 v0, v0, v64
	v_cvt_f32_i32_dpp v63, v63 row_shl:8 row_mask:0xf bank_mask:0xf bound_ctrl:1
	v_cvt_i32_f32_e32 v0, v0
	v_add_f32_e32 v58, v58, v59
	v_add_f32_e32 v58, v58, v60
	;; [unrolled: 1-line block ×3, first 2 shown]
	v_cvt_f32_i32_dpp v0, v0 row_shr:15 row_mask:0xf bank_mask:0xf bound_ctrl:1
	v_cvt_i32_f32_e32 v62, v62
	v_cvt_i32_f32_e32 v55, v55
	v_add_f32_e32 v58, v58, v61
	v_cvt_i32_f32_e32 v56, v56
	v_cvt_i32_f32_e32 v59, v58
	;; [unrolled: 1-line block ×4, first 2 shown]
	v_cvt_f32_i32_dpp v61, v62 row_shr:15 row_mask:0xf bank_mask:0xf bound_ctrl:1
	v_cvt_f32_i32_dpp v55, v55 row_shl:1 row_mask:0xf bank_mask:0xf bound_ctrl:1
	v_cvt_f32_i32_dpp v56, v56 row_shl:2 row_mask:0xf bank_mask:0xf bound_ctrl:1
	;; [unrolled: 1-line block ×4, first 2 shown]
	v_cvt_f32_i32_dpp v60, v60 row_bcast:15 row_mask:0xf bank_mask:0xf bound_ctrl:1
	v_cvt_i32_f32_e32 v62, v61
	v_add_f32_e32 v54, v54, v55
	v_cvt_i32_f32_e32 v51, v51
	v_add_f32_e32 v54, v54, v56
	;; [unrolled: 2-line block ×3, first 2 shown]
	v_add_f32_e32 v57, v54, v57
	v_cvt_i32_f32_e32 v53, v53
	v_cvt_i32_f32_e32 v63, v59
	v_add_f32_e32 v58, v0, v60
	v_cvt_f32_i32_dpp v60, v62 row_bcast:15 row_mask:0xf bank_mask:0xf bound_ctrl:1
	v_cvt_i32_f32_e32 v55, v57
	v_cvt_f32_i32_dpp v51, v51 row_shl:1 row_mask:0xf bank_mask:0xf bound_ctrl:1
	v_cvt_f32_i32_dpp v52, v52 row_shl:2 row_mask:0xf bank_mask:0xf bound_ctrl:1
	;; [unrolled: 1-line block ×4, first 2 shown]
	v_add_f32_e32 v54, v61, v60
	v_cvt_f32_i32_dpp v61, v55 row_shl:4 row_mask:0xf bank_mask:0xf bound_ctrl:1
	v_cvt_i32_f32_e32 v60, v54
	v_add_f32_e32 v50, v50, v51
	v_add_f32_e32 v50, v50, v52
	;; [unrolled: 1-line block ×5, first 2 shown]
	v_cvt_i32_f32_e32 v50, v51
	v_cvt_i32_f32_e32 v59, v59
	v_mov_b32_dpp v55, v60 row_bcast:31 row_mask:0xf bank_mask:0xf bound_ctrl:1
	v_cvt_i32_f32_e32 v60, v57
	v_cvt_i32_f32_e32 v47, v47
	v_cvt_f32_i32_dpp v53, v50 row_shl:4 row_mask:0xf bank_mask:0xf bound_ctrl:1
	v_cvt_i32_f32_e32 v48, v48
	v_cvt_i32_f32_e32 v0, v58
	v_cvt_f32_i32_dpp v59, v59 row_shr:15 row_mask:0xf bank_mask:0xf bound_ctrl:1
	v_cvt_f32_i32_dpp v60, v60 row_shl:8 row_mask:0xf bank_mask:0xf bound_ctrl:1
	v_cvt_i32_f32_e32 v49, v49
	v_cvt_f32_i32_dpp v47, v47 row_shl:1 row_mask:0xf bank_mask:0xf bound_ctrl:1
	v_add_f32_e32 v51, v51, v53
	v_cvt_f32_i32_dpp v48, v48 row_shl:2 row_mask:0xf bank_mask:0xf bound_ctrl:1
	v_mov_b32_dpp v56, v0 row_bcast:31 row_mask:0xf bank_mask:0xf bound_ctrl:1
	v_cvt_i32_f32_e32 v0, v59
	v_add_f32_e32 v52, v57, v60
	v_cvt_i32_f32_e32 v53, v51
	v_cvt_f32_i32_dpp v49, v49 row_shl:3 row_mask:0xf bank_mask:0xf bound_ctrl:1
	v_cvt_i32_f32_e32 v52, v52
	v_add_f32_e32 v46, v46, v47
	v_add_f32_e32 v46, v46, v48
	v_cvt_f32_i32_dpp v0, v0 row_bcast:15 row_mask:0xf bank_mask:0xf bound_ctrl:1
	v_cvt_f32_i32_dpp v53, v53 row_shl:8 row_mask:0xf bank_mask:0xf bound_ctrl:1
	v_add_f32_e32 v46, v46, v49
	v_cvt_f32_i32_dpp v52, v52 row_shr:15 row_mask:0xf bank_mask:0xf bound_ctrl:1
	v_cvt_i32_f32_e32 v47, v46
	v_add_f32_e32 v50, v59, v0
	v_add_f32_e32 v49, v51, v53
	v_cvt_i32_f32_e32 v0, v50
	v_cvt_i32_f32_e32 v48, v52
	;; [unrolled: 1-line block ×3, first 2 shown]
	v_cvt_f32_i32_dpp v51, v47 row_shl:4 row_mask:0xf bank_mask:0xf bound_ctrl:1
	v_cvt_i32_f32_e32 v43, v43
	v_mov_b32_dpp v47, v0 row_bcast:31 row_mask:0xf bank_mask:0xf bound_ctrl:1
	v_cvt_f32_i32_dpp v0, v48 row_bcast:15 row_mask:0xf bank_mask:0xf bound_ctrl:1
	v_cvt_f32_i32_dpp v48, v49 row_shr:15 row_mask:0xf bank_mask:0xf bound_ctrl:1
	v_add_f32_e32 v49, v46, v51
	v_cvt_i32_f32_e32 v44, v44
	v_cvt_i32_f32_e32 v51, v49
	;; [unrolled: 1-line block ×3, first 2 shown]
	v_cvt_f32_i32_dpp v43, v43 row_shl:1 row_mask:0xf bank_mask:0xf bound_ctrl:1
	v_cvt_f32_i32_dpp v44, v44 row_shl:2 row_mask:0xf bank_mask:0xf bound_ctrl:1
	v_cvt_f32_i32_dpp v51, v51 row_shl:8 row_mask:0xf bank_mask:0xf bound_ctrl:1
	v_cvt_f32_i32_dpp v45, v45 row_shl:3 row_mask:0xf bank_mask:0xf bound_ctrl:1
	v_add_f32_e32 v42, v42, v43
	v_add_f32_e32 v42, v42, v44
	v_cvt_i32_f32_e32 v39, v39
	v_add_f32_e32 v46, v52, v0
	v_add_f32_e32 v49, v49, v51
	v_add_f32_e32 v44, v42, v45
	v_cvt_i32_f32_e32 v40, v40
	v_cvt_i32_f32_e32 v0, v46
	;; [unrolled: 1-line block ×6, first 2 shown]
	v_cvt_f32_i32_dpp v39, v39 row_shl:1 row_mask:0xf bank_mask:0xf bound_ctrl:1
	v_cvt_f32_i32_dpp v40, v40 row_shl:2 row_mask:0xf bank_mask:0xf bound_ctrl:1
	v_mov_b32_dpp v43, v0 row_bcast:31 row_mask:0xf bank_mask:0xf bound_ctrl:1
	v_cvt_f32_i32_dpp v0, v49 row_shr:15 row_mask:0xf bank_mask:0xf bound_ctrl:1
	v_cvt_f32_i32_dpp v49, v42 row_shl:4 row_mask:0xf bank_mask:0xf bound_ctrl:1
	v_cvt_f32_i32_dpp v41, v41 row_shl:3 row_mask:0xf bank_mask:0xf bound_ctrl:1
	v_cvt_f32_i32_dpp v45, v52 row_bcast:15 row_mask:0xf bank_mask:0xf bound_ctrl:1
	v_add_f32_e32 v38, v38, v39
	v_add_f32_e32 v38, v38, v40
	;; [unrolled: 1-line block ×4, first 2 shown]
	v_cvt_i32_f32_e32 v35, v35
	v_add_f32_e32 v42, v48, v45
	v_cvt_i32_f32_e32 v48, v0
	v_cvt_i32_f32_e32 v49, v44
	;; [unrolled: 1-line block ×5, first 2 shown]
	v_cvt_f32_i32_dpp v35, v35 row_shl:1 row_mask:0xf bank_mask:0xf bound_ctrl:1
	v_cvt_f32_i32_dpp v49, v49 row_shl:8 row_mask:0xf bank_mask:0xf bound_ctrl:1
	v_cvt_f32_i32_dpp v41, v48 row_bcast:15 row_mask:0xf bank_mask:0xf bound_ctrl:1
	v_cvt_f32_i32_dpp v48, v38 row_shl:4 row_mask:0xf bank_mask:0xf bound_ctrl:1
	v_cvt_f32_i32_dpp v36, v36 row_shl:2 row_mask:0xf bank_mask:0xf bound_ctrl:1
	;; [unrolled: 1-line block ×3, first 2 shown]
	v_add_f32_e32 v34, v34, v35
	v_add_f32_e32 v39, v44, v49
	;; [unrolled: 1-line block ×4, first 2 shown]
	v_cvt_i32_f32_e32 v44, v39
	v_add_f32_e32 v38, v0, v41
	v_cvt_i32_f32_e32 v41, v40
	v_add_f32_e32 v34, v34, v37
	v_cvt_i32_f32_e32 v35, v34
	v_cvt_f32_i32_dpp v0, v44 row_shr:15 row_mask:0xf bank_mask:0xf bound_ctrl:1
	v_cvt_f32_i32_dpp v41, v41 row_shl:8 row_mask:0xf bank_mask:0xf bound_ctrl:1
	v_cvt_i32_f32_e32 v31, v31
	v_cvt_f32_i32_dpp v35, v35 row_shl:4 row_mask:0xf bank_mask:0xf bound_ctrl:1
	v_cvt_i32_f32_e32 v36, v0
	v_add_f32_e32 v37, v40, v41
	v_cvt_i32_f32_e32 v32, v32
	v_cvt_i32_f32_e32 v37, v37
	v_add_f32_e32 v41, v34, v35
	v_cvt_i32_f32_e32 v33, v33
	v_cvt_i32_f32_e32 v45, v42
	;; [unrolled: 1-line block ×3, first 2 shown]
	v_cvt_f32_i32_dpp v31, v31 row_shl:1 row_mask:0xf bank_mask:0xf bound_ctrl:1
	v_cvt_f32_i32_dpp v36, v36 row_bcast:15 row_mask:0xf bank_mask:0xf bound_ctrl:1
	v_cvt_f32_i32_dpp v32, v32 row_shl:2 row_mask:0xf bank_mask:0xf bound_ctrl:1
	v_cvt_f32_i32_dpp v37, v37 row_shr:15 row_mask:0xf bank_mask:0xf bound_ctrl:1
	v_cvt_f32_i32_dpp v33, v33 row_shl:3 row_mask:0xf bank_mask:0xf bound_ctrl:1
	v_mov_b32_dpp v39, v45 row_bcast:31 row_mask:0xf bank_mask:0xf bound_ctrl:1
	v_cvt_i32_f32_e32 v40, v38
	v_cvt_f32_i32_dpp v45, v35 row_shl:8 row_mask:0xf bank_mask:0xf bound_ctrl:1
	v_add_f32_e32 v30, v30, v31
	v_cvt_i32_f32_e32 v27, v27
	v_add_f32_e32 v34, v0, v36
	v_add_f32_e32 v30, v30, v32
	v_cvt_i32_f32_e32 v28, v28
	v_cvt_i32_f32_e32 v0, v34
	;; [unrolled: 1-line block ×3, first 2 shown]
	v_add_f32_e32 v31, v30, v33
	v_cvt_i32_f32_e32 v29, v29
	v_mov_b32_dpp v36, v40 row_bcast:31 row_mask:0xf bank_mask:0xf bound_ctrl:1
	v_add_f32_e32 v40, v41, v45
	v_cvt_i32_f32_e32 v32, v31
	v_cvt_i32_f32_e32 v40, v40
	v_cvt_f32_i32_dpp v27, v27 row_shl:1 row_mask:0xf bank_mask:0xf bound_ctrl:1
	v_cvt_f32_i32_dpp v28, v28 row_shl:2 row_mask:0xf bank_mask:0xf bound_ctrl:1
	v_mov_b32_dpp v35, v0 row_bcast:31 row_mask:0xf bank_mask:0xf bound_ctrl:1
	v_cvt_f32_i32_dpp v0, v44 row_bcast:15 row_mask:0xf bank_mask:0xf bound_ctrl:1
	v_cvt_f32_i32_dpp v29, v29 row_shl:3 row_mask:0xf bank_mask:0xf bound_ctrl:1
	v_cvt_f32_i32_dpp v32, v32 row_shl:4 row_mask:0xf bank_mask:0xf bound_ctrl:1
	v_cvt_f32_i32_dpp v40, v40 row_shr:15 row_mask:0xf bank_mask:0xf bound_ctrl:1
	v_add_f32_e32 v26, v26, v27
	v_add_f32_e32 v26, v26, v28
	v_cvt_i32_f32_e32 v23, v23
	v_add_f32_e32 v30, v37, v0
	v_add_f32_e32 v28, v26, v29
	v_cvt_i32_f32_e32 v24, v24
	v_cvt_i32_f32_e32 v0, v30
	v_add_f32_e32 v31, v31, v32
	v_cvt_i32_f32_e32 v26, v28
	v_cvt_i32_f32_e32 v25, v25
	;; [unrolled: 1-line block ×4, first 2 shown]
	v_cvt_f32_i32_dpp v23, v23 row_shl:1 row_mask:0xf bank_mask:0xf bound_ctrl:1
	v_cvt_f32_i32_dpp v24, v24 row_shl:2 row_mask:0xf bank_mask:0xf bound_ctrl:1
	v_mov_b32_dpp v27, v0 row_bcast:31 row_mask:0xf bank_mask:0xf bound_ctrl:1
	v_cvt_f32_i32_dpp v0, v26 row_shl:4 row_mask:0xf bank_mask:0xf bound_ctrl:1
	v_cvt_f32_i32_dpp v25, v25 row_shl:3 row_mask:0xf bank_mask:0xf bound_ctrl:1
	v_cvt_f32_i32_dpp v29, v33 row_bcast:15 row_mask:0xf bank_mask:0xf bound_ctrl:1
	v_cvt_f32_i32_dpp v32, v32 row_shl:8 row_mask:0xf bank_mask:0xf bound_ctrl:1
	v_add_f32_e32 v22, v22, v23
	v_add_f32_e32 v22, v22, v24
	;; [unrolled: 1-line block ×6, first 2 shown]
	v_cvt_i32_f32_e32 v28, v0
	v_cvt_i32_f32_e32 v23, v22
	;; [unrolled: 1-line block ×4, first 2 shown]
	v_cvt_f32_i32_dpp v28, v28 row_shl:8 row_mask:0xf bank_mask:0xf bound_ctrl:1
	v_cvt_f32_i32_dpp v23, v23 row_shl:4 row_mask:0xf bank_mask:0xf bound_ctrl:1
	v_cvt_f32_i32_dpp v24, v29 row_shr:15 row_mask:0xf bank_mask:0xf bound_ctrl:1
	v_cvt_i32_f32_e32 v20, v20
	v_add_f32_e32 v0, v0, v28
	v_add_f32_e32 v29, v22, v23
	v_cvt_i32_f32_e32 v0, v0
	v_cvt_i32_f32_e32 v28, v24
	v_cvt_i32_f32_e32 v22, v29
	v_cvt_i32_f32_e32 v21, v21
	v_cvt_i32_f32_e32 v25, v26
	v_cvt_f32_i32_dpp v0, v0 row_shr:15 row_mask:0xf bank_mask:0xf bound_ctrl:1
	v_cvt_f32_i32_dpp v28, v28 row_bcast:15 row_mask:0xf bank_mask:0xf bound_ctrl:1
	v_cvt_f32_i32_dpp v31, v22 row_shl:8 row_mask:0xf bank_mask:0xf bound_ctrl:1
	v_cvt_f32_i32_dpp v19, v19 row_shl:1 row_mask:0xf bank_mask:0xf bound_ctrl:1
	v_cvt_i32_f32_e32 v15, v15
	v_cvt_f32_i32_dpp v20, v20 row_shl:2 row_mask:0xf bank_mask:0xf bound_ctrl:1
	v_cvt_i32_f32_e32 v16, v16
	;; [unrolled: 2-line block ×3, first 2 shown]
	v_cvt_i32_f32_e32 v11, v11
	v_mov_b32_dpp v23, v25 row_bcast:31 row_mask:0xf bank_mask:0xf bound_ctrl:1
	v_cvt_i32_f32_e32 v25, v0
	v_add_f32_e32 v22, v24, v28
	v_add_f32_e32 v28, v29, v31
	v_cvt_i32_f32_e32 v28, v28
	v_add_f32_e32 v18, v18, v19
	v_cvt_f32_i32_dpp v15, v15 row_shl:1 row_mask:0xf bank_mask:0xf bound_ctrl:1
	v_cvt_i32_f32_e32 v7, v7
	v_add_f32_e32 v18, v18, v20
	v_cvt_f32_i32_dpp v16, v16 row_shl:2 row_mask:0xf bank_mask:0xf bound_ctrl:1
	v_cvt_i32_f32_e32 v12, v12
	v_cvt_i32_f32_e32 v8, v8
	v_add_f32_e32 v20, v18, v21
	v_cvt_f32_i32_dpp v17, v17 row_shl:3 row_mask:0xf bank_mask:0xf bound_ctrl:1
	v_cvt_f32_i32_dpp v11, v11 row_shl:1 row_mask:0xf bank_mask:0xf bound_ctrl:1
	v_cvt_i32_f32_e32 v13, v13
	v_cvt_i32_f32_e32 v9, v9
	v_cvt_f32_i32_dpp v25, v25 row_bcast:15 row_mask:0xf bank_mask:0xf bound_ctrl:1
	v_cvt_i32_f32_e32 v18, v20
	v_cvt_f32_i32_dpp v28, v28 row_shr:15 row_mask:0xf bank_mask:0xf bound_ctrl:1
	v_add_f32_e32 v14, v14, v15
	v_cvt_f32_i32_dpp v7, v7 row_shl:1 row_mask:0xf bank_mask:0xf bound_ctrl:1
	v_add_f32_e32 v14, v14, v16
	v_cvt_f32_i32_dpp v12, v12 row_shl:2 row_mask:0xf bank_mask:0xf bound_ctrl:1
	v_cvt_f32_i32_dpp v8, v8 row_shl:2 row_mask:0xf bank_mask:0xf bound_ctrl:1
	v_add_f32_e32 v15, v14, v17
	v_add_f32_e32 v10, v10, v11
	v_cvt_f32_i32_dpp v11, v13 row_shl:3 row_mask:0xf bank_mask:0xf bound_ctrl:1
	v_cvt_f32_i32_dpp v9, v9 row_shl:3 row_mask:0xf bank_mask:0xf bound_ctrl:1
	v_add_f32_e32 v19, v0, v25
	v_cvt_f32_i32_dpp v0, v18 row_shl:4 row_mask:0xf bank_mask:0xf bound_ctrl:1
	v_cvt_i32_f32_e32 v16, v15
	v_cvt_i32_f32_e32 v24, v22
	;; [unrolled: 1-line block ×3, first 2 shown]
	v_add_f32_e32 v6, v6, v7
	v_add_f32_e32 v10, v10, v12
	;; [unrolled: 1-line block ×6, first 2 shown]
	v_cvt_f32_i32_dpp v16, v16 row_shl:4 row_mask:0xf bank_mask:0xf bound_ctrl:1
	v_cvt_i32_f32_e32 v11, v10
	v_cvt_i32_f32_e32 v7, v6
	v_mov_b32_dpp v21, v24 row_bcast:31 row_mask:0xf bank_mask:0xf bound_ctrl:1
	v_cvt_f32_i32_dpp v24, v29 row_bcast:15 row_mask:0xf bank_mask:0xf bound_ctrl:1
	v_cvt_i32_f32_e32 v20, v0
	v_add_f32_e32 v15, v15, v16
	v_cvt_f32_i32_dpp v9, v11 row_shl:4 row_mask:0xf bank_mask:0xf bound_ctrl:1
	v_cvt_f32_i32_dpp v7, v7 row_shl:4 row_mask:0xf bank_mask:0xf bound_ctrl:1
	v_add_f32_e32 v18, v28, v24
	v_cvt_f32_i32_dpp v28, v20 row_shl:8 row_mask:0xf bank_mask:0xf bound_ctrl:1
	v_cvt_i32_f32_e32 v16, v15
	v_add_f32_e32 v9, v10, v9
	v_add_f32_e32 v6, v6, v7
	;; [unrolled: 1-line block ×3, first 2 shown]
	v_cvt_f32_i32_dpp v8, v16 row_shl:8 row_mask:0xf bank_mask:0xf bound_ctrl:1
	v_cvt_i32_f32_e32 v10, v9
	v_cvt_i32_f32_e32 v7, v6
	;; [unrolled: 1-line block ×3, first 2 shown]
	v_add_f32_e32 v8, v15, v8
	v_cvt_f32_i32_dpp v10, v10 row_shl:8 row_mask:0xf bank_mask:0xf bound_ctrl:1
	v_cvt_f32_i32_dpp v7, v7 row_shl:8 row_mask:0xf bank_mask:0xf bound_ctrl:1
	v_cvt_f32_i32_dpp v0, v0 row_shr:15 row_mask:0xf bank_mask:0xf bound_ctrl:1
	v_cvt_i32_f32_e32 v8, v8
	v_add_f32_e32 v9, v9, v10
	v_add_f32_e32 v6, v6, v7
	v_cvt_i32_f32_e32 v11, v0
	v_cvt_f32_i32_dpp v8, v8 row_shr:15 row_mask:0xf bank_mask:0xf bound_ctrl:1
	v_cvt_i32_f32_e32 v9, v9
	v_cvt_i32_f32_e32 v6, v6
	v_cvt_f32_i32_dpp v7, v11 row_bcast:15 row_mask:0xf bank_mask:0xf bound_ctrl:1
	v_cvt_i32_f32_e32 v10, v8
	v_cvt_f32_i32_dpp v9, v9 row_shr:15 row_mask:0xf bank_mask:0xf bound_ctrl:1
	v_cvt_f32_i32_dpp v6, v6 row_shr:15 row_mask:0xf bank_mask:0xf bound_ctrl:1
	v_add_f32_e32 v15, v0, v7
	v_cvt_f32_i32_dpp v7, v10 row_bcast:15 row_mask:0xf bank_mask:0xf bound_ctrl:1
	v_cvt_i32_f32_e32 v0, v9
	v_cvt_i32_f32_e32 v10, v6
	;; [unrolled: 1-line block ×3, first 2 shown]
	v_add_f32_e32 v12, v8, v7
	v_cvt_f32_i32_dpp v0, v0 row_bcast:15 row_mask:0xf bank_mask:0xf bound_ctrl:1
	v_cvt_f32_i32_dpp v7, v10 row_bcast:15 row_mask:0xf bank_mask:0xf bound_ctrl:1
	v_cvt_i32_f32_e32 v24, v18
	v_cvt_i32_f32_e32 v11, v15
	v_add_f32_e32 v10, v9, v0
	v_add_f32_e32 v8, v6, v7
	v_cvt_i32_f32_e32 v13, v12
	v_cvt_i32_f32_e32 v0, v10
	;; [unrolled: 1-line block ×3, first 2 shown]
	v_mov_b32_dpp v20, v25 row_bcast:31 row_mask:0xf bank_mask:0xf bound_ctrl:1
	v_mov_b32_dpp v14, v24 row_bcast:31 row_mask:0xf bank_mask:0xf bound_ctrl:1
	;; [unrolled: 1-line block ×6, first 2 shown]
	s_and_saveexec_b64 s[38:39], s[0:1]
	s_cbranch_execz .LBB259_129
; %bb.31:                               ;   in Loop: Header=BB259_12 Depth=1
	s_andn2_b64 vcc, exec, s[30:31]
	v_mov_b32_e32 v49, 0
	v_add_u32_e32 v0, 2, v102
	v_add_u32_e32 v6, 3, v102
	v_mov_b32_e32 v48, 0
	v_mov_b32_e32 v45, 0
	;; [unrolled: 1-line block ×15, first 2 shown]
	s_cbranch_vccnz .LBB259_33
; %bb.32:                               ;   in Loop: Header=BB259_12 Depth=1
	v_mul_hi_u32 v7, v102, v116
	v_mul_lo_u32 v7, v7, s16
	v_sub_u32_e32 v7, v102, v7
	v_subrev_u32_e32 v17, s16, v7
	v_cmp_le_u32_e32 vcc, s16, v7
	v_mov_b32_e32 v41, v1
	v_mov_b32_e32 v25, v1
	v_cndmask_b32_e32 v7, v7, v17, vcc
	v_subrev_u32_e32 v17, s16, v7
	v_cmp_le_u32_e32 vcc, s16, v7
	v_mov_b32_e32 v33, v1
	v_mov_b32_e32 v61, v1
	v_cndmask_b32_e32 v24, v7, v17, vcc
	v_add_u32_e32 v7, 1, v102
	v_mul_hi_u32 v17, v7, v116
	v_mul_lo_u32 v17, v17, s16
	v_sub_u32_e32 v7, v7, v17
	v_subrev_u32_e32 v17, s16, v7
	v_cmp_le_u32_e32 vcc, s16, v7
	v_add_u32_e32 v40, s49, v24
	v_lshl_add_u64 v[68:69], v[40:41], 1, s[22:23]
	v_cndmask_b32_e32 v7, v7, v17, vcc
	v_subrev_u32_e32 v17, s16, v7
	v_cmp_le_u32_e32 vcc, s16, v7
	v_lshl_add_u64 v[28:29], v[24:25], 1, s[22:23]
	v_mov_b32_e32 v65, v1
	v_cndmask_b32_e32 v32, v7, v17, vcc
	v_mul_hi_u32 v7, v0, v116
	v_mul_lo_u32 v7, v7, s16
	v_sub_u32_e32 v7, v0, v7
	v_subrev_u32_e32 v17, s16, v7
	v_cmp_le_u32_e32 vcc, s16, v7
	v_add_u32_e32 v40, s49, v32
	v_lshl_add_u64 v[70:71], v[40:41], 1, s[22:23]
	v_cndmask_b32_e32 v7, v7, v17, vcc
	v_subrev_u32_e32 v17, s16, v7
	v_cmp_le_u32_e32 vcc, s16, v7
	v_lshl_add_u64 v[52:53], v[32:33], 1, s[22:23]
	s_nop 0
	v_cndmask_b32_e32 v60, v7, v17, vcc
	v_mul_hi_u32 v7, v6, v116
	v_mul_lo_u32 v7, v7, s16
	v_sub_u32_e32 v7, v6, v7
	v_subrev_u32_e32 v17, s16, v7
	v_cmp_le_u32_e32 vcc, s16, v7
	v_add_u32_e32 v40, s49, v60
	v_lshl_add_u64 v[72:73], v[40:41], 1, s[22:23]
	v_cndmask_b32_e32 v7, v7, v17, vcc
	v_subrev_u32_e32 v17, s16, v7
	v_cmp_le_u32_e32 vcc, s16, v7
	v_lshl_add_u64 v[62:63], v[60:61], 1, s[22:23]
	s_nop 0
	v_cndmask_b32_e32 v64, v7, v17, vcc
	v_add_u32_e32 v40, s49, v64
	v_lshl_add_u64 v[66:67], v[64:65], 1, s[22:23]
	v_lshl_add_u64 v[74:75], v[40:41], 1, s[22:23]
	global_load_ushort v49, v[28:29], off
	global_load_ushort v48, v[52:53], off
	;; [unrolled: 1-line block ×8, first 2 shown]
	v_add_u32_e32 v28, s50, v24
	v_mov_b32_e32 v29, v1
	v_add_u32_e32 v24, s51, v24
	v_lshl_add_u64 v[52:53], v[28:29], 1, s[22:23]
	v_add_u32_e32 v28, s50, v32
	v_lshl_add_u64 v[70:71], v[24:25], 1, s[22:23]
	;; [unrolled: 2-line block ×7, first 2 shown]
	v_lshl_add_u64 v[64:65], v[24:25], 1, s[22:23]
	global_load_ushort v33, v[52:53], off
	global_load_ushort v32, v[62:63], off
	;; [unrolled: 1-line block ×8, first 2 shown]
.LBB259_33:                             ;   in Loop: Header=BB259_12 Depth=1
	v_cmp_ne_u32_e32 vcc, 0, v2
	s_and_saveexec_b64 s[8:9], vcc
	s_cbranch_execnz .LBB259_49
; %bb.34:                               ;   in Loop: Header=BB259_12 Depth=1
	s_or_b64 exec, exec, s[8:9]
	v_cmp_ne_u32_e64 s[6:7], 0, v3
	s_and_saveexec_b64 s[10:11], s[6:7]
	s_cbranch_execnz .LBB259_54
.LBB259_35:                             ;   in Loop: Header=BB259_12 Depth=1
	s_or_b64 exec, exec, s[10:11]
	v_cmp_ne_u32_e64 s[8:9], 0, v4
	s_and_saveexec_b64 s[12:13], s[8:9]
	s_cbranch_execnz .LBB259_59
.LBB259_36:                             ;   in Loop: Header=BB259_12 Depth=1
	s_or_b64 exec, exec, s[12:13]
	v_cmp_ne_u32_e64 s[10:11], 0, v5
	s_and_saveexec_b64 s[40:41], s[10:11]
	s_cbranch_execnz .LBB259_64
.LBB259_37:                             ;   in Loop: Header=BB259_12 Depth=1
	s_or_b64 exec, exec, s[40:41]
	v_add_u32_e32 v0, s27, v102
	s_and_saveexec_b64 s[40:41], vcc
	s_cbranch_execnz .LBB259_69
.LBB259_38:                             ;   in Loop: Header=BB259_12 Depth=1
	s_or_b64 exec, exec, s[40:41]
	s_and_saveexec_b64 s[40:41], s[6:7]
	s_cbranch_execnz .LBB259_74
.LBB259_39:                             ;   in Loop: Header=BB259_12 Depth=1
	s_or_b64 exec, exec, s[40:41]
	s_and_saveexec_b64 s[40:41], s[8:9]
	s_cbranch_execnz .LBB259_79
.LBB259_40:                             ;   in Loop: Header=BB259_12 Depth=1
	s_or_b64 exec, exec, s[40:41]
	s_and_saveexec_b64 s[40:41], s[10:11]
	s_cbranch_execnz .LBB259_84
.LBB259_41:                             ;   in Loop: Header=BB259_12 Depth=1
	s_or_b64 exec, exec, s[40:41]
	v_add_u32_e32 v0, s27, v0
	s_and_saveexec_b64 s[40:41], vcc
	s_cbranch_execnz .LBB259_89
.LBB259_42:                             ;   in Loop: Header=BB259_12 Depth=1
	s_or_b64 exec, exec, s[40:41]
	s_and_saveexec_b64 s[40:41], s[6:7]
	s_cbranch_execnz .LBB259_94
.LBB259_43:                             ;   in Loop: Header=BB259_12 Depth=1
	s_or_b64 exec, exec, s[40:41]
	s_and_saveexec_b64 s[40:41], s[8:9]
	s_cbranch_execnz .LBB259_99
.LBB259_44:                             ;   in Loop: Header=BB259_12 Depth=1
	s_or_b64 exec, exec, s[40:41]
	s_and_saveexec_b64 s[40:41], s[10:11]
	s_cbranch_execnz .LBB259_104
.LBB259_45:                             ;   in Loop: Header=BB259_12 Depth=1
	s_or_b64 exec, exec, s[40:41]
	v_add_u32_e32 v0, s27, v0
	s_and_saveexec_b64 s[12:13], vcc
	s_cbranch_execnz .LBB259_109
.LBB259_46:                             ;   in Loop: Header=BB259_12 Depth=1
	s_or_b64 exec, exec, s[12:13]
	s_and_saveexec_b64 s[12:13], s[6:7]
	s_cbranch_execnz .LBB259_114
.LBB259_47:                             ;   in Loop: Header=BB259_12 Depth=1
	s_or_b64 exec, exec, s[12:13]
	s_and_saveexec_b64 s[6:7], s[8:9]
	s_cbranch_execnz .LBB259_119
.LBB259_48:                             ;   in Loop: Header=BB259_12 Depth=1
	s_or_b64 exec, exec, s[6:7]
	s_and_b64 exec, exec, s[10:11]
	s_cbranch_execnz .LBB259_124
	s_branch .LBB259_129
.LBB259_49:                             ;   in Loop: Header=BB259_12 Depth=1
	v_cvt_f32_i32_e32 v51, v56
	s_waitcnt vmcnt(15)
	v_lshlrev_b32_e32 v49, 16, v49
	v_add_f32_e32 v51, v58, v51
	v_add_f32_e32 v51, v51, v49
	v_and_b32_e32 v49, 0x7f800000, v51
	v_cmp_ne_u32_e64 s[6:7], s56, v49
                                        ; implicit-def: $vgpr49
	s_and_saveexec_b64 s[10:11], s[6:7]
	s_xor_b64 s[6:7], exec, s[10:11]
; %bb.50:                               ;   in Loop: Header=BB259_12 Depth=1
	v_bfe_u32 v49, v51, 16, 1
	v_add3_u32 v49, v51, v49, s57
                                        ; implicit-def: $vgpr51
; %bb.51:                               ;   in Loop: Header=BB259_12 Depth=1
	s_andn2_saveexec_b64 s[10:11], s[6:7]
; %bb.52:                               ;   in Loop: Header=BB259_12 Depth=1
	v_or_b32_e32 v49, 0x10000, v51
	v_cmp_eq_u32_sdwa s[6:7], v51, v1 src0_sel:WORD_0 src1_sel:DWORD
	s_nop 1
	v_cndmask_b32_e64 v49, v49, v51, s[6:7]
; %bb.53:                               ;   in Loop: Header=BB259_12 Depth=1
	s_or_b64 exec, exec, s[10:11]
	v_mov_b32_e32 v103, v1
	v_lshl_add_u64 v[52:53], v[102:103], 1, s[14:15]
	global_store_short_d16_hi v[52:53], v49, off
	s_or_b64 exec, exec, s[8:9]
	v_cmp_ne_u32_e64 s[6:7], 0, v3
	s_and_saveexec_b64 s[10:11], s[6:7]
	s_cbranch_execz .LBB259_35
.LBB259_54:                             ;   in Loop: Header=BB259_12 Depth=1
	s_waitcnt vmcnt(15)
	v_cvt_f32_i32_e32 v49, v55
	s_waitcnt vmcnt(14)
	v_lshlrev_b32_e32 v48, 16, v48
	v_add_f32_e32 v49, v54, v49
	v_add_f32_e32 v49, v49, v48
	v_and_b32_e32 v48, 0x7f800000, v49
	v_cmp_ne_u32_e64 s[8:9], s56, v48
                                        ; implicit-def: $vgpr48
	s_and_saveexec_b64 s[12:13], s[8:9]
	s_xor_b64 s[8:9], exec, s[12:13]
; %bb.55:                               ;   in Loop: Header=BB259_12 Depth=1
	v_bfe_u32 v48, v49, 16, 1
	v_add3_u32 v48, v49, v48, s57
                                        ; implicit-def: $vgpr49
; %bb.56:                               ;   in Loop: Header=BB259_12 Depth=1
	s_andn2_saveexec_b64 s[12:13], s[8:9]
; %bb.57:                               ;   in Loop: Header=BB259_12 Depth=1
	v_or_b32_e32 v48, 0x10000, v49
	v_cmp_eq_u32_sdwa s[8:9], v49, v1 src0_sel:WORD_0 src1_sel:DWORD
	s_nop 1
	v_cndmask_b32_e64 v48, v48, v49, s[8:9]
; %bb.58:                               ;   in Loop: Header=BB259_12 Depth=1
	s_or_b64 exec, exec, s[12:13]
	v_mov_b32_e32 v103, v1
	v_lshl_add_u64 v[52:53], v[102:103], 1, s[34:35]
	global_store_short_d16_hi v[52:53], v48, off
	s_or_b64 exec, exec, s[10:11]
	v_cmp_ne_u32_e64 s[8:9], 0, v4
	s_and_saveexec_b64 s[12:13], s[8:9]
	s_cbranch_execz .LBB259_36
.LBB259_59:                             ;   in Loop: Header=BB259_12 Depth=1
	v_cvt_f32_i32_e32 v47, v47
	s_waitcnt vmcnt(13)
	v_lshlrev_b32_e32 v45, 16, v45
	v_add_f32_e32 v47, v50, v47
	v_add_f32_e32 v47, v47, v45
	v_and_b32_e32 v45, 0x7f800000, v47
	v_cmp_ne_u32_e64 s[10:11], s56, v45
                                        ; implicit-def: $vgpr45
	s_and_saveexec_b64 s[40:41], s[10:11]
	s_xor_b64 s[10:11], exec, s[40:41]
; %bb.60:                               ;   in Loop: Header=BB259_12 Depth=1
	v_bfe_u32 v45, v47, 16, 1
	v_add3_u32 v45, v47, v45, s57
                                        ; implicit-def: $vgpr47
; %bb.61:                               ;   in Loop: Header=BB259_12 Depth=1
	s_andn2_saveexec_b64 s[40:41], s[10:11]
; %bb.62:                               ;   in Loop: Header=BB259_12 Depth=1
	v_or_b32_e32 v45, 0x10000, v47
	v_cmp_eq_u32_sdwa s[10:11], v47, v1 src0_sel:WORD_0 src1_sel:DWORD
	s_nop 1
	v_cndmask_b32_e64 v45, v45, v47, s[10:11]
; %bb.63:                               ;   in Loop: Header=BB259_12 Depth=1
	s_or_b64 exec, exec, s[40:41]
	v_lshl_add_u64 v[48:49], v[0:1], 1, s[14:15]
	global_store_short_d16_hi v[48:49], v45, off
	s_or_b64 exec, exec, s[12:13]
	v_cmp_ne_u32_e64 s[10:11], 0, v5
	s_and_saveexec_b64 s[40:41], s[10:11]
	s_cbranch_execz .LBB259_37
.LBB259_64:                             ;   in Loop: Header=BB259_12 Depth=1
	v_cvt_f32_i32_e32 v0, v43
	s_waitcnt vmcnt(12)
	v_lshlrev_b32_e32 v7, 16, v7
	v_add_f32_e32 v0, v46, v0
	v_add_f32_e32 v7, v0, v7
	v_and_b32_e32 v0, 0x7f800000, v7
	v_cmp_ne_u32_e64 s[12:13], s56, v0
                                        ; implicit-def: $vgpr0
	s_and_saveexec_b64 s[42:43], s[12:13]
	s_xor_b64 s[12:13], exec, s[42:43]
; %bb.65:                               ;   in Loop: Header=BB259_12 Depth=1
	v_bfe_u32 v0, v7, 16, 1
	v_add3_u32 v0, v7, v0, s57
                                        ; implicit-def: $vgpr7
; %bb.66:                               ;   in Loop: Header=BB259_12 Depth=1
	s_andn2_saveexec_b64 s[42:43], s[12:13]
; %bb.67:                               ;   in Loop: Header=BB259_12 Depth=1
	v_or_b32_e32 v0, 0x10000, v7
	v_cmp_eq_u32_sdwa s[12:13], v7, v1 src0_sel:WORD_0 src1_sel:DWORD
	s_nop 1
	v_cndmask_b32_e64 v0, v0, v7, s[12:13]
; %bb.68:                               ;   in Loop: Header=BB259_12 Depth=1
	s_or_b64 exec, exec, s[42:43]
	v_mov_b32_e32 v7, v1
	v_lshl_add_u64 v[6:7], v[6:7], 1, s[14:15]
	global_store_short_d16_hi v[6:7], v0, off
	s_or_b64 exec, exec, s[40:41]
	v_add_u32_e32 v0, s27, v102
	s_and_saveexec_b64 s[40:41], vcc
	s_cbranch_execz .LBB259_38
.LBB259_69:                             ;   in Loop: Header=BB259_12 Depth=1
	v_cvt_f32_i32_e32 v6, v39
	s_waitcnt vmcnt(11)
	v_lshlrev_b32_e32 v7, 16, v44
	v_add_f32_e32 v6, v42, v6
	v_add_f32_e32 v7, v6, v7
	v_and_b32_e32 v6, 0x7f800000, v7
	v_cmp_ne_u32_e64 s[12:13], s56, v6
                                        ; implicit-def: $vgpr6
	s_and_saveexec_b64 s[42:43], s[12:13]
	s_xor_b64 s[12:13], exec, s[42:43]
; %bb.70:                               ;   in Loop: Header=BB259_12 Depth=1
	v_bfe_u32 v6, v7, 16, 1
	v_add3_u32 v6, v7, v6, s57
                                        ; implicit-def: $vgpr7
; %bb.71:                               ;   in Loop: Header=BB259_12 Depth=1
	s_andn2_saveexec_b64 s[42:43], s[12:13]
; %bb.72:                               ;   in Loop: Header=BB259_12 Depth=1
	v_or_b32_e32 v6, 0x10000, v7
	v_cmp_eq_u32_sdwa s[12:13], v7, v1 src0_sel:WORD_0 src1_sel:DWORD
	s_nop 1
	v_cndmask_b32_e64 v6, v6, v7, s[12:13]
; %bb.73:                               ;   in Loop: Header=BB259_12 Depth=1
	s_or_b64 exec, exec, s[42:43]
	v_lshl_add_u64 v[42:43], v[0:1], 1, s[14:15]
	global_store_short_d16_hi v[42:43], v6, off
	s_or_b64 exec, exec, s[40:41]
	s_and_saveexec_b64 s[40:41], s[6:7]
	s_cbranch_execz .LBB259_39
.LBB259_74:                             ;   in Loop: Header=BB259_12 Depth=1
	v_cvt_f32_i32_e32 v6, v36
	s_waitcnt vmcnt(10)
	v_lshlrev_b32_e32 v7, 16, v41
	v_add_f32_e32 v6, v38, v6
	v_add_f32_e32 v7, v6, v7
	v_and_b32_e32 v6, 0x7f800000, v7
	v_cmp_ne_u32_e64 s[12:13], s56, v6
                                        ; implicit-def: $vgpr6
	s_and_saveexec_b64 s[42:43], s[12:13]
	s_xor_b64 s[12:13], exec, s[42:43]
; %bb.75:                               ;   in Loop: Header=BB259_12 Depth=1
	v_bfe_u32 v6, v7, 16, 1
	v_add3_u32 v6, v7, v6, s57
                                        ; implicit-def: $vgpr7
; %bb.76:                               ;   in Loop: Header=BB259_12 Depth=1
	s_andn2_saveexec_b64 s[42:43], s[12:13]
; %bb.77:                               ;   in Loop: Header=BB259_12 Depth=1
	v_or_b32_e32 v6, 0x10000, v7
	v_cmp_eq_u32_sdwa s[12:13], v7, v1 src0_sel:WORD_0 src1_sel:DWORD
	s_nop 1
	v_cndmask_b32_e64 v6, v6, v7, s[12:13]
; %bb.78:                               ;   in Loop: Header=BB259_12 Depth=1
	s_or_b64 exec, exec, s[42:43]
	v_add_u32_e32 v38, 1, v0
	v_mov_b32_e32 v39, v1
	v_lshl_add_u64 v[38:39], v[38:39], 1, s[14:15]
	global_store_short_d16_hi v[38:39], v6, off
	s_or_b64 exec, exec, s[40:41]
	s_and_saveexec_b64 s[40:41], s[8:9]
	s_cbranch_execz .LBB259_40
.LBB259_79:                             ;   in Loop: Header=BB259_12 Depth=1
	v_cvt_f32_i32_e32 v6, v35
	s_waitcnt vmcnt(9)
	v_lshlrev_b32_e32 v7, 16, v40
	v_add_f32_e32 v6, v34, v6
	v_add_f32_e32 v7, v6, v7
	v_and_b32_e32 v6, 0x7f800000, v7
	v_cmp_ne_u32_e64 s[12:13], s56, v6
                                        ; implicit-def: $vgpr6
	s_and_saveexec_b64 s[42:43], s[12:13]
	s_xor_b64 s[12:13], exec, s[42:43]
; %bb.80:                               ;   in Loop: Header=BB259_12 Depth=1
	v_bfe_u32 v6, v7, 16, 1
	v_add3_u32 v6, v7, v6, s57
                                        ; implicit-def: $vgpr7
; %bb.81:                               ;   in Loop: Header=BB259_12 Depth=1
	s_andn2_saveexec_b64 s[42:43], s[12:13]
; %bb.82:                               ;   in Loop: Header=BB259_12 Depth=1
	v_or_b32_e32 v6, 0x10000, v7
	v_cmp_eq_u32_sdwa s[12:13], v7, v1 src0_sel:WORD_0 src1_sel:DWORD
	s_nop 1
	v_cndmask_b32_e64 v6, v6, v7, s[12:13]
; %bb.83:                               ;   in Loop: Header=BB259_12 Depth=1
	s_or_b64 exec, exec, s[42:43]
	v_add_u32_e32 v34, 2, v0
	v_mov_b32_e32 v35, v1
	v_lshl_add_u64 v[34:35], v[34:35], 1, s[14:15]
	global_store_short_d16_hi v[34:35], v6, off
	s_or_b64 exec, exec, s[40:41]
	s_and_saveexec_b64 s[40:41], s[10:11]
	s_cbranch_execz .LBB259_41
.LBB259_84:                             ;   in Loop: Header=BB259_12 Depth=1
	v_cvt_f32_i32_e32 v6, v27
	s_waitcnt vmcnt(8)
	v_lshlrev_b32_e32 v7, 16, v37
	v_add_f32_e32 v6, v30, v6
	v_add_f32_e32 v7, v6, v7
	v_and_b32_e32 v6, 0x7f800000, v7
	v_cmp_ne_u32_e64 s[12:13], s56, v6
                                        ; implicit-def: $vgpr6
	s_and_saveexec_b64 s[42:43], s[12:13]
	s_xor_b64 s[12:13], exec, s[42:43]
; %bb.85:                               ;   in Loop: Header=BB259_12 Depth=1
	v_bfe_u32 v6, v7, 16, 1
	v_add3_u32 v6, v7, v6, s57
                                        ; implicit-def: $vgpr7
; %bb.86:                               ;   in Loop: Header=BB259_12 Depth=1
	s_andn2_saveexec_b64 s[42:43], s[12:13]
; %bb.87:                               ;   in Loop: Header=BB259_12 Depth=1
	v_or_b32_e32 v6, 0x10000, v7
	v_cmp_eq_u32_sdwa s[12:13], v7, v1 src0_sel:WORD_0 src1_sel:DWORD
	s_nop 1
	v_cndmask_b32_e64 v6, v6, v7, s[12:13]
; %bb.88:                               ;   in Loop: Header=BB259_12 Depth=1
	s_or_b64 exec, exec, s[42:43]
	v_add_u32_e32 v34, 3, v0
	v_mov_b32_e32 v35, v1
	v_lshl_add_u64 v[34:35], v[34:35], 1, s[14:15]
	global_store_short_d16_hi v[34:35], v6, off
	s_or_b64 exec, exec, s[40:41]
	v_add_u32_e32 v0, s27, v0
	s_and_saveexec_b64 s[40:41], vcc
	s_cbranch_execz .LBB259_42
.LBB259_89:                             ;   in Loop: Header=BB259_12 Depth=1
	v_cvt_f32_i32_e32 v6, v23
	s_waitcnt vmcnt(7)
	v_lshlrev_b32_e32 v7, 16, v33
	v_add_f32_e32 v6, v26, v6
	v_add_f32_e32 v7, v6, v7
	v_and_b32_e32 v6, 0x7f800000, v7
	v_cmp_ne_u32_e64 s[12:13], s56, v6
                                        ; implicit-def: $vgpr6
	s_and_saveexec_b64 s[42:43], s[12:13]
	s_xor_b64 s[12:13], exec, s[42:43]
; %bb.90:                               ;   in Loop: Header=BB259_12 Depth=1
	v_bfe_u32 v6, v7, 16, 1
	v_add3_u32 v6, v7, v6, s57
                                        ; implicit-def: $vgpr7
; %bb.91:                               ;   in Loop: Header=BB259_12 Depth=1
	s_andn2_saveexec_b64 s[42:43], s[12:13]
; %bb.92:                               ;   in Loop: Header=BB259_12 Depth=1
	v_or_b32_e32 v6, 0x10000, v7
	v_cmp_eq_u32_sdwa s[12:13], v7, v1 src0_sel:WORD_0 src1_sel:DWORD
	s_nop 1
	v_cndmask_b32_e64 v6, v6, v7, s[12:13]
; %bb.93:                               ;   in Loop: Header=BB259_12 Depth=1
	s_or_b64 exec, exec, s[42:43]
	v_lshl_add_u64 v[26:27], v[0:1], 1, s[14:15]
	global_store_short_d16_hi v[26:27], v6, off
	s_or_b64 exec, exec, s[40:41]
	s_and_saveexec_b64 s[40:41], s[6:7]
	s_cbranch_execz .LBB259_43
.LBB259_94:                             ;   in Loop: Header=BB259_12 Depth=1
	v_cvt_f32_i32_e32 v6, v21
	s_waitcnt vmcnt(6)
	v_lshlrev_b32_e32 v7, 16, v32
	v_add_f32_e32 v6, v22, v6
	v_add_f32_e32 v7, v6, v7
	v_and_b32_e32 v6, 0x7f800000, v7
	v_cmp_ne_u32_e64 s[12:13], s56, v6
                                        ; implicit-def: $vgpr6
	s_and_saveexec_b64 s[42:43], s[12:13]
	s_xor_b64 s[12:13], exec, s[42:43]
; %bb.95:                               ;   in Loop: Header=BB259_12 Depth=1
	v_bfe_u32 v6, v7, 16, 1
	v_add3_u32 v6, v7, v6, s57
                                        ; implicit-def: $vgpr7
; %bb.96:                               ;   in Loop: Header=BB259_12 Depth=1
	s_andn2_saveexec_b64 s[42:43], s[12:13]
; %bb.97:                               ;   in Loop: Header=BB259_12 Depth=1
	v_or_b32_e32 v6, 0x10000, v7
	v_cmp_eq_u32_sdwa s[12:13], v7, v1 src0_sel:WORD_0 src1_sel:DWORD
	s_nop 1
	v_cndmask_b32_e64 v6, v6, v7, s[12:13]
; %bb.98:                               ;   in Loop: Header=BB259_12 Depth=1
	s_or_b64 exec, exec, s[42:43]
	v_add_u32_e32 v22, 1, v0
	v_mov_b32_e32 v23, v1
	v_lshl_add_u64 v[22:23], v[22:23], 1, s[14:15]
	global_store_short_d16_hi v[22:23], v6, off
	s_or_b64 exec, exec, s[40:41]
	s_and_saveexec_b64 s[40:41], s[8:9]
	s_cbranch_execz .LBB259_44
.LBB259_99:                             ;   in Loop: Header=BB259_12 Depth=1
	v_cvt_f32_i32_e32 v6, v20
	s_waitcnt vmcnt(5)
	v_lshlrev_b32_e32 v7, 16, v31
	v_add_f32_e32 v6, v19, v6
	v_add_f32_e32 v7, v6, v7
	v_and_b32_e32 v6, 0x7f800000, v7
	v_cmp_ne_u32_e64 s[12:13], s56, v6
                                        ; implicit-def: $vgpr6
	s_and_saveexec_b64 s[42:43], s[12:13]
	s_xor_b64 s[12:13], exec, s[42:43]
; %bb.100:                              ;   in Loop: Header=BB259_12 Depth=1
	v_bfe_u32 v6, v7, 16, 1
	v_add3_u32 v6, v7, v6, s57
                                        ; implicit-def: $vgpr7
; %bb.101:                              ;   in Loop: Header=BB259_12 Depth=1
	s_andn2_saveexec_b64 s[42:43], s[12:13]
; %bb.102:                              ;   in Loop: Header=BB259_12 Depth=1
	v_or_b32_e32 v6, 0x10000, v7
	v_cmp_eq_u32_sdwa s[12:13], v7, v1 src0_sel:WORD_0 src1_sel:DWORD
	s_nop 1
	v_cndmask_b32_e64 v6, v6, v7, s[12:13]
; %bb.103:                              ;   in Loop: Header=BB259_12 Depth=1
	s_or_b64 exec, exec, s[42:43]
	v_add_u32_e32 v20, 2, v0
	v_mov_b32_e32 v21, v1
	v_lshl_add_u64 v[20:21], v[20:21], 1, s[14:15]
	global_store_short_d16_hi v[20:21], v6, off
	s_or_b64 exec, exec, s[40:41]
	s_and_saveexec_b64 s[40:41], s[10:11]
	s_cbranch_execz .LBB259_45
.LBB259_104:                            ;   in Loop: Header=BB259_12 Depth=1
	v_cvt_f32_i32_e32 v6, v14
	s_waitcnt vmcnt(4)
	v_lshlrev_b32_e32 v7, 16, v29
	v_add_f32_e32 v6, v18, v6
	v_add_f32_e32 v7, v6, v7
	v_and_b32_e32 v6, 0x7f800000, v7
	v_cmp_ne_u32_e64 s[12:13], s56, v6
                                        ; implicit-def: $vgpr6
	s_and_saveexec_b64 s[42:43], s[12:13]
	s_xor_b64 s[12:13], exec, s[42:43]
; %bb.105:                              ;   in Loop: Header=BB259_12 Depth=1
	v_bfe_u32 v6, v7, 16, 1
	v_add3_u32 v6, v7, v6, s57
                                        ; implicit-def: $vgpr7
; %bb.106:                              ;   in Loop: Header=BB259_12 Depth=1
	s_andn2_saveexec_b64 s[42:43], s[12:13]
; %bb.107:                              ;   in Loop: Header=BB259_12 Depth=1
	v_or_b32_e32 v6, 0x10000, v7
	v_cmp_eq_u32_sdwa s[12:13], v7, v1 src0_sel:WORD_0 src1_sel:DWORD
	s_nop 1
	v_cndmask_b32_e64 v6, v6, v7, s[12:13]
; %bb.108:                              ;   in Loop: Header=BB259_12 Depth=1
	s_or_b64 exec, exec, s[42:43]
	v_add_u32_e32 v18, 3, v0
	v_mov_b32_e32 v19, v1
	v_lshl_add_u64 v[18:19], v[18:19], 1, s[14:15]
	global_store_short_d16_hi v[18:19], v6, off
	s_or_b64 exec, exec, s[40:41]
	v_add_u32_e32 v0, s27, v0
	s_and_saveexec_b64 s[12:13], vcc
	s_cbranch_execz .LBB259_46
.LBB259_109:                            ;   in Loop: Header=BB259_12 Depth=1
	v_cvt_f32_i32_e32 v6, v16
	s_waitcnt vmcnt(3)
	v_lshlrev_b32_e32 v7, 16, v28
	v_add_f32_e32 v6, v15, v6
	v_add_f32_e32 v7, v6, v7
	v_and_b32_e32 v6, 0x7f800000, v7
	v_cmp_ne_u32_e32 vcc, s56, v6
                                        ; implicit-def: $vgpr6
	s_and_saveexec_b64 s[40:41], vcc
	s_xor_b64 s[40:41], exec, s[40:41]
; %bb.110:                              ;   in Loop: Header=BB259_12 Depth=1
	v_bfe_u32 v6, v7, 16, 1
	v_add3_u32 v6, v7, v6, s57
                                        ; implicit-def: $vgpr7
; %bb.111:                              ;   in Loop: Header=BB259_12 Depth=1
	s_andn2_saveexec_b64 s[40:41], s[40:41]
; %bb.112:                              ;   in Loop: Header=BB259_12 Depth=1
	v_or_b32_e32 v6, 0x10000, v7
	v_cmp_eq_u32_sdwa vcc, v7, v1 src0_sel:WORD_0 src1_sel:DWORD
	s_nop 1
	v_cndmask_b32_e32 v6, v6, v7, vcc
; %bb.113:                              ;   in Loop: Header=BB259_12 Depth=1
	s_or_b64 exec, exec, s[40:41]
	v_lshl_add_u64 v[14:15], v[0:1], 1, s[14:15]
	global_store_short_d16_hi v[14:15], v6, off
	s_or_b64 exec, exec, s[12:13]
	s_and_saveexec_b64 s[12:13], s[6:7]
	s_cbranch_execz .LBB259_47
.LBB259_114:                            ;   in Loop: Header=BB259_12 Depth=1
	v_cvt_f32_i32_e32 v6, v13
	s_waitcnt vmcnt(2)
	v_lshlrev_b32_e32 v7, 16, v25
	v_add_f32_e32 v6, v12, v6
	v_add_f32_e32 v7, v6, v7
	v_and_b32_e32 v6, 0x7f800000, v7
	v_cmp_ne_u32_e32 vcc, s56, v6
                                        ; implicit-def: $vgpr6
	s_and_saveexec_b64 s[6:7], vcc
	s_xor_b64 s[6:7], exec, s[6:7]
; %bb.115:                              ;   in Loop: Header=BB259_12 Depth=1
	v_bfe_u32 v6, v7, 16, 1
	v_add3_u32 v6, v7, v6, s57
                                        ; implicit-def: $vgpr7
; %bb.116:                              ;   in Loop: Header=BB259_12 Depth=1
	s_andn2_saveexec_b64 s[6:7], s[6:7]
; %bb.117:                              ;   in Loop: Header=BB259_12 Depth=1
	v_or_b32_e32 v6, 0x10000, v7
	v_cmp_eq_u32_sdwa vcc, v7, v1 src0_sel:WORD_0 src1_sel:DWORD
	s_nop 1
	v_cndmask_b32_e32 v6, v6, v7, vcc
; %bb.118:                              ;   in Loop: Header=BB259_12 Depth=1
	s_or_b64 exec, exec, s[6:7]
	v_add_u32_e32 v12, 1, v0
	v_mov_b32_e32 v13, v1
	v_lshl_add_u64 v[12:13], v[12:13], 1, s[14:15]
	global_store_short_d16_hi v[12:13], v6, off
	s_or_b64 exec, exec, s[12:13]
	s_and_saveexec_b64 s[6:7], s[8:9]
	s_cbranch_execz .LBB259_48
.LBB259_119:                            ;   in Loop: Header=BB259_12 Depth=1
	v_cvt_f32_i32_e32 v6, v11
	s_waitcnt vmcnt(1)
	v_lshlrev_b32_e32 v7, 16, v24
	v_add_f32_e32 v6, v10, v6
	v_add_f32_e32 v7, v6, v7
	v_and_b32_e32 v6, 0x7f800000, v7
	v_cmp_ne_u32_e32 vcc, s56, v6
                                        ; implicit-def: $vgpr6
	s_and_saveexec_b64 s[8:9], vcc
	s_xor_b64 s[8:9], exec, s[8:9]
; %bb.120:                              ;   in Loop: Header=BB259_12 Depth=1
	v_bfe_u32 v6, v7, 16, 1
	v_add3_u32 v6, v7, v6, s57
                                        ; implicit-def: $vgpr7
; %bb.121:                              ;   in Loop: Header=BB259_12 Depth=1
	s_andn2_saveexec_b64 s[8:9], s[8:9]
; %bb.122:                              ;   in Loop: Header=BB259_12 Depth=1
	v_or_b32_e32 v6, 0x10000, v7
	v_cmp_eq_u32_sdwa vcc, v7, v1 src0_sel:WORD_0 src1_sel:DWORD
	s_nop 1
	v_cndmask_b32_e32 v6, v6, v7, vcc
; %bb.123:                              ;   in Loop: Header=BB259_12 Depth=1
	s_or_b64 exec, exec, s[8:9]
	v_add_u32_e32 v10, 2, v0
	v_mov_b32_e32 v11, v1
	v_lshl_add_u64 v[10:11], v[10:11], 1, s[14:15]
	global_store_short_d16_hi v[10:11], v6, off
	s_or_b64 exec, exec, s[6:7]
	s_and_b64 exec, exec, s[10:11]
	s_cbranch_execz .LBB259_129
.LBB259_124:                            ;   in Loop: Header=BB259_12 Depth=1
	v_cvt_f32_i32_e32 v6, v9
	s_waitcnt vmcnt(0)
	v_lshlrev_b32_e32 v7, 16, v17
	v_add_f32_e32 v6, v8, v6
	v_add_f32_e32 v7, v6, v7
	v_and_b32_e32 v6, 0x7f800000, v7
	v_cmp_ne_u32_e32 vcc, s56, v6
                                        ; implicit-def: $vgpr6
	s_and_saveexec_b64 s[6:7], vcc
	s_xor_b64 s[6:7], exec, s[6:7]
; %bb.125:                              ;   in Loop: Header=BB259_12 Depth=1
	v_bfe_u32 v6, v7, 16, 1
	v_add3_u32 v6, v7, v6, s57
                                        ; implicit-def: $vgpr7
; %bb.126:                              ;   in Loop: Header=BB259_12 Depth=1
	s_andn2_saveexec_b64 s[6:7], s[6:7]
; %bb.127:                              ;   in Loop: Header=BB259_12 Depth=1
	v_or_b32_e32 v6, 0x10000, v7
	v_cmp_eq_u32_sdwa vcc, v7, v1 src0_sel:WORD_0 src1_sel:DWORD
	s_nop 1
	v_cndmask_b32_e32 v6, v6, v7, vcc
; %bb.128:                              ;   in Loop: Header=BB259_12 Depth=1
	s_or_b64 exec, exec, s[6:7]
	v_add_u32_e32 v0, 3, v0
	v_lshl_add_u64 v[8:9], v[0:1], 1, s[14:15]
	global_store_short_d16_hi v[8:9], v6, off
.LBB259_129:                            ;   in Loop: Header=BB259_12 Depth=1
	s_or_b64 exec, exec, s[38:39]
	v_add_u32_e32 v102, s48, v102
	v_add_u32_e32 v0, 4, v102
	v_cmp_gt_u32_e32 vcc, s27, v102
	v_cmp_le_u32_e64 s[6:7], s27, v0
	s_and_b64 s[6:7], vcc, s[6:7]
	s_and_saveexec_b64 s[8:9], s[6:7]
	s_cbranch_execz .LBB259_10
; %bb.130:                              ;   in Loop: Header=BB259_12 Depth=1
	v_cmp_ne_u32_e32 vcc, s17, v102
	s_and_saveexec_b64 s[10:11], vcc
	s_cbranch_execz .LBB259_9
; %bb.131:                              ;   in Loop: Header=BB259_12 Depth=1
	v_subrev_u32_e32 v0, s17, v102
	v_cmp_lt_u32_e32 vcc, 1, v0
	s_mov_b64 s[12:13], 0
	s_mov_b64 s[38:39], 0
	v_cndmask_b32_e32 v0, 1, v0, vcc
.LBB259_132:                            ;   Parent Loop BB259_12 Depth=1
                                        ; =>  This Inner Loop Header: Depth=2
	s_cmp_lg_u32 s38, 3
	s_cselect_b64 vcc, -1, 0
	s_cmp_lg_u32 s38, 2
	v_cndmask_b32_e32 v5, 0, v5, vcc
	s_cselect_b64 vcc, -1, 0
	s_cmp_lg_u32 s38, 1
	v_cndmask_b32_e32 v4, 0, v4, vcc
	;; [unrolled: 3-line block ×3, first 2 shown]
	s_cselect_b64 vcc, -1, 0
	s_add_u32 s38, s38, 1
	s_addc_u32 s39, s39, 0
	v_cmp_eq_u32_e64 s[6:7], s38, v0
	s_or_b64 s[12:13], s[6:7], s[12:13]
	v_cndmask_b32_e32 v2, 0, v2, vcc
	s_andn2_b64 exec, exec, s[12:13]
	s_cbranch_execnz .LBB259_132
; %bb.133:                              ;   in Loop: Header=BB259_12 Depth=1
	s_or_b64 exec, exec, s[12:13]
	s_branch .LBB259_9
.LBB259_134:
	s_endpgm
	.section	.rodata,"a",@progbits
	.p2align	6, 0x0
	.amdhsa_kernel _Z16wvSplitK_hf_big_I14__hip_bfloat16Li32ELi4ELi16ELi8ELi1ELi4EEviiiiiiPKT_S3_S3_PS1_ii
		.amdhsa_group_segment_fixed_size 65536
		.amdhsa_private_segment_fixed_size 0
		.amdhsa_kernarg_size 64
		.amdhsa_user_sgpr_count 2
		.amdhsa_user_sgpr_dispatch_ptr 0
		.amdhsa_user_sgpr_queue_ptr 0
		.amdhsa_user_sgpr_kernarg_segment_ptr 1
		.amdhsa_user_sgpr_dispatch_id 0
		.amdhsa_user_sgpr_kernarg_preload_length 0
		.amdhsa_user_sgpr_kernarg_preload_offset 0
		.amdhsa_user_sgpr_private_segment_size 0
		.amdhsa_uses_dynamic_stack 0
		.amdhsa_enable_private_segment 0
		.amdhsa_system_sgpr_workgroup_id_x 1
		.amdhsa_system_sgpr_workgroup_id_y 0
		.amdhsa_system_sgpr_workgroup_id_z 0
		.amdhsa_system_sgpr_workgroup_info 0
		.amdhsa_system_vgpr_workitem_id 1
		.amdhsa_next_free_vgpr 119
		.amdhsa_next_free_sgpr 58
		.amdhsa_accum_offset 120
		.amdhsa_reserve_vcc 1
		.amdhsa_float_round_mode_32 0
		.amdhsa_float_round_mode_16_64 0
		.amdhsa_float_denorm_mode_32 3
		.amdhsa_float_denorm_mode_16_64 3
		.amdhsa_dx10_clamp 1
		.amdhsa_ieee_mode 1
		.amdhsa_fp16_overflow 0
		.amdhsa_tg_split 0
		.amdhsa_exception_fp_ieee_invalid_op 0
		.amdhsa_exception_fp_denorm_src 0
		.amdhsa_exception_fp_ieee_div_zero 0
		.amdhsa_exception_fp_ieee_overflow 0
		.amdhsa_exception_fp_ieee_underflow 0
		.amdhsa_exception_fp_ieee_inexact 0
		.amdhsa_exception_int_div_zero 0
	.end_amdhsa_kernel
	.section	.text._Z16wvSplitK_hf_big_I14__hip_bfloat16Li32ELi4ELi16ELi8ELi1ELi4EEviiiiiiPKT_S3_S3_PS1_ii,"axG",@progbits,_Z16wvSplitK_hf_big_I14__hip_bfloat16Li32ELi4ELi16ELi8ELi1ELi4EEviiiiiiPKT_S3_S3_PS1_ii,comdat
.Lfunc_end259:
	.size	_Z16wvSplitK_hf_big_I14__hip_bfloat16Li32ELi4ELi16ELi8ELi1ELi4EEviiiiiiPKT_S3_S3_PS1_ii, .Lfunc_end259-_Z16wvSplitK_hf_big_I14__hip_bfloat16Li32ELi4ELi16ELi8ELi1ELi4EEviiiiiiPKT_S3_S3_PS1_ii
                                        ; -- End function
	.section	.AMDGPU.csdata,"",@progbits
; Kernel info:
; codeLenInByte = 7312
; NumSgprs: 64
; NumVgprs: 119
; NumAgprs: 0
; TotalNumVgprs: 119
; ScratchSize: 0
; MemoryBound: 0
; FloatMode: 240
; IeeeMode: 1
; LDSByteSize: 65536 bytes/workgroup (compile time only)
; SGPRBlocks: 7
; VGPRBlocks: 14
; NumSGPRsForWavesPerEU: 64
; NumVGPRsForWavesPerEU: 119
; AccumOffset: 120
; Occupancy: 2
; WaveLimiterHint : 0
; COMPUTE_PGM_RSRC2:SCRATCH_EN: 0
; COMPUTE_PGM_RSRC2:USER_SGPR: 2
; COMPUTE_PGM_RSRC2:TRAP_HANDLER: 0
; COMPUTE_PGM_RSRC2:TGID_X_EN: 1
; COMPUTE_PGM_RSRC2:TGID_Y_EN: 0
; COMPUTE_PGM_RSRC2:TGID_Z_EN: 0
; COMPUTE_PGM_RSRC2:TIDIG_COMP_CNT: 1
; COMPUTE_PGM_RSRC3_GFX90A:ACCUM_OFFSET: 29
; COMPUTE_PGM_RSRC3_GFX90A:TG_SPLIT: 0
	.section	.text._Z16wvSplitK_hf_sml_I14__hip_bfloat16Li32ELi4ELi16ELi8ELi2ELi4EEviiiiiiPKT_S3_S3_PS1_ii,"axG",@progbits,_Z16wvSplitK_hf_sml_I14__hip_bfloat16Li32ELi4ELi16ELi8ELi2ELi4EEviiiiiiPKT_S3_S3_PS1_ii,comdat
	.protected	_Z16wvSplitK_hf_sml_I14__hip_bfloat16Li32ELi4ELi16ELi8ELi2ELi4EEviiiiiiPKT_S3_S3_PS1_ii ; -- Begin function _Z16wvSplitK_hf_sml_I14__hip_bfloat16Li32ELi4ELi16ELi8ELi2ELi4EEviiiiiiPKT_S3_S3_PS1_ii
	.globl	_Z16wvSplitK_hf_sml_I14__hip_bfloat16Li32ELi4ELi16ELi8ELi2ELi4EEviiiiiiPKT_S3_S3_PS1_ii
	.p2align	8
	.type	_Z16wvSplitK_hf_sml_I14__hip_bfloat16Li32ELi4ELi16ELi8ELi2ELi4EEviiiiiiPKT_S3_S3_PS1_ii,@function
_Z16wvSplitK_hf_sml_I14__hip_bfloat16Li32ELi4ELi16ELi8ELi2ELi4EEviiiiiiPKT_S3_S3_PS1_ii: ; @_Z16wvSplitK_hf_sml_I14__hip_bfloat16Li32ELi4ELi16ELi8ELi2ELi4EEviiiiiiPKT_S3_S3_PS1_ii
; %bb.0:
	s_load_dwordx4 s[4:7], s[0:1], 0x0
	v_and_b32_e32 v4, 0x3ff, v0
	v_bfe_u32 v5, v0, 10, 10
	v_lshlrev_b32_e32 v140, 3, v4
	v_lshl_add_u32 v6, v5, 8, v140
	s_waitcnt lgkmcnt(0)
	s_lshl_b32 s24, s6, 2
	s_min_u32 s3, s24, 0x8000
	v_cmp_gt_u32_e32 vcc, s3, v6
	s_and_saveexec_b64 s[8:9], vcc
	s_cbranch_execz .LBB260_9
; %bb.1:
	s_load_dwordx2 s[10:11], s[0:1], 0x20
	v_lshlrev_b32_e32 v0, 1, v6
	v_add_u32_e32 v1, 0x1000, v6
	v_cmp_gt_u32_e32 vcc, s3, v1
	s_waitcnt lgkmcnt(0)
	global_load_dwordx4 v[8:11], v0, s[10:11]
	s_waitcnt vmcnt(0)
	ds_write_b128 v0, v[8:11]
	s_and_saveexec_b64 s[12:13], vcc
	s_xor_b64 s[12:13], exec, s[12:13]
	s_cbranch_execz .LBB260_9
; %bb.2:
	v_mov_b32_e32 v1, 0
	v_lshl_add_u64 v[2:3], s[10:11], 0, v[0:1]
	v_add_co_u32_e32 v8, vcc, 0x2000, v2
	v_add_u32_e32 v1, 0x2000, v6
	s_nop 0
	v_addc_co_u32_e32 v9, vcc, 0, v3, vcc
	global_load_dwordx4 v[8:11], v[8:9], off
	v_cmp_gt_u32_e32 vcc, s3, v1
	s_waitcnt vmcnt(0)
	ds_write_b128 v0, v[8:11] offset:8192
	s_and_saveexec_b64 s[10:11], vcc
	s_xor_b64 s[10:11], exec, s[10:11]
	s_cbranch_execz .LBB260_9
; %bb.3:
	v_add_co_u32_e32 v8, vcc, 0x4000, v2
	v_add_u32_e32 v1, 0x3000, v6
	s_nop 0
	v_addc_co_u32_e32 v9, vcc, 0, v3, vcc
	global_load_dwordx4 v[8:11], v[8:9], off
	v_cmp_gt_u32_e32 vcc, s3, v1
	s_waitcnt vmcnt(0)
	ds_write_b128 v0, v[8:11] offset:16384
	s_and_saveexec_b64 s[10:11], vcc
	s_xor_b64 s[10:11], exec, s[10:11]
	s_cbranch_execz .LBB260_9
; %bb.4:
	;; [unrolled: 12-line block ×6, first 2 shown]
	v_add_co_u32_e32 v2, vcc, 0xe000, v2
	s_nop 1
	v_addc_co_u32_e32 v3, vcc, 0, v3, vcc
	global_load_dwordx4 v[6:9], v[2:3], off
	s_waitcnt vmcnt(0)
	ds_write_b128 v0, v[6:9] offset:57344
.LBB260_9:
	s_or_b64 exec, exec, s[8:9]
	s_load_dwordx2 s[16:17], s[0:1], 0x38
	s_waitcnt lgkmcnt(0)
	s_barrier
	v_cmp_gt_u32_e32 vcc, s16, v5
	s_and_saveexec_b64 s[8:9], vcc
	s_cbranch_execz .LBB260_88
; %bb.10:
	s_load_dwordx2 s[12:13], s[0:1], 0x10
	s_mul_i32 s2, s2, s16
	v_add_lshl_u32 v120, s2, v5, 2
	v_cmp_gt_u32_e32 vcc, s7, v120
	s_and_b64 exec, exec, vcc
	s_cbranch_execz .LBB260_88
; %bb.11:
	s_load_dwordx4 s[8:11], s[0:1], 0x28
	s_load_dwordx2 s[14:15], s[0:1], 0x18
	s_cmp_lg_u32 s4, 0
	s_cselect_b64 s[2:3], -1, 0
	s_add_i32 s25, s4, -8
	s_add_i32 s26, s7, -1
	s_waitcnt lgkmcnt(0)
	s_cmp_lg_u64 s[8:9], 0
	s_cselect_b64 s[18:19], -1, 0
	s_abs_i32 s21, s13
	v_cvt_f32_u32_e32 v0, s12
	v_cvt_f32_u32_e32 v1, s21
	s_mul_i32 s20, s16, s17
	s_lshl_b32 s13, s20, 2
	v_rcp_iflag_f32_e32 v0, v0
	v_rcp_iflag_f32_e32 v1, v1
	s_sub_i32 s20, 0, s12
	v_cmp_eq_u32_e64 s[0:1], 31, v4
	v_mul_f32_e32 v0, 0x4f7ffffe, v0
	v_mul_f32_e32 v1, 0x4f7ffffe, v1
	v_cvt_u32_f32_e32 v0, v0
	v_cvt_u32_f32_e32 v1, v1
	s_mov_b64 s[16:17], 0
	v_mov_b32_e32 v123, 0
	v_mul_lo_u32 v2, s20, v0
	s_sub_i32 s20, 0, s21
	v_readfirstlane_b32 s22, v1
	s_mul_i32 s20, s20, s22
	s_mul_hi_u32 s20, s22, s20
	s_add_i32 s22, s22, s20
	s_sub_i32 s20, 1, s21
	s_cmp_lt_u32 s21, 2
	s_cselect_b32 s20, s20, 1
	s_sub_i32 s23, s20, s21
	s_cmp_ge_u32 s20, s21
	s_cselect_b32 s27, s23, s20
	s_lshr_b32 s20, s22, 31
	s_mul_i32 s20, s20, s21
	s_sub_i32 s20, 2, s20
	s_sub_i32 s23, s20, s21
	s_cmp_ge_u32 s20, s21
	s_cselect_b32 s20, s23, s20
	s_sub_i32 s23, s20, s21
	s_cmp_ge_u32 s20, s21
	s_cselect_b32 s28, s23, s20
	s_mul_hi_u32 s20, s22, 3
	s_mul_i32 s20, s20, s21
	s_sub_i32 s20, 3, s20
	s_sub_i32 s22, s20, s21
	s_cmp_ge_u32 s20, s21
	s_cselect_b32 s20, s22, s20
	s_sub_i32 s22, s20, s21
	v_mul_hi_u32 v2, v0, v2
	s_cmp_ge_u32 s20, s21
	v_add_u32_e32 v141, v0, v2
	s_cselect_b32 s29, s22, s20
	v_cndmask_b32_e64 v0, 0, 1, s[2:3]
	s_mul_i32 s27, s27, s12
	s_mul_i32 s28, s28, s12
	;; [unrolled: 1-line block ×4, first 2 shown]
	v_lshlrev_b32_e32 v142, 4, v4
	s_lshl_b32 s6, s6, 1
	v_cmp_ne_u32_e64 s[2:3], 1, v0
	s_mov_b32 s31, 0x7f800000
	s_movk_i32 s33, 0x7fff
	s_branch .LBB260_14
.LBB260_12:                             ;   in Loop: Header=BB260_14 Depth=1
	s_or_b64 exec, exec, s[22:23]
	v_add_u32_e32 v122, 3, v122
	v_lshl_add_u64 v[2:3], v[122:123], 1, s[10:11]
	global_store_short_d16_hi v[2:3], v0, off
.LBB260_13:                             ;   in Loop: Header=BB260_14 Depth=1
	s_or_b64 exec, exec, s[20:21]
	v_add_u32_e32 v120, s13, v120
	v_cmp_le_u32_e32 vcc, s7, v120
	s_or_b64 s[16:17], vcc, s[16:17]
	s_andn2_b64 exec, exec, s[16:17]
	s_cbranch_execz .LBB260_88
.LBB260_14:                             ; =>This Loop Header: Depth=1
                                        ;     Child Loop BB260_18 Depth 2
	s_and_b64 vcc, exec, s[2:3]
	v_mov_b32_e32 v11, v123
	v_mov_b32_e32 v10, v123
	;; [unrolled: 1-line block ×64, first 2 shown]
	s_cbranch_vccnz .LBB260_21
; %bb.15:                               ;   in Loop: Header=BB260_14 Depth=1
	v_min_u32_e32 v0, s26, v120
	v_mul_lo_u32 v122, v0, s5
	v_or_b32_e32 v0, 1, v120
	v_or_b32_e32 v2, 2, v120
	;; [unrolled: 1-line block ×3, first 2 shown]
	v_min_u32_e32 v0, s26, v0
	v_min_u32_e32 v2, s26, v2
	;; [unrolled: 1-line block ×3, first 2 shown]
	v_mul_lo_u32 v0, v0, s5
	v_mov_b32_e32 v1, v123
	v_mul_lo_u32 v2, v2, s5
	v_mov_b32_e32 v3, v123
	;; [unrolled: 2-line block ×3, first 2 shown]
	v_mov_b32_e32 v32, 0
	s_mov_b32 s34, 0
	v_lshlrev_b64 v[124:125], 1, v[122:123]
	v_lshlrev_b64 v[126:127], 1, v[0:1]
	;; [unrolled: 1-line block ×4, first 2 shown]
	v_mov_b32_e32 v121, v142
	v_mov_b32_e32 v33, v32
	;; [unrolled: 1-line block ×64, first 2 shown]
	s_branch .LBB260_18
.LBB260_16:                             ;   in Loop: Header=BB260_18 Depth=2
	s_or_b64 exec, exec, s[22:23]
.LBB260_17:                             ;   in Loop: Header=BB260_18 Depth=2
	s_or_b64 exec, exec, s[20:21]
	s_waitcnt vmcnt(7) lgkmcnt(4)
	v_mfma_f32_4x4x4_16b_bf16 v[60:63], v[116:117], v[88:89], v[60:63]
	s_addk_i32 s34, 0x200
	s_waitcnt vmcnt(6)
	v_mfma_f32_4x4x4_16b_bf16 v[56:59], v[116:117], v[84:85], v[56:59]
	v_add_u32_e32 v121, 0x400, v121
	s_waitcnt vmcnt(5)
	v_mfma_f32_4x4x4_16b_bf16 v[52:55], v[116:117], v[96:97], v[52:55]
	s_cmp_ge_u32 s34, s4
	s_waitcnt vmcnt(4)
	v_mfma_f32_4x4x4_16b_bf16 v[48:51], v[116:117], v[92:93], v[48:51]
	s_waitcnt lgkmcnt(3)
	v_mfma_f32_4x4x4_16b_bf16 v[44:47], v[112:113], v[88:89], v[44:47]
	v_mfma_f32_4x4x4_16b_bf16 v[40:43], v[112:113], v[84:85], v[40:43]
	v_mfma_f32_4x4x4_16b_bf16 v[36:39], v[112:113], v[96:97], v[36:39]
	v_mfma_f32_4x4x4_16b_bf16 v[32:35], v[112:113], v[92:93], v[32:35]
	s_waitcnt lgkmcnt(2)
	v_mfma_f32_4x4x4_16b_bf16 v[28:31], v[138:139], v[88:89], v[28:31]
	v_mfma_f32_4x4x4_16b_bf16 v[24:27], v[138:139], v[84:85], v[24:27]
	v_mfma_f32_4x4x4_16b_bf16 v[20:23], v[138:139], v[96:97], v[20:23]
	;; [unrolled: 5-line block ×3, first 2 shown]
	v_mfma_f32_4x4x4_16b_bf16 v[8:11], v[108:109], v[92:93], v[8:11]
	v_mfma_f32_4x4x4_16b_bf16 v[60:63], v[118:119], v[90:91], v[60:63]
	;; [unrolled: 1-line block ×17, first 2 shown]
	s_waitcnt vmcnt(3)
	v_mfma_f32_4x4x4_16b_bf16 v[60:63], v[104:105], v[76:77], v[60:63]
	s_waitcnt vmcnt(2)
	v_mfma_f32_4x4x4_16b_bf16 v[56:59], v[104:105], v[72:73], v[56:59]
	s_waitcnt vmcnt(1)
	v_mfma_f32_4x4x4_16b_bf16 v[52:55], v[104:105], v[80:81], v[52:55]
	s_waitcnt vmcnt(0)
	v_mfma_f32_4x4x4_16b_bf16 v[48:51], v[104:105], v[64:65], v[48:51]
	v_mfma_f32_4x4x4_16b_bf16 v[44:47], v[100:101], v[76:77], v[44:47]
	v_mfma_f32_4x4x4_16b_bf16 v[40:43], v[100:101], v[72:73], v[40:43]
	;; [unrolled: 1-line block ×28, first 2 shown]
	s_cbranch_scc1 .LBB260_21
.LBB260_18:                             ;   Parent Loop BB260_14 Depth=1
                                        ; =>  This Inner Loop Header: Depth=2
	v_add_u32_e32 v100, s34, v140
	v_min_u32_e32 v122, s25, v100
	v_lshl_add_u64 v[64:65], v[122:123], 1, s[14:15]
	v_lshl_add_u64 v[66:67], v[64:65], 0, v[124:125]
	v_add_u32_e32 v143, 0x100, v100
	v_lshl_add_u64 v[68:69], v[64:65], 0, v[126:127]
	global_load_dwordx4 v[88:91], v[66:67], off nt
	global_load_dwordx4 v[84:87], v[68:69], off nt
	v_lshl_add_u64 v[66:67], v[64:65], 0, v[128:129]
	v_lshl_add_u64 v[64:65], v[64:65], 0, v[130:131]
	v_min_u32_e32 v122, s25, v143
	global_load_dwordx4 v[96:99], v[66:67], off nt
	global_load_dwordx4 v[92:95], v[64:65], off nt
	v_lshl_add_u64 v[64:65], v[122:123], 1, s[14:15]
	v_lshl_add_u64 v[66:67], v[64:65], 0, v[124:125]
	;; [unrolled: 1-line block ×3, first 2 shown]
	global_load_dwordx4 v[76:79], v[66:67], off nt
	global_load_dwordx4 v[72:75], v[68:69], off nt
	v_lshl_add_u64 v[68:69], v[64:65], 0, v[128:129]
	v_lshl_add_u64 v[70:71], v[64:65], 0, v[130:131]
	global_load_dwordx4 v[80:83], v[68:69], off nt
	global_load_dwordx4 v[64:67], v[70:71], off nt
	v_cmp_gt_u32_e32 vcc, s4, v100
	v_mov_b32_e32 v70, 0
	v_mov_b32_e32 v71, 0
	;; [unrolled: 1-line block ×32, first 2 shown]
	s_and_saveexec_b64 s[20:21], vcc
	s_cbranch_execz .LBB260_17
; %bb.19:                               ;   in Loop: Header=BB260_18 Depth=2
	v_add_u32_e32 v145, s6, v121
	v_add_u32_e32 v122, s24, v121
	ds_read_b128 v[116:119], v121
	ds_read_b128 v[112:115], v145
	ds_read2_b32 v[138:139], v122 offset1:1
	v_add_u32_e32 v144, s30, v121
	ds_read2_b32 v[136:137], v122 offset0:2 offset1:3
	ds_read_b128 v[108:111], v144
	v_cmp_gt_u32_e32 vcc, s4, v143
	v_mov_b32_e32 v105, 0
	v_mov_b32_e32 v104, 0
	;; [unrolled: 1-line block ×16, first 2 shown]
	s_and_saveexec_b64 s[22:23], vcc
	s_cbranch_execz .LBB260_16
; %bb.20:                               ;   in Loop: Header=BB260_18 Depth=2
	ds_read_b128 v[104:107], v121 offset:512
	ds_read_b128 v[100:103], v145 offset:512
	ds_read2_b32 v[134:135], v122 offset0:128 offset1:129
	ds_read2_b32 v[132:133], v122 offset0:130 offset1:131
	ds_read_b128 v[68:71], v144 offset:512
	s_branch .LBB260_16
.LBB260_21:                             ;   in Loop: Header=BB260_14 Depth=1
	; sched_barrier mask(0x00000000)
	v_cvt_i32_f32_e32 v57, v57
	v_cvt_i32_f32_e32 v58, v58
	v_cvt_i32_f32_e32 v59, v59
	v_cvt_i32_f32_e32 v61, v61
	v_cvt_f32_i32_dpp v57, v57 row_shl:1 row_mask:0xf bank_mask:0xf bound_ctrl:1
	v_cvt_f32_i32_dpp v58, v58 row_shl:2 row_mask:0xf bank_mask:0xf bound_ctrl:1
	v_cvt_f32_i32_dpp v59, v59 row_shl:3 row_mask:0xf bank_mask:0xf bound_ctrl:1
	v_cvt_i32_f32_e32 v62, v62
	v_add_f32_e32 v56, v56, v57
	v_add_f32_e32 v56, v56, v58
	;; [unrolled: 1-line block ×3, first 2 shown]
	v_cvt_i32_f32_e32 v57, v56
	v_cvt_i32_f32_e32 v63, v63
	v_cvt_f32_i32_dpp v61, v61 row_shl:1 row_mask:0xf bank_mask:0xf bound_ctrl:1
	v_cvt_f32_i32_dpp v62, v62 row_shl:2 row_mask:0xf bank_mask:0xf bound_ctrl:1
	;; [unrolled: 1-line block ×4, first 2 shown]
	v_add_f32_e32 v60, v60, v61
	v_add_f32_e32 v60, v60, v62
	v_add_f32_e32 v56, v56, v57
	v_cvt_i32_f32_e32 v57, v56
	v_add_f32_e32 v60, v60, v63
	v_cvt_i32_f32_e32 v53, v53
	v_cvt_i32_f32_e32 v61, v60
	v_cvt_f32_i32_dpp v57, v57 row_shl:8 row_mask:0xf bank_mask:0xf bound_ctrl:1
	v_cvt_i32_f32_e32 v54, v54
	v_cvt_i32_f32_e32 v55, v55
	v_cvt_f32_i32_dpp v53, v53 row_shl:1 row_mask:0xf bank_mask:0xf bound_ctrl:1
	v_cvt_f32_i32_dpp v61, v61 row_shl:4 row_mask:0xf bank_mask:0xf bound_ctrl:1
	v_add_f32_e32 v56, v56, v57
	v_cvt_f32_i32_dpp v54, v54 row_shl:2 row_mask:0xf bank_mask:0xf bound_ctrl:1
	v_cvt_f32_i32_dpp v55, v55 row_shl:3 row_mask:0xf bank_mask:0xf bound_ctrl:1
	v_cvt_i32_f32_e32 v56, v56
	v_cvt_i32_f32_e32 v49, v49
	v_add_f32_e32 v52, v52, v53
	v_cvt_i32_f32_e32 v50, v50
	v_add_f32_e32 v58, v60, v61
	v_add_f32_e32 v52, v52, v54
	v_cvt_i32_f32_e32 v51, v51
	v_cvt_i32_f32_e32 v59, v58
	v_add_f32_e32 v52, v52, v55
	v_cvt_f32_i32_dpp v55, v56 row_shr:15 row_mask:0xf bank_mask:0xf bound_ctrl:1
	v_cvt_f32_i32_dpp v49, v49 row_shl:1 row_mask:0xf bank_mask:0xf bound_ctrl:1
	v_cvt_f32_i32_dpp v50, v50 row_shl:2 row_mask:0xf bank_mask:0xf bound_ctrl:1
	;; [unrolled: 1-line block ×4, first 2 shown]
	v_cvt_i32_f32_e32 v53, v52
	v_cvt_i32_f32_e32 v56, v55
	v_add_f32_e32 v48, v48, v49
	v_add_f32_e32 v48, v48, v50
	;; [unrolled: 1-line block ×4, first 2 shown]
	v_cvt_f32_i32_dpp v53, v53 row_shl:4 row_mask:0xf bank_mask:0xf bound_ctrl:1
	v_cvt_f32_i32_dpp v56, v56 row_bcast:15 row_mask:0xf bank_mask:0xf bound_ctrl:1
	v_cvt_i32_f32_e32 v49, v51
	v_cvt_i32_f32_e32 v58, v58
	;; [unrolled: 1-line block ×4, first 2 shown]
	v_add_f32_e32 v53, v52, v53
	v_add_f32_e32 v48, v55, v56
	v_cvt_f32_i32_dpp v56, v49 row_shl:4 row_mask:0xf bank_mask:0xf bound_ctrl:1
	v_cvt_i32_f32_e32 v47, v47
	v_cvt_f32_i32_dpp v58, v58 row_shr:15 row_mask:0xf bank_mask:0xf bound_ctrl:1
	v_cvt_i32_f32_e32 v57, v53
	v_cvt_i32_f32_e32 v55, v48
	v_cvt_f32_i32_dpp v45, v45 row_shl:1 row_mask:0xf bank_mask:0xf bound_ctrl:1
	v_cvt_f32_i32_dpp v46, v46 row_shl:2 row_mask:0xf bank_mask:0xf bound_ctrl:1
	v_add_f32_e32 v51, v51, v56
	v_cvt_f32_i32_dpp v47, v47 row_shl:3 row_mask:0xf bank_mask:0xf bound_ctrl:1
	v_cvt_i32_f32_e32 v54, v58
	v_cvt_f32_i32_dpp v57, v57 row_shl:8 row_mask:0xf bank_mask:0xf bound_ctrl:1
	v_mov_b32_dpp v49, v55 row_bcast:31 row_mask:0xf bank_mask:0xf bound_ctrl:1
	v_cvt_i32_f32_e32 v55, v51
	v_add_f32_e32 v44, v44, v45
	v_add_f32_e32 v44, v44, v46
	;; [unrolled: 1-line block ×3, first 2 shown]
	v_cvt_f32_i32_dpp v54, v54 row_bcast:15 row_mask:0xf bank_mask:0xf bound_ctrl:1
	v_add_f32_e32 v53, v53, v57
	v_cvt_f32_i32_dpp v55, v55 row_shl:8 row_mask:0xf bank_mask:0xf bound_ctrl:1
	v_cvt_i32_f32_e32 v44, v45
	v_cvt_i32_f32_e32 v53, v53
	;; [unrolled: 1-line block ×4, first 2 shown]
	v_add_f32_e32 v52, v58, v54
	v_add_f32_e32 v47, v51, v55
	v_cvt_f32_i32_dpp v51, v44 row_shl:4 row_mask:0xf bank_mask:0xf bound_ctrl:1
	v_cvt_i32_f32_e32 v43, v43
	v_cvt_i32_f32_e32 v54, v52
	v_cvt_f32_i32_dpp v53, v53 row_shr:15 row_mask:0xf bank_mask:0xf bound_ctrl:1
	v_cvt_f32_i32_dpp v41, v41 row_shl:1 row_mask:0xf bank_mask:0xf bound_ctrl:1
	v_cvt_f32_i32_dpp v42, v42 row_shl:2 row_mask:0xf bank_mask:0xf bound_ctrl:1
	v_add_f32_e32 v45, v45, v51
	v_cvt_f32_i32_dpp v43, v43 row_shl:3 row_mask:0xf bank_mask:0xf bound_ctrl:1
	v_mov_b32_dpp v50, v54 row_bcast:31 row_mask:0xf bank_mask:0xf bound_ctrl:1
	v_cvt_i32_f32_e32 v54, v53
	v_cvt_i32_f32_e32 v51, v45
	v_add_f32_e32 v40, v40, v41
	v_add_f32_e32 v40, v40, v42
	;; [unrolled: 1-line block ×3, first 2 shown]
	v_cvt_f32_i32_dpp v46, v54 row_bcast:15 row_mask:0xf bank_mask:0xf bound_ctrl:1
	v_cvt_f32_i32_dpp v51, v51 row_shl:8 row_mask:0xf bank_mask:0xf bound_ctrl:1
	v_cvt_i32_f32_e32 v41, v40
	v_cvt_i32_f32_e32 v47, v47
	v_add_f32_e32 v44, v53, v46
	v_add_f32_e32 v43, v45, v51
	v_cvt_f32_i32_dpp v45, v41 row_shl:4 row_mask:0xf bank_mask:0xf bound_ctrl:1
	v_cvt_i32_f32_e32 v46, v44
	v_cvt_f32_i32_dpp v47, v47 row_shr:15 row_mask:0xf bank_mask:0xf bound_ctrl:1
	v_cvt_i32_f32_e32 v37, v37
	v_add_f32_e32 v45, v40, v45
	v_cvt_i32_f32_e32 v38, v38
	v_cvt_i32_f32_e32 v42, v47
	v_mov_b32_dpp v41, v46 row_bcast:31 row_mask:0xf bank_mask:0xf bound_ctrl:1
	v_cvt_i32_f32_e32 v46, v45
	v_cvt_i32_f32_e32 v39, v39
	v_cvt_f32_i32_dpp v37, v37 row_shl:1 row_mask:0xf bank_mask:0xf bound_ctrl:1
	v_cvt_f32_i32_dpp v38, v38 row_shl:2 row_mask:0xf bank_mask:0xf bound_ctrl:1
	v_cvt_f32_i32_dpp v42, v42 row_bcast:15 row_mask:0xf bank_mask:0xf bound_ctrl:1
	v_cvt_f32_i32_dpp v46, v46 row_shl:8 row_mask:0xf bank_mask:0xf bound_ctrl:1
	v_cvt_f32_i32_dpp v39, v39 row_shl:3 row_mask:0xf bank_mask:0xf bound_ctrl:1
	v_cvt_i32_f32_e32 v43, v43
	v_add_f32_e32 v36, v36, v37
	v_add_f32_e32 v36, v36, v38
	;; [unrolled: 1-line block ×5, first 2 shown]
	v_cvt_i32_f32_e32 v42, v40
	v_cvt_i32_f32_e32 v45, v45
	;; [unrolled: 1-line block ×3, first 2 shown]
	v_cvt_f32_i32_dpp v43, v43 row_shr:15 row_mask:0xf bank_mask:0xf bound_ctrl:1
	v_cvt_i32_f32_e32 v33, v33
	v_cvt_i32_f32_e32 v34, v34
	v_mov_b32_dpp v37, v42 row_bcast:31 row_mask:0xf bank_mask:0xf bound_ctrl:1
	v_cvt_f32_i32_dpp v42, v45 row_shr:15 row_mask:0xf bank_mask:0xf bound_ctrl:1
	v_cvt_f32_i32_dpp v45, v36 row_shl:4 row_mask:0xf bank_mask:0xf bound_ctrl:1
	v_cvt_i32_f32_e32 v35, v35
	v_cvt_i32_f32_e32 v47, v43
	v_cvt_f32_i32_dpp v33, v33 row_shl:1 row_mask:0xf bank_mask:0xf bound_ctrl:1
	v_cvt_f32_i32_dpp v34, v34 row_shl:2 row_mask:0xf bank_mask:0xf bound_ctrl:1
	v_add_f32_e32 v38, v38, v45
	v_cvt_f32_i32_dpp v35, v35 row_shl:3 row_mask:0xf bank_mask:0xf bound_ctrl:1
	v_cvt_f32_i32_dpp v39, v47 row_bcast:15 row_mask:0xf bank_mask:0xf bound_ctrl:1
	v_cvt_i32_f32_e32 v45, v38
	v_add_f32_e32 v32, v32, v33
	v_add_f32_e32 v32, v32, v34
	;; [unrolled: 1-line block ×3, first 2 shown]
	v_cvt_i32_f32_e32 v29, v29
	v_add_f32_e32 v36, v43, v39
	v_cvt_i32_f32_e32 v43, v42
	v_cvt_f32_i32_dpp v45, v45 row_shl:8 row_mask:0xf bank_mask:0xf bound_ctrl:1
	v_cvt_i32_f32_e32 v32, v34
	v_cvt_i32_f32_e32 v30, v30
	;; [unrolled: 1-line block ×3, first 2 shown]
	v_cvt_f32_i32_dpp v29, v29 row_shl:1 row_mask:0xf bank_mask:0xf bound_ctrl:1
	v_cvt_f32_i32_dpp v35, v43 row_bcast:15 row_mask:0xf bank_mask:0xf bound_ctrl:1
	v_add_f32_e32 v33, v38, v45
	v_cvt_f32_i32_dpp v43, v32 row_shl:4 row_mask:0xf bank_mask:0xf bound_ctrl:1
	v_cvt_f32_i32_dpp v30, v30 row_shl:2 row_mask:0xf bank_mask:0xf bound_ctrl:1
	v_cvt_i32_f32_e32 v38, v33
	v_cvt_f32_i32_dpp v31, v31 row_shl:3 row_mask:0xf bank_mask:0xf bound_ctrl:1
	v_add_f32_e32 v28, v28, v29
	v_add_f32_e32 v34, v34, v43
	;; [unrolled: 1-line block ×4, first 2 shown]
	v_cvt_f32_i32_dpp v35, v38 row_shr:15 row_mask:0xf bank_mask:0xf bound_ctrl:1
	v_cvt_i32_f32_e32 v38, v34
	v_add_f32_e32 v28, v28, v31
	v_cvt_i32_f32_e32 v29, v28
	v_cvt_i32_f32_e32 v30, v35
	v_cvt_f32_i32_dpp v38, v38 row_shl:8 row_mask:0xf bank_mask:0xf bound_ctrl:1
	v_cvt_i32_f32_e32 v25, v25
	v_cvt_f32_i32_dpp v29, v29 row_shl:4 row_mask:0xf bank_mask:0xf bound_ctrl:1
	v_cvt_i32_f32_e32 v26, v26
	v_add_f32_e32 v31, v34, v38
	v_cvt_i32_f32_e32 v31, v31
	v_cvt_f32_i32_dpp v30, v30 row_bcast:15 row_mask:0xf bank_mask:0xf bound_ctrl:1
	v_add_f32_e32 v38, v28, v29
	v_cvt_i32_f32_e32 v27, v27
	v_cvt_i32_f32_e32 v29, v38
	v_cvt_f32_i32_dpp v25, v25 row_shl:1 row_mask:0xf bank_mask:0xf bound_ctrl:1
	v_cvt_f32_i32_dpp v26, v26 row_shl:2 row_mask:0xf bank_mask:0xf bound_ctrl:1
	v_cvt_i32_f32_e32 v39, v36
	v_cvt_f32_i32_dpp v31, v31 row_shr:15 row_mask:0xf bank_mask:0xf bound_ctrl:1
	v_add_f32_e32 v28, v35, v30
	v_cvt_f32_i32_dpp v27, v27 row_shl:3 row_mask:0xf bank_mask:0xf bound_ctrl:1
	v_cvt_i32_f32_e32 v35, v28
	v_cvt_f32_i32_dpp v42, v29 row_shl:8 row_mask:0xf bank_mask:0xf bound_ctrl:1
	v_add_f32_e32 v24, v24, v25
	v_cvt_i32_f32_e32 v21, v21
	v_add_f32_e32 v24, v24, v26
	v_cvt_i32_f32_e32 v22, v22
	v_mov_b32_dpp v33, v39 row_bcast:31 row_mask:0xf bank_mask:0xf bound_ctrl:1
	v_cvt_i32_f32_e32 v34, v32
	v_cvt_i32_f32_e32 v39, v31
	v_add_f32_e32 v25, v24, v27
	v_cvt_i32_f32_e32 v23, v23
	v_mov_b32_dpp v29, v35 row_bcast:31 row_mask:0xf bank_mask:0xf bound_ctrl:1
	v_add_f32_e32 v35, v38, v42
	v_cvt_i32_f32_e32 v26, v25
	v_cvt_i32_f32_e32 v35, v35
	v_cvt_f32_i32_dpp v21, v21 row_shl:1 row_mask:0xf bank_mask:0xf bound_ctrl:1
	v_cvt_f32_i32_dpp v22, v22 row_shl:2 row_mask:0xf bank_mask:0xf bound_ctrl:1
	v_mov_b32_dpp v30, v34 row_bcast:31 row_mask:0xf bank_mask:0xf bound_ctrl:1
	v_cvt_f32_i32_dpp v34, v39 row_bcast:15 row_mask:0xf bank_mask:0xf bound_ctrl:1
	v_cvt_f32_i32_dpp v23, v23 row_shl:3 row_mask:0xf bank_mask:0xf bound_ctrl:1
	v_cvt_f32_i32_dpp v26, v26 row_shl:4 row_mask:0xf bank_mask:0xf bound_ctrl:1
	v_cvt_f32_i32_dpp v35, v35 row_shr:15 row_mask:0xf bank_mask:0xf bound_ctrl:1
	v_add_f32_e32 v20, v20, v21
	v_add_f32_e32 v20, v20, v22
	v_cvt_i32_f32_e32 v17, v17
	v_add_f32_e32 v24, v31, v34
	v_add_f32_e32 v22, v20, v23
	v_cvt_i32_f32_e32 v18, v18
	v_cvt_i32_f32_e32 v27, v24
	v_add_f32_e32 v25, v25, v26
	v_cvt_i32_f32_e32 v20, v22
	v_cvt_i32_f32_e32 v19, v19
	;; [unrolled: 1-line block ×4, first 2 shown]
	v_cvt_f32_i32_dpp v17, v17 row_shl:1 row_mask:0xf bank_mask:0xf bound_ctrl:1
	v_cvt_f32_i32_dpp v18, v18 row_shl:2 row_mask:0xf bank_mask:0xf bound_ctrl:1
	v_mov_b32_dpp v21, v27 row_bcast:31 row_mask:0xf bank_mask:0xf bound_ctrl:1
	v_cvt_f32_i32_dpp v27, v20 row_shl:4 row_mask:0xf bank_mask:0xf bound_ctrl:1
	v_cvt_f32_i32_dpp v19, v19 row_shl:3 row_mask:0xf bank_mask:0xf bound_ctrl:1
	v_cvt_f32_i32_dpp v23, v31 row_bcast:15 row_mask:0xf bank_mask:0xf bound_ctrl:1
	v_cvt_f32_i32_dpp v26, v26 row_shl:8 row_mask:0xf bank_mask:0xf bound_ctrl:1
	v_add_f32_e32 v16, v16, v17
	v_add_f32_e32 v16, v16, v18
	;; [unrolled: 1-line block ×6, first 2 shown]
	v_cvt_i32_f32_e32 v25, v22
	v_cvt_i32_f32_e32 v17, v16
	;; [unrolled: 1-line block ×4, first 2 shown]
	v_cvt_f32_i32_dpp v25, v25 row_shl:8 row_mask:0xf bank_mask:0xf bound_ctrl:1
	v_cvt_f32_i32_dpp v17, v17 row_shl:4 row_mask:0xf bank_mask:0xf bound_ctrl:1
	v_cvt_f32_i32_dpp v18, v23 row_shr:15 row_mask:0xf bank_mask:0xf bound_ctrl:1
	v_cvt_i32_f32_e32 v1, v1
	v_add_f32_e32 v19, v22, v25
	v_add_f32_e32 v25, v16, v17
	v_cvt_i32_f32_e32 v19, v19
	v_cvt_i32_f32_e32 v23, v18
	;; [unrolled: 1-line block ×10, first 2 shown]
	v_cvt_f32_i32_dpp v19, v19 row_shr:15 row_mask:0xf bank_mask:0xf bound_ctrl:1
	v_cvt_f32_i32_dpp v23, v23 row_bcast:15 row_mask:0xf bank_mask:0xf bound_ctrl:1
	v_cvt_f32_i32_dpp v26, v16 row_shl:8 row_mask:0xf bank_mask:0xf bound_ctrl:1
	v_cvt_f32_i32_dpp v5, v5 row_shl:1 row_mask:0xf bank_mask:0xf bound_ctrl:1
	;; [unrolled: 1-line block ×6, first 2 shown]
	v_cvt_i32_f32_e32 v3, v3
	v_cvt_f32_i32_dpp v14, v14 row_shl:2 row_mask:0xf bank_mask:0xf bound_ctrl:1
	v_cvt_f32_i32_dpp v7, v7 row_shl:3 row_mask:0xf bank_mask:0xf bound_ctrl:1
	;; [unrolled: 1-line block ×3, first 2 shown]
	v_mov_b32_dpp v17, v22 row_bcast:31 row_mask:0xf bank_mask:0xf bound_ctrl:1
	v_cvt_i32_f32_e32 v22, v19
	v_add_f32_e32 v16, v18, v23
	v_add_f32_e32 v23, v25, v26
	;; [unrolled: 1-line block ×4, first 2 shown]
	v_cvt_i32_f32_e32 v23, v23
	v_add_f32_e32 v12, v12, v13
	v_add_f32_e32 v4, v4, v6
	;; [unrolled: 1-line block ×3, first 2 shown]
	v_cvt_f32_i32_dpp v1, v3 row_shl:3 row_mask:0xf bank_mask:0xf bound_ctrl:1
	v_cvt_i32_f32_e32 v2, v9
	v_add_f32_e32 v12, v12, v14
	v_add_f32_e32 v4, v4, v7
	v_cvt_i32_f32_e32 v3, v10
	v_add_f32_e32 v14, v12, v15
	v_cvt_i32_f32_e32 v5, v4
	v_cvt_i32_f32_e32 v9, v11
	v_cvt_f32_i32_dpp v22, v22 row_bcast:15 row_mask:0xf bank_mask:0xf bound_ctrl:1
	v_cvt_i32_f32_e32 v12, v14
	v_cvt_f32_i32_dpp v23, v23 row_shr:15 row_mask:0xf bank_mask:0xf bound_ctrl:1
	v_add_f32_e32 v0, v0, v1
	v_cvt_f32_i32_dpp v1, v2 row_shl:1 row_mask:0xf bank_mask:0xf bound_ctrl:1
	v_cvt_f32_i32_dpp v2, v3 row_shl:2 row_mask:0xf bank_mask:0xf bound_ctrl:1
	;; [unrolled: 1-line block ×4, first 2 shown]
	v_add_f32_e32 v13, v19, v22
	v_cvt_f32_i32_dpp v19, v12 row_shl:4 row_mask:0xf bank_mask:0xf bound_ctrl:1
	v_cvt_i32_f32_e32 v18, v16
	v_cvt_i32_f32_e32 v25, v23
	v_add_f32_e32 v1, v8, v1
	v_add_f32_e32 v1, v1, v2
	;; [unrolled: 1-line block ×5, first 2 shown]
	v_cvt_i32_f32_e32 v5, v4
	v_cvt_i32_f32_e32 v9, v0
	;; [unrolled: 1-line block ×3, first 2 shown]
	v_mov_b32_dpp v15, v18 row_bcast:31 row_mask:0xf bank_mask:0xf bound_ctrl:1
	v_cvt_f32_i32_dpp v18, v25 row_bcast:15 row_mask:0xf bank_mask:0xf bound_ctrl:1
	v_cvt_i32_f32_e32 v14, v19
	v_cvt_f32_i32_dpp v3, v5 row_shl:8 row_mask:0xf bank_mask:0xf bound_ctrl:1
	v_cvt_f32_i32_dpp v5, v9 row_shl:4 row_mask:0xf bank_mask:0xf bound_ctrl:1
	v_cvt_f32_i32_dpp v2, v2 row_shl:4 row_mask:0xf bank_mask:0xf bound_ctrl:1
	v_add_f32_e32 v12, v23, v18
	v_cvt_f32_i32_dpp v23, v14 row_shl:8 row_mask:0xf bank_mask:0xf bound_ctrl:1
	v_add_f32_e32 v0, v0, v5
	v_add_f32_e32 v1, v1, v2
	;; [unrolled: 1-line block ×4, first 2 shown]
	v_cvt_i32_f32_e32 v4, v0
	v_cvt_i32_f32_e32 v2, v1
	;; [unrolled: 1-line block ×4, first 2 shown]
	v_cvt_f32_i32_dpp v4, v4 row_shl:8 row_mask:0xf bank_mask:0xf bound_ctrl:1
	v_cvt_f32_i32_dpp v2, v2 row_shl:8 row_mask:0xf bank_mask:0xf bound_ctrl:1
	v_cvt_f32_i32_dpp v6, v6 row_shr:15 row_mask:0xf bank_mask:0xf bound_ctrl:1
	v_cvt_f32_i32_dpp v3, v3 row_shr:15 row_mask:0xf bank_mask:0xf bound_ctrl:1
	v_add_f32_e32 v0, v0, v4
	v_add_f32_e32 v1, v1, v2
	v_cvt_i32_f32_e32 v5, v6
	v_cvt_i32_f32_e32 v0, v0
	;; [unrolled: 1-line block ×4, first 2 shown]
	v_cvt_f32_i32_dpp v2, v5 row_bcast:15 row_mask:0xf bank_mask:0xf bound_ctrl:1
	v_cvt_f32_i32_dpp v0, v0 row_shr:15 row_mask:0xf bank_mask:0xf bound_ctrl:1
	v_cvt_f32_i32_dpp v1, v1 row_shr:15 row_mask:0xf bank_mask:0xf bound_ctrl:1
	v_cvt_f32_i32_dpp v4, v4 row_bcast:15 row_mask:0xf bank_mask:0xf bound_ctrl:1
	v_add_f32_e32 v9, v6, v2
	v_cvt_i32_f32_e32 v2, v0
	v_cvt_i32_f32_e32 v5, v1
	v_add_f32_e32 v6, v3, v4
	v_cvt_i32_f32_e32 v22, v13
	v_cvt_f32_i32_dpp v2, v2 row_bcast:15 row_mask:0xf bank_mask:0xf bound_ctrl:1
	v_cvt_f32_i32_dpp v3, v5 row_bcast:15 row_mask:0xf bank_mask:0xf bound_ctrl:1
	v_cvt_i32_f32_e32 v18, v12
	v_cvt_i32_f32_e32 v8, v9
	v_add_f32_e32 v4, v0, v2
	v_add_f32_e32 v2, v1, v3
	v_cvt_i32_f32_e32 v5, v6
	v_cvt_i32_f32_e32 v0, v4
	;; [unrolled: 1-line block ×3, first 2 shown]
	v_mov_b32_dpp v14, v22 row_bcast:31 row_mask:0xf bank_mask:0xf bound_ctrl:1
	v_mov_b32_dpp v7, v18 row_bcast:31 row_mask:0xf bank_mask:0xf bound_ctrl:1
	;; [unrolled: 1-line block ×6, first 2 shown]
	s_and_saveexec_b64 s[20:21], s[0:1]
	s_cbranch_execz .LBB260_13
; %bb.22:                               ;   in Loop: Header=BB260_14 Depth=1
	s_andn2_b64 vcc, exec, s[18:19]
	v_mov_b32_e32 v0, 0
	v_mov_b32_e32 v43, 0
	;; [unrolled: 1-line block ×16, first 2 shown]
	s_cbranch_vccnz .LBB260_24
; %bb.23:                               ;   in Loop: Header=BB260_14 Depth=1
	v_mul_hi_u32 v0, v120, v141
	v_mul_lo_u32 v0, v0, s12
	v_sub_u32_e32 v0, v120, v0
	v_subrev_u32_e32 v1, s12, v0
	v_cmp_le_u32_e32 vcc, s12, v0
	v_mov_b32_e32 v23, v123
	v_mov_b32_e32 v27, v123
	v_cndmask_b32_e32 v0, v0, v1, vcc
	v_subrev_u32_e32 v1, s12, v0
	v_cmp_le_u32_e32 vcc, s12, v0
	v_mov_b32_e32 v57, v123
	s_nop 0
	v_cndmask_b32_e32 v122, v0, v1, vcc
	v_or_b32_e32 v0, 1, v120
	v_mul_hi_u32 v1, v0, v141
	v_mul_lo_u32 v1, v1, s12
	v_sub_u32_e32 v0, v0, v1
	v_subrev_u32_e32 v1, s12, v0
	v_cmp_le_u32_e32 vcc, s12, v0
	v_lshl_add_u64 v[18:19], v[122:123], 1, s[8:9]
	s_nop 0
	v_cndmask_b32_e32 v0, v0, v1, vcc
	v_subrev_u32_e32 v1, s12, v0
	v_cmp_le_u32_e32 vcc, s12, v0
	s_nop 1
	v_cndmask_b32_e32 v22, v0, v1, vcc
	v_or_b32_e32 v0, 2, v120
	v_mul_hi_u32 v1, v0, v141
	v_mul_lo_u32 v1, v1, s12
	v_sub_u32_e32 v0, v0, v1
	v_subrev_u32_e32 v1, s12, v0
	v_cmp_le_u32_e32 vcc, s12, v0
	v_lshl_add_u64 v[46:47], v[22:23], 1, s[8:9]
	s_nop 0
	v_cndmask_b32_e32 v0, v0, v1, vcc
	v_subrev_u32_e32 v1, s12, v0
	v_cmp_le_u32_e32 vcc, s12, v0
	;; [unrolled: 13-line block ×3, first 2 shown]
	s_nop 1
	v_cndmask_b32_e32 v56, v0, v1, vcc
	v_add_u32_e32 v0, s27, v122
	v_mov_b32_e32 v1, v123
	v_lshl_add_u64 v[60:61], v[0:1], 1, s[8:9]
	v_add_u32_e32 v0, s27, v22
	v_lshl_add_u64 v[62:63], v[0:1], 1, s[8:9]
	v_add_u32_e32 v0, s27, v26
	;; [unrolled: 2-line block ×3, first 2 shown]
	v_lshl_add_u64 v[58:59], v[56:57], 1, s[8:9]
	v_lshl_add_u64 v[66:67], v[0:1], 1, s[8:9]
	global_load_ushort v0, v[18:19], off
	global_load_ushort v43, v[46:47], off
	;; [unrolled: 1-line block ×8, first 2 shown]
	v_add_u32_e32 v18, s28, v122
	v_mov_b32_e32 v19, v123
	v_add_u32_e32 v122, s29, v122
	v_lshl_add_u64 v[46:47], v[18:19], 1, s[8:9]
	v_add_u32_e32 v18, s28, v22
	v_lshl_add_u64 v[62:63], v[122:123], 1, s[8:9]
	;; [unrolled: 2-line block ×7, first 2 shown]
	v_lshl_add_u64 v[56:57], v[122:123], 1, s[8:9]
	global_load_ushort v31, v[46:47], off
	global_load_ushort v26, v[54:55], off
	;; [unrolled: 1-line block ×8, first 2 shown]
.LBB260_24:                             ;   in Loop: Header=BB260_14 Depth=1
	v_cvt_f32_i32_e32 v1, v50
	s_waitcnt vmcnt(15)
	v_lshlrev_b32_e32 v0, 16, v0
                                        ; implicit-def: $vgpr45
	v_add_f32_e32 v1, v52, v1
	v_add_f32_e32 v0, v1, v0
	v_and_b32_e32 v1, 0x7f800000, v0
	v_cmp_ne_u32_e32 vcc, s31, v1
	s_and_saveexec_b64 s[22:23], vcc
	s_xor_b64 s[22:23], exec, s[22:23]
; %bb.25:                               ;   in Loop: Header=BB260_14 Depth=1
	v_bfe_u32 v1, v0, 16, 1
	v_add3_u32 v45, v0, v1, s33
                                        ; implicit-def: $vgpr0
; %bb.26:                               ;   in Loop: Header=BB260_14 Depth=1
	s_andn2_saveexec_b64 s[22:23], s[22:23]
; %bb.27:                               ;   in Loop: Header=BB260_14 Depth=1
	v_or_b32_e32 v1, 0x10000, v0
	v_cmp_eq_u32_sdwa vcc, v0, v123 src0_sel:WORD_0 src1_sel:DWORD
	s_nop 1
	v_cndmask_b32_e32 v45, v1, v0, vcc
; %bb.28:                               ;   in Loop: Header=BB260_14 Depth=1
	s_or_b64 exec, exec, s[22:23]
	v_cvt_f32_i32_e32 v46, v49
	v_mov_b32_e32 v121, v123
	v_lshl_add_u64 v[0:1], v[120:121], 1, s[10:11]
	global_store_short_d16_hi v[0:1], v45, off
	v_add_f32_e32 v45, v48, v46
	s_waitcnt vmcnt(15)
	v_lshlrev_b32_e32 v43, 16, v43
	v_add_f32_e32 v43, v45, v43
	v_and_b32_e32 v45, 0x7f800000, v43
	v_cmp_ne_u32_e32 vcc, s31, v45
                                        ; implicit-def: $vgpr45
	s_and_saveexec_b64 s[22:23], vcc
	s_xor_b64 s[22:23], exec, s[22:23]
; %bb.29:                               ;   in Loop: Header=BB260_14 Depth=1
	v_bfe_u32 v45, v43, 16, 1
	v_add3_u32 v45, v43, v45, s33
                                        ; implicit-def: $vgpr43
; %bb.30:                               ;   in Loop: Header=BB260_14 Depth=1
	s_andn2_saveexec_b64 s[22:23], s[22:23]
; %bb.31:                               ;   in Loop: Header=BB260_14 Depth=1
	v_or_b32_e32 v45, 0x10000, v43
	v_cmp_eq_u32_sdwa vcc, v43, v123 src0_sel:WORD_0 src1_sel:DWORD
	s_nop 1
	v_cndmask_b32_e32 v45, v45, v43, vcc
; %bb.32:                               ;   in Loop: Header=BB260_14 Depth=1
	s_or_b64 exec, exec, s[22:23]
	v_cvt_f32_i32_e32 v41, v41
	s_waitcnt vmcnt(14)
	v_lshlrev_b32_e32 v42, 16, v42
	global_store_short_d16_hi v[0:1], v45, off offset:2
	v_add_f32_e32 v41, v44, v41
	v_add_f32_e32 v41, v41, v42
	v_and_b32_e32 v42, 0x7f800000, v41
	v_cmp_ne_u32_e32 vcc, s31, v42
                                        ; implicit-def: $vgpr42
	s_and_saveexec_b64 s[22:23], vcc
	s_xor_b64 s[22:23], exec, s[22:23]
; %bb.33:                               ;   in Loop: Header=BB260_14 Depth=1
	v_bfe_u32 v42, v41, 16, 1
	v_add3_u32 v42, v41, v42, s33
                                        ; implicit-def: $vgpr41
; %bb.34:                               ;   in Loop: Header=BB260_14 Depth=1
	s_andn2_saveexec_b64 s[22:23], s[22:23]
; %bb.35:                               ;   in Loop: Header=BB260_14 Depth=1
	v_or_b32_e32 v42, 0x10000, v41
	v_cmp_eq_u32_sdwa vcc, v41, v123 src0_sel:WORD_0 src1_sel:DWORD
	s_nop 1
	v_cndmask_b32_e32 v42, v42, v41, vcc
; %bb.36:                               ;   in Loop: Header=BB260_14 Depth=1
	s_or_b64 exec, exec, s[22:23]
	v_cvt_f32_i32_e32 v37, v37
	s_waitcnt vmcnt(14)
	v_lshlrev_b32_e32 v39, 16, v39
	global_store_short_d16_hi v[0:1], v42, off offset:4
	v_add_f32_e32 v37, v40, v37
	v_add_f32_e32 v37, v37, v39
	v_and_b32_e32 v39, 0x7f800000, v37
	v_cmp_ne_u32_e32 vcc, s31, v39
                                        ; implicit-def: $vgpr39
	s_and_saveexec_b64 s[22:23], vcc
	s_xor_b64 s[22:23], exec, s[22:23]
; %bb.37:                               ;   in Loop: Header=BB260_14 Depth=1
	v_bfe_u32 v39, v37, 16, 1
	v_add3_u32 v39, v37, v39, s33
                                        ; implicit-def: $vgpr37
; %bb.38:                               ;   in Loop: Header=BB260_14 Depth=1
	s_andn2_saveexec_b64 s[22:23], s[22:23]
; %bb.39:                               ;   in Loop: Header=BB260_14 Depth=1
	v_or_b32_e32 v39, 0x10000, v37
	v_cmp_eq_u32_sdwa vcc, v37, v123 src0_sel:WORD_0 src1_sel:DWORD
	s_nop 1
	v_cndmask_b32_e32 v39, v39, v37, vcc
; %bb.40:                               ;   in Loop: Header=BB260_14 Depth=1
	s_or_b64 exec, exec, s[22:23]
	v_cvt_f32_i32_e32 v33, v33
	global_store_short_d16_hi v[0:1], v39, off offset:6
	s_waitcnt vmcnt(15)
	v_lshlrev_b32_e32 v1, 16, v38
	v_add_f32_e32 v0, v36, v33
	v_add_f32_e32 v1, v0, v1
	v_and_b32_e32 v0, 0x7f800000, v1
	v_cmp_ne_u32_e32 vcc, s31, v0
                                        ; implicit-def: $vgpr0
	s_and_saveexec_b64 s[22:23], vcc
	s_xor_b64 s[22:23], exec, s[22:23]
; %bb.41:                               ;   in Loop: Header=BB260_14 Depth=1
	v_bfe_u32 v0, v1, 16, 1
	v_add3_u32 v0, v1, v0, s33
                                        ; implicit-def: $vgpr1
; %bb.42:                               ;   in Loop: Header=BB260_14 Depth=1
	s_andn2_saveexec_b64 s[22:23], s[22:23]
; %bb.43:                               ;   in Loop: Header=BB260_14 Depth=1
	v_or_b32_e32 v0, 0x10000, v1
	v_cmp_eq_u32_sdwa vcc, v1, v123 src0_sel:WORD_0 src1_sel:DWORD
	s_nop 1
	v_cndmask_b32_e32 v0, v0, v1, vcc
; %bb.44:                               ;   in Loop: Header=BB260_14 Depth=1
	s_or_b64 exec, exec, s[22:23]
	v_cvt_f32_i32_e32 v1, v30
	v_add_u32_e32 v122, s7, v120
	v_lshl_add_u64 v[36:37], v[122:123], 1, s[10:11]
	global_store_short_d16_hi v[36:37], v0, off
	v_add_f32_e32 v0, v32, v1
	s_waitcnt vmcnt(15)
	v_lshlrev_b32_e32 v1, 16, v35
	v_add_f32_e32 v1, v0, v1
	v_and_b32_e32 v0, 0x7f800000, v1
	v_cmp_ne_u32_e32 vcc, s31, v0
                                        ; implicit-def: $vgpr0
	s_and_saveexec_b64 s[22:23], vcc
	s_xor_b64 s[22:23], exec, s[22:23]
; %bb.45:                               ;   in Loop: Header=BB260_14 Depth=1
	v_bfe_u32 v0, v1, 16, 1
	v_add3_u32 v0, v1, v0, s33
                                        ; implicit-def: $vgpr1
; %bb.46:                               ;   in Loop: Header=BB260_14 Depth=1
	s_andn2_saveexec_b64 s[22:23], s[22:23]
; %bb.47:                               ;   in Loop: Header=BB260_14 Depth=1
	v_or_b32_e32 v0, 0x10000, v1
	v_cmp_eq_u32_sdwa vcc, v1, v123 src0_sel:WORD_0 src1_sel:DWORD
	s_nop 1
	v_cndmask_b32_e32 v0, v0, v1, vcc
; %bb.48:                               ;   in Loop: Header=BB260_14 Depth=1
	s_or_b64 exec, exec, s[22:23]
	v_cvt_f32_i32_e32 v1, v29
	v_add_u32_e32 v32, 1, v122
	v_mov_b32_e32 v33, v123
	v_lshl_add_u64 v[32:33], v[32:33], 1, s[10:11]
	v_add_f32_e32 v1, v28, v1
	global_store_short_d16_hi v[32:33], v0, off
	s_waitcnt vmcnt(15)
	v_lshlrev_b32_e32 v0, 16, v34
	v_add_f32_e32 v1, v1, v0
	v_and_b32_e32 v0, 0x7f800000, v1
	v_cmp_ne_u32_e32 vcc, s31, v0
                                        ; implicit-def: $vgpr0
	s_and_saveexec_b64 s[22:23], vcc
	s_xor_b64 s[22:23], exec, s[22:23]
; %bb.49:                               ;   in Loop: Header=BB260_14 Depth=1
	v_bfe_u32 v0, v1, 16, 1
	v_add3_u32 v0, v1, v0, s33
                                        ; implicit-def: $vgpr1
; %bb.50:                               ;   in Loop: Header=BB260_14 Depth=1
	s_andn2_saveexec_b64 s[22:23], s[22:23]
; %bb.51:                               ;   in Loop: Header=BB260_14 Depth=1
	v_or_b32_e32 v0, 0x10000, v1
	v_cmp_eq_u32_sdwa vcc, v1, v123 src0_sel:WORD_0 src1_sel:DWORD
	s_nop 1
	v_cndmask_b32_e32 v0, v0, v1, vcc
; %bb.52:                               ;   in Loop: Header=BB260_14 Depth=1
	s_or_b64 exec, exec, s[22:23]
	v_cvt_f32_i32_e32 v1, v21
	v_add_u32_e32 v28, 2, v122
	v_mov_b32_e32 v29, v123
	v_lshl_add_u64 v[28:29], v[28:29], 1, s[10:11]
	v_add_f32_e32 v1, v24, v1
	global_store_short_d16_hi v[28:29], v0, off
	;; [unrolled: 27-line block ×3, first 2 shown]
	s_waitcnt vmcnt(15)
	v_lshlrev_b32_e32 v0, 16, v31
	v_add_f32_e32 v0, v1, v0
	v_and_b32_e32 v1, 0x7f800000, v0
	v_cmp_ne_u32_e32 vcc, s31, v1
                                        ; implicit-def: $vgpr17
	s_and_saveexec_b64 s[22:23], vcc
	s_xor_b64 s[22:23], exec, s[22:23]
; %bb.57:                               ;   in Loop: Header=BB260_14 Depth=1
	v_bfe_u32 v1, v0, 16, 1
	v_add3_u32 v17, v0, v1, s33
                                        ; implicit-def: $vgpr0
; %bb.58:                               ;   in Loop: Header=BB260_14 Depth=1
	s_andn2_saveexec_b64 s[22:23], s[22:23]
; %bb.59:                               ;   in Loop: Header=BB260_14 Depth=1
	v_or_b32_e32 v1, 0x10000, v0
	v_cmp_eq_u32_sdwa vcc, v0, v123 src0_sel:WORD_0 src1_sel:DWORD
	s_nop 1
	v_cndmask_b32_e32 v17, v1, v0, vcc
; %bb.60:                               ;   in Loop: Header=BB260_14 Depth=1
	s_or_b64 exec, exec, s[22:23]
	v_cvt_f32_i32_e32 v15, v15
	v_add_u32_e32 v122, s7, v122
	v_lshl_add_u64 v[0:1], v[122:123], 1, s[10:11]
	global_store_short_d16_hi v[0:1], v17, off
	v_add_f32_e32 v15, v16, v15
	s_waitcnt vmcnt(15)
	v_lshlrev_b32_e32 v16, 16, v26
	v_add_f32_e32 v15, v15, v16
	v_and_b32_e32 v16, 0x7f800000, v15
	v_cmp_ne_u32_e32 vcc, s31, v16
                                        ; implicit-def: $vgpr16
	s_and_saveexec_b64 s[22:23], vcc
	s_xor_b64 s[22:23], exec, s[22:23]
; %bb.61:                               ;   in Loop: Header=BB260_14 Depth=1
	v_bfe_u32 v16, v15, 16, 1
	v_add3_u32 v16, v15, v16, s33
                                        ; implicit-def: $vgpr15
; %bb.62:                               ;   in Loop: Header=BB260_14 Depth=1
	s_andn2_saveexec_b64 s[22:23], s[22:23]
; %bb.63:                               ;   in Loop: Header=BB260_14 Depth=1
	v_or_b32_e32 v16, 0x10000, v15
	v_cmp_eq_u32_sdwa vcc, v15, v123 src0_sel:WORD_0 src1_sel:DWORD
	s_nop 1
	v_cndmask_b32_e32 v16, v16, v15, vcc
; %bb.64:                               ;   in Loop: Header=BB260_14 Depth=1
	s_or_b64 exec, exec, s[22:23]
	v_cvt_f32_i32_e32 v14, v14
	global_store_short_d16_hi v[0:1], v16, off offset:2
	s_waitcnt vmcnt(15)
	v_lshlrev_b32_e32 v1, 16, v25
	v_add_f32_e32 v0, v13, v14
	v_add_f32_e32 v1, v0, v1
	v_and_b32_e32 v0, 0x7f800000, v1
	v_cmp_ne_u32_e32 vcc, s31, v0
                                        ; implicit-def: $vgpr0
	s_and_saveexec_b64 s[22:23], vcc
	s_xor_b64 s[22:23], exec, s[22:23]
; %bb.65:                               ;   in Loop: Header=BB260_14 Depth=1
	v_bfe_u32 v0, v1, 16, 1
	v_add3_u32 v0, v1, v0, s33
                                        ; implicit-def: $vgpr1
; %bb.66:                               ;   in Loop: Header=BB260_14 Depth=1
	s_andn2_saveexec_b64 s[22:23], s[22:23]
; %bb.67:                               ;   in Loop: Header=BB260_14 Depth=1
	v_or_b32_e32 v0, 0x10000, v1
	v_cmp_eq_u32_sdwa vcc, v1, v123 src0_sel:WORD_0 src1_sel:DWORD
	s_nop 1
	v_cndmask_b32_e32 v0, v0, v1, vcc
; %bb.68:                               ;   in Loop: Header=BB260_14 Depth=1
	s_or_b64 exec, exec, s[22:23]
	v_cvt_f32_i32_e32 v1, v7
	v_add_u32_e32 v14, 2, v122
	v_mov_b32_e32 v15, v123
	v_lshl_add_u64 v[14:15], v[14:15], 1, s[10:11]
	v_add_f32_e32 v1, v12, v1
	global_store_short_d16_hi v[14:15], v0, off
	s_waitcnt vmcnt(15)
	v_lshlrev_b32_e32 v0, 16, v23
	v_add_f32_e32 v1, v1, v0
	v_and_b32_e32 v0, 0x7f800000, v1
	v_cmp_ne_u32_e32 vcc, s31, v0
                                        ; implicit-def: $vgpr0
	s_and_saveexec_b64 s[22:23], vcc
	s_xor_b64 s[22:23], exec, s[22:23]
; %bb.69:                               ;   in Loop: Header=BB260_14 Depth=1
	v_bfe_u32 v0, v1, 16, 1
	v_add3_u32 v0, v1, v0, s33
                                        ; implicit-def: $vgpr1
; %bb.70:                               ;   in Loop: Header=BB260_14 Depth=1
	s_andn2_saveexec_b64 s[22:23], s[22:23]
; %bb.71:                               ;   in Loop: Header=BB260_14 Depth=1
	v_or_b32_e32 v0, 0x10000, v1
	v_cmp_eq_u32_sdwa vcc, v1, v123 src0_sel:WORD_0 src1_sel:DWORD
	s_nop 1
	v_cndmask_b32_e32 v0, v0, v1, vcc
; %bb.72:                               ;   in Loop: Header=BB260_14 Depth=1
	s_or_b64 exec, exec, s[22:23]
	v_cvt_f32_i32_e32 v1, v10
	v_add_u32_e32 v12, 3, v122
	v_mov_b32_e32 v13, v123
	v_lshl_add_u64 v[12:13], v[12:13], 1, s[10:11]
	v_add_f32_e32 v1, v9, v1
	global_store_short_d16_hi v[12:13], v0, off
	s_waitcnt vmcnt(15)
	v_lshlrev_b32_e32 v0, 16, v22
	v_add_f32_e32 v1, v1, v0
	v_and_b32_e32 v0, 0x7f800000, v1
	v_cmp_ne_u32_e32 vcc, s31, v0
                                        ; implicit-def: $vgpr0
	s_and_saveexec_b64 s[22:23], vcc
	s_xor_b64 s[22:23], exec, s[22:23]
; %bb.73:                               ;   in Loop: Header=BB260_14 Depth=1
	v_bfe_u32 v0, v1, 16, 1
	v_add3_u32 v0, v1, v0, s33
                                        ; implicit-def: $vgpr1
; %bb.74:                               ;   in Loop: Header=BB260_14 Depth=1
	s_andn2_saveexec_b64 s[22:23], s[22:23]
; %bb.75:                               ;   in Loop: Header=BB260_14 Depth=1
	v_or_b32_e32 v0, 0x10000, v1
	v_cmp_eq_u32_sdwa vcc, v1, v123 src0_sel:WORD_0 src1_sel:DWORD
	s_nop 1
	v_cndmask_b32_e32 v0, v0, v1, vcc
; %bb.76:                               ;   in Loop: Header=BB260_14 Depth=1
	s_or_b64 exec, exec, s[22:23]
	v_cvt_f32_i32_e32 v1, v8
	v_add_u32_e32 v122, s7, v122
	v_lshl_add_u64 v[8:9], v[122:123], 1, s[10:11]
	global_store_short_d16_hi v[8:9], v0, off
	v_add_f32_e32 v0, v6, v1
	s_waitcnt vmcnt(15)
	v_lshlrev_b32_e32 v1, 16, v19
	v_add_f32_e32 v1, v0, v1
	v_and_b32_e32 v0, 0x7f800000, v1
	v_cmp_ne_u32_e32 vcc, s31, v0
                                        ; implicit-def: $vgpr0
	s_and_saveexec_b64 s[22:23], vcc
	s_xor_b64 s[22:23], exec, s[22:23]
; %bb.77:                               ;   in Loop: Header=BB260_14 Depth=1
	v_bfe_u32 v0, v1, 16, 1
	v_add3_u32 v0, v1, v0, s33
                                        ; implicit-def: $vgpr1
; %bb.78:                               ;   in Loop: Header=BB260_14 Depth=1
	s_andn2_saveexec_b64 s[22:23], s[22:23]
; %bb.79:                               ;   in Loop: Header=BB260_14 Depth=1
	v_or_b32_e32 v0, 0x10000, v1
	v_cmp_eq_u32_sdwa vcc, v1, v123 src0_sel:WORD_0 src1_sel:DWORD
	s_nop 1
	v_cndmask_b32_e32 v0, v0, v1, vcc
; %bb.80:                               ;   in Loop: Header=BB260_14 Depth=1
	s_or_b64 exec, exec, s[22:23]
	v_cvt_f32_i32_e32 v1, v5
	v_add_u32_e32 v6, 1, v122
	v_mov_b32_e32 v7, v123
	v_lshl_add_u64 v[6:7], v[6:7], 1, s[10:11]
	v_add_f32_e32 v1, v4, v1
	global_store_short_d16_hi v[6:7], v0, off
	s_waitcnt vmcnt(15)
	v_lshlrev_b32_e32 v0, 16, v18
	v_add_f32_e32 v1, v1, v0
	v_and_b32_e32 v0, 0x7f800000, v1
	v_cmp_ne_u32_e32 vcc, s31, v0
                                        ; implicit-def: $vgpr0
	s_and_saveexec_b64 s[22:23], vcc
	s_xor_b64 s[22:23], exec, s[22:23]
; %bb.81:                               ;   in Loop: Header=BB260_14 Depth=1
	v_bfe_u32 v0, v1, 16, 1
	v_add3_u32 v0, v1, v0, s33
                                        ; implicit-def: $vgpr1
; %bb.82:                               ;   in Loop: Header=BB260_14 Depth=1
	s_andn2_saveexec_b64 s[22:23], s[22:23]
; %bb.83:                               ;   in Loop: Header=BB260_14 Depth=1
	v_or_b32_e32 v0, 0x10000, v1
	v_cmp_eq_u32_sdwa vcc, v1, v123 src0_sel:WORD_0 src1_sel:DWORD
	s_nop 1
	v_cndmask_b32_e32 v0, v0, v1, vcc
; %bb.84:                               ;   in Loop: Header=BB260_14 Depth=1
	s_or_b64 exec, exec, s[22:23]
	v_cvt_f32_i32_e32 v1, v3
	v_add_u32_e32 v4, 2, v122
	v_mov_b32_e32 v5, v123
	v_lshl_add_u64 v[4:5], v[4:5], 1, s[10:11]
	v_add_f32_e32 v1, v2, v1
	global_store_short_d16_hi v[4:5], v0, off
	s_waitcnt vmcnt(15)
	v_lshlrev_b32_e32 v0, 16, v11
	v_add_f32_e32 v1, v1, v0
	v_and_b32_e32 v0, 0x7f800000, v1
	v_cmp_ne_u32_e32 vcc, s31, v0
                                        ; implicit-def: $vgpr0
	s_and_saveexec_b64 s[22:23], vcc
	s_xor_b64 s[22:23], exec, s[22:23]
; %bb.85:                               ;   in Loop: Header=BB260_14 Depth=1
	v_bfe_u32 v0, v1, 16, 1
	v_add3_u32 v0, v1, v0, s33
                                        ; implicit-def: $vgpr1
; %bb.86:                               ;   in Loop: Header=BB260_14 Depth=1
	s_andn2_saveexec_b64 s[22:23], s[22:23]
	s_cbranch_execz .LBB260_12
; %bb.87:                               ;   in Loop: Header=BB260_14 Depth=1
	v_or_b32_e32 v0, 0x10000, v1
	v_cmp_eq_u32_sdwa vcc, v1, v123 src0_sel:WORD_0 src1_sel:DWORD
	s_nop 1
	v_cndmask_b32_e32 v0, v0, v1, vcc
	s_branch .LBB260_12
.LBB260_88:
	s_endpgm
	.section	.rodata,"a",@progbits
	.p2align	6, 0x0
	.amdhsa_kernel _Z16wvSplitK_hf_sml_I14__hip_bfloat16Li32ELi4ELi16ELi8ELi2ELi4EEviiiiiiPKT_S3_S3_PS1_ii
		.amdhsa_group_segment_fixed_size 65536
		.amdhsa_private_segment_fixed_size 0
		.amdhsa_kernarg_size 64
		.amdhsa_user_sgpr_count 2
		.amdhsa_user_sgpr_dispatch_ptr 0
		.amdhsa_user_sgpr_queue_ptr 0
		.amdhsa_user_sgpr_kernarg_segment_ptr 1
		.amdhsa_user_sgpr_dispatch_id 0
		.amdhsa_user_sgpr_kernarg_preload_length 0
		.amdhsa_user_sgpr_kernarg_preload_offset 0
		.amdhsa_user_sgpr_private_segment_size 0
		.amdhsa_uses_dynamic_stack 0
		.amdhsa_enable_private_segment 0
		.amdhsa_system_sgpr_workgroup_id_x 1
		.amdhsa_system_sgpr_workgroup_id_y 0
		.amdhsa_system_sgpr_workgroup_id_z 0
		.amdhsa_system_sgpr_workgroup_info 0
		.amdhsa_system_vgpr_workitem_id 1
		.amdhsa_next_free_vgpr 146
		.amdhsa_next_free_sgpr 35
		.amdhsa_accum_offset 148
		.amdhsa_reserve_vcc 1
		.amdhsa_float_round_mode_32 0
		.amdhsa_float_round_mode_16_64 0
		.amdhsa_float_denorm_mode_32 3
		.amdhsa_float_denorm_mode_16_64 3
		.amdhsa_dx10_clamp 1
		.amdhsa_ieee_mode 1
		.amdhsa_fp16_overflow 0
		.amdhsa_tg_split 0
		.amdhsa_exception_fp_ieee_invalid_op 0
		.amdhsa_exception_fp_denorm_src 0
		.amdhsa_exception_fp_ieee_div_zero 0
		.amdhsa_exception_fp_ieee_overflow 0
		.amdhsa_exception_fp_ieee_underflow 0
		.amdhsa_exception_fp_ieee_inexact 0
		.amdhsa_exception_int_div_zero 0
	.end_amdhsa_kernel
	.section	.text._Z16wvSplitK_hf_sml_I14__hip_bfloat16Li32ELi4ELi16ELi8ELi2ELi4EEviiiiiiPKT_S3_S3_PS1_ii,"axG",@progbits,_Z16wvSplitK_hf_sml_I14__hip_bfloat16Li32ELi4ELi16ELi8ELi2ELi4EEviiiiiiPKT_S3_S3_PS1_ii,comdat
.Lfunc_end260:
	.size	_Z16wvSplitK_hf_sml_I14__hip_bfloat16Li32ELi4ELi16ELi8ELi2ELi4EEviiiiiiPKT_S3_S3_PS1_ii, .Lfunc_end260-_Z16wvSplitK_hf_sml_I14__hip_bfloat16Li32ELi4ELi16ELi8ELi2ELi4EEviiiiiiPKT_S3_S3_PS1_ii
                                        ; -- End function
	.section	.AMDGPU.csdata,"",@progbits
; Kernel info:
; codeLenInByte = 6884
; NumSgprs: 41
; NumVgprs: 146
; NumAgprs: 0
; TotalNumVgprs: 146
; ScratchSize: 0
; MemoryBound: 0
; FloatMode: 240
; IeeeMode: 1
; LDSByteSize: 65536 bytes/workgroup (compile time only)
; SGPRBlocks: 5
; VGPRBlocks: 18
; NumSGPRsForWavesPerEU: 41
; NumVGPRsForWavesPerEU: 146
; AccumOffset: 148
; Occupancy: 2
; WaveLimiterHint : 0
; COMPUTE_PGM_RSRC2:SCRATCH_EN: 0
; COMPUTE_PGM_RSRC2:USER_SGPR: 2
; COMPUTE_PGM_RSRC2:TRAP_HANDLER: 0
; COMPUTE_PGM_RSRC2:TGID_X_EN: 1
; COMPUTE_PGM_RSRC2:TGID_Y_EN: 0
; COMPUTE_PGM_RSRC2:TGID_Z_EN: 0
; COMPUTE_PGM_RSRC2:TIDIG_COMP_CNT: 1
; COMPUTE_PGM_RSRC3_GFX90A:ACCUM_OFFSET: 36
; COMPUTE_PGM_RSRC3_GFX90A:TG_SPLIT: 0
	.section	.text._Z12wvSplitK_hf_I14__hip_bfloat16Li32ELi4ELi16ELi8ELi2ELi4EEviiiiiiPKT_S3_S3_PS1_ii,"axG",@progbits,_Z12wvSplitK_hf_I14__hip_bfloat16Li32ELi4ELi16ELi8ELi2ELi4EEviiiiiiPKT_S3_S3_PS1_ii,comdat
	.protected	_Z12wvSplitK_hf_I14__hip_bfloat16Li32ELi4ELi16ELi8ELi2ELi4EEviiiiiiPKT_S3_S3_PS1_ii ; -- Begin function _Z12wvSplitK_hf_I14__hip_bfloat16Li32ELi4ELi16ELi8ELi2ELi4EEviiiiiiPKT_S3_S3_PS1_ii
	.globl	_Z12wvSplitK_hf_I14__hip_bfloat16Li32ELi4ELi16ELi8ELi2ELi4EEviiiiiiPKT_S3_S3_PS1_ii
	.p2align	8
	.type	_Z12wvSplitK_hf_I14__hip_bfloat16Li32ELi4ELi16ELi8ELi2ELi4EEviiiiiiPKT_S3_S3_PS1_ii,@function
_Z12wvSplitK_hf_I14__hip_bfloat16Li32ELi4ELi16ELi8ELi2ELi4EEviiiiiiPKT_S3_S3_PS1_ii: ; @_Z12wvSplitK_hf_I14__hip_bfloat16Li32ELi4ELi16ELi8ELi2ELi4EEviiiiiiPKT_S3_S3_PS1_ii
; %bb.0:
	s_load_dwordx2 s[8:9], s[0:1], 0x38
	s_load_dwordx2 s[20:21], s[0:1], 0x20
	s_load_dwordx4 s[12:15], s[0:1], 0x0
	s_load_dwordx2 s[22:23], s[0:1], 0x10
	v_bfe_u32 v1, v0, 10, 10
	s_waitcnt lgkmcnt(0)
	s_mul_i32 s2, s2, s8
	v_add_lshl_u32 v134, s2, v1, 2
	s_mov_b32 s4, 1
	v_add_u32_e32 v2, 4, v134
	s_mov_b32 s5, s4
	v_cmp_gt_u32_e32 vcc, s15, v134
	v_cmp_le_u32_e64 s[2:3], s15, v2
	s_mov_b32 s6, s4
	s_mov_b32 s7, s4
	v_mov_b64_e32 v[2:3], s[4:5]
	s_and_b64 s[10:11], vcc, s[2:3]
	v_mov_b64_e32 v[4:5], s[6:7]
	s_and_saveexec_b64 s[2:3], s[10:11]
	s_cbranch_execz .LBB261_6
; %bb.1:
	s_add_i32 s24, s15, -4
	v_mov_b64_e32 v[2:3], s[4:5]
	v_cmp_ne_u32_e32 vcc, s24, v134
	v_mov_b64_e32 v[4:5], s[6:7]
	s_and_saveexec_b64 s[10:11], vcc
	s_cbranch_execz .LBB261_5
; %bb.2:
	v_subrev_u32_e32 v2, s24, v134
	v_cmp_lt_u32_e32 vcc, 1, v2
	s_mov_b64 s[16:17], 0
	s_mov_b64 s[18:19], 0
	v_cndmask_b32_e32 v6, 1, v2, vcc
	s_mov_b32 s5, s4
	s_mov_b32 s6, s4
	;; [unrolled: 1-line block ×3, first 2 shown]
.LBB261_3:                              ; =>This Inner Loop Header: Depth=1
	s_cmp_lg_u32 s18, 3
	s_cselect_b32 s7, s7, 0
	s_cmp_lg_u32 s18, 2
	s_cselect_b32 s6, s6, 0
	;; [unrolled: 2-line block ×4, first 2 shown]
	s_add_u32 s18, s18, 1
	s_addc_u32 s19, s19, 0
	v_cmp_eq_u32_e32 vcc, s18, v6
	v_mov_b64_e32 v[2:3], s[4:5]
	s_or_b64 s[16:17], vcc, s[16:17]
	v_mov_b64_e32 v[4:5], s[6:7]
	s_andn2_b64 exec, exec, s[16:17]
	s_cbranch_execnz .LBB261_3
; %bb.4:
	s_or_b64 exec, exec, s[16:17]
	v_mov_b32_e32 v134, s24
.LBB261_5:
	s_or_b64 exec, exec, s[10:11]
.LBB261_6:
	s_or_b64 exec, exec, s[2:3]
	v_and_b32_e32 v10, 0x3ff, v0
	v_lshlrev_b32_e32 v0, 3, v10
	s_lshl_b32 s33, s14, 2
	v_lshl_add_u32 v11, v1, 8, v0
	s_min_u32 s4, s33, 0x8000
	v_cmp_gt_u32_e32 vcc, s4, v11
	s_and_saveexec_b64 s[2:3], vcc
	s_cbranch_execz .LBB261_15
; %bb.7:
	v_lshlrev_b32_e32 v6, 1, v11
	global_load_dwordx4 v[12:15], v6, s[20:21]
	v_add_u32_e32 v7, 0x1000, v11
	v_cmp_gt_u32_e32 vcc, s4, v7
	s_waitcnt vmcnt(0)
	ds_write_b128 v6, v[12:15]
	s_and_saveexec_b64 s[6:7], vcc
	s_xor_b64 s[6:7], exec, s[6:7]
	s_cbranch_execz .LBB261_15
; %bb.8:
	v_mov_b32_e32 v7, 0
	v_lshl_add_u64 v[8:9], s[20:21], 0, v[6:7]
	v_add_co_u32_e32 v12, vcc, 0x2000, v8
	v_add_u32_e32 v7, 0x2000, v11
	s_nop 0
	v_addc_co_u32_e32 v13, vcc, 0, v9, vcc
	global_load_dwordx4 v[12:15], v[12:13], off
	v_cmp_gt_u32_e32 vcc, s4, v7
	s_waitcnt vmcnt(0)
	ds_write_b128 v6, v[12:15] offset:8192
	s_and_saveexec_b64 s[6:7], vcc
	s_xor_b64 s[6:7], exec, s[6:7]
	s_cbranch_execz .LBB261_15
; %bb.9:
	v_add_co_u32_e32 v12, vcc, 0x4000, v8
	v_add_u32_e32 v7, 0x3000, v11
	s_nop 0
	v_addc_co_u32_e32 v13, vcc, 0, v9, vcc
	global_load_dwordx4 v[12:15], v[12:13], off
	v_cmp_gt_u32_e32 vcc, s4, v7
	s_waitcnt vmcnt(0)
	ds_write_b128 v6, v[12:15] offset:16384
	s_and_saveexec_b64 s[6:7], vcc
	s_xor_b64 s[6:7], exec, s[6:7]
	s_cbranch_execz .LBB261_15
; %bb.10:
	;; [unrolled: 12-line block ×6, first 2 shown]
	v_add_co_u32_e32 v8, vcc, 0xe000, v8
	s_nop 1
	v_addc_co_u32_e32 v9, vcc, 0, v9, vcc
	global_load_dwordx4 v[12:15], v[8:9], off
	s_waitcnt vmcnt(0)
	ds_write_b128 v6, v[12:15] offset:57344
.LBB261_15:
	s_or_b64 exec, exec, s[2:3]
	v_cmp_gt_u32_e32 vcc, s8, v1
	v_cmp_gt_u32_e64 s[2:3], s15, v134
	s_and_b64 s[2:3], vcc, s[2:3]
	s_waitcnt lgkmcnt(0)
	s_barrier
	s_and_saveexec_b64 s[4:5], s[2:3]
	s_cbranch_execz .LBB261_162
; %bb.16:
	s_load_dwordx4 s[16:19], s[0:1], 0x28
	s_load_dwordx2 s[24:25], s[0:1], 0x18
	s_cmp_lg_u32 s12, 0
	s_cselect_b64 s[2:3], -1, 0
	s_add_i32 s40, s12, -8
	s_add_i32 s41, s15, -1
	s_mul_i32 s4, s8, s9
	s_waitcnt lgkmcnt(0)
	s_cmp_lg_u64 s[16:17], 0
	s_cselect_b64 s[28:29], -1, 0
	s_lshl_b32 s42, s4, 2
	s_abs_i32 s4, s23
	v_cvt_f32_u32_e32 v1, s22
	v_cvt_f32_u32_e32 v6, s4
	s_sub_i32 s5, 0, s22
	s_add_i32 s23, s15, -4
	v_rcp_iflag_f32_e32 v1, v1
	v_rcp_iflag_f32_e32 v6, v6
	v_cmp_eq_u32_e64 s[0:1], 31, v10
	s_mov_b64 s[26:27], 0
	v_mul_f32_e32 v1, 0x4f7ffffe, v1
	v_mul_f32_e32 v6, 0x4f7ffffe, v6
	v_cvt_u32_f32_e32 v1, v1
	v_cvt_u32_f32_e32 v6, v6
	v_mov_b32_e32 v137, 0
	v_lshlrev_b32_e32 v160, 4, v10
	v_mul_lo_u32 v7, s5, v1
	s_sub_i32 s5, 0, s4
	v_readfirstlane_b32 s6, v6
	s_mul_i32 s5, s5, s6
	s_mul_hi_u32 s5, s6, s5
	s_add_i32 s6, s6, s5
	s_sub_i32 s5, 1, s4
	s_cmp_lt_u32 s4, 2
	s_cselect_b32 s5, s5, 1
	s_sub_i32 s7, s5, s4
	s_cmp_ge_u32 s5, s4
	s_cselect_b32 s43, s7, s5
	s_lshr_b32 s5, s6, 31
	s_mul_i32 s5, s5, s4
	s_sub_i32 s5, 2, s5
	s_sub_i32 s7, s5, s4
	s_cmp_ge_u32 s5, s4
	s_cselect_b32 s5, s7, s5
	s_sub_i32 s7, s5, s4
	s_cmp_ge_u32 s5, s4
	s_cselect_b32 s44, s7, s5
	s_mul_hi_u32 s5, s6, 3
	s_mul_i32 s5, s5, s4
	s_sub_i32 s5, 3, s5
	s_sub_i32 s6, s5, s4
	s_cmp_ge_u32 s5, s4
	s_cselect_b32 s5, s6, s5
	v_mul_hi_u32 v7, v1, v7
	s_sub_i32 s6, s5, s4
	v_add_u32_e32 v1, v1, v7
	s_cmp_ge_u32 s5, s4
	s_cselect_b32 s45, s6, s5
	s_lshl_b32 s46, s14, 1
	v_mad_u64_u32 v[138:139], s[4:5], s14, 3, v[0:1]
	v_cndmask_b32_e64 v6, 0, 1, s[2:3]
	s_mul_i32 s43, s43, s22
	s_mul_i32 s44, s44, s22
	;; [unrolled: 1-line block ×3, first 2 shown]
	v_add_u32_e32 v161, s46, v0
	s_mul_i32 s47, s14, 6
	v_add_u32_e32 v139, s14, v0
	v_cmp_ne_u32_e64 s[2:3], 1, v6
	s_movk_i32 s14, 0x7fff
	s_mov_b32 s48, 0x7f800000
	s_mov_b32 s30, 0
	s_branch .LBB261_19
.LBB261_17:                             ;   in Loop: Header=BB261_19 Depth=1
	s_or_b64 exec, exec, s[8:9]
	v_mov_b32_e32 v134, s23
.LBB261_18:                             ;   in Loop: Header=BB261_19 Depth=1
	s_or_b64 exec, exec, s[6:7]
	v_cmp_le_u32_e32 vcc, s15, v134
	s_or_b64 s[26:27], vcc, s[26:27]
	s_andn2_b64 exec, exec, s[26:27]
	s_cbranch_execz .LBB261_162
.LBB261_19:                             ; =>This Loop Header: Depth=1
                                        ;     Child Loop BB261_24 Depth 2
                                        ;     Child Loop BB261_160 Depth 2
	s_and_b64 vcc, exec, s[2:3]
	v_add_u32_e32 v144, 1, v134
	v_add_u32_e32 v142, 2, v134
	;; [unrolled: 1-line block ×3, first 2 shown]
	s_waitcnt vmcnt(2)
	v_mov_b32_e32 v17, v137
	s_waitcnt vmcnt(1)
	v_mov_b32_e32 v16, v137
	;; [unrolled: 2-line block ×3, first 2 shown]
	v_mov_b32_e32 v14, v137
	v_mov_b32_e32 v9, v137
	;; [unrolled: 1-line block ×61, first 2 shown]
	s_cbranch_vccnz .LBB261_58
; %bb.20:                               ;   in Loop: Header=BB261_19 Depth=1
	v_min_u32_e32 v6, s41, v134
	v_mul_lo_u32 v136, v6, s13
	v_min_u32_e32 v6, s41, v144
	v_min_u32_e32 v8, s41, v142
	;; [unrolled: 1-line block ×3, first 2 shown]
	v_mul_lo_u32 v6, v6, s13
	v_mov_b32_e32 v7, v137
	v_mul_lo_u32 v8, v8, s13
	v_mov_b32_e32 v9, v137
	;; [unrolled: 2-line block ×3, first 2 shown]
	v_mov_b32_e32 v38, 0
	s_mov_b32 s4, 0
	v_lshlrev_b64 v[146:147], 1, v[136:137]
	v_lshlrev_b64 v[148:149], 1, v[6:7]
	;; [unrolled: 1-line block ×4, first 2 shown]
	v_mov_b32_e32 v135, v160
	s_mov_b32 s34, 0
	v_mov_b32_e32 v39, v38
	v_mov_b32_e32 v40, v38
	;; [unrolled: 1-line block ×63, first 2 shown]
	s_branch .LBB261_24
.LBB261_21:                             ;   in Loop: Header=BB261_24 Depth=2
	s_or_b64 exec, exec, s[10:11]
.LBB261_22:                             ;   in Loop: Header=BB261_24 Depth=2
	s_or_b64 exec, exec, s[8:9]
.LBB261_23:                             ;   in Loop: Header=BB261_24 Depth=2
	s_or_b64 exec, exec, s[6:7]
	s_waitcnt vmcnt(0) lgkmcnt(0)
	v_mfma_f32_4x4x4_16b_bf16 v[66:69], v[102:103], v[78:79], v[66:69]
	s_addk_i32 s34, 0x200
	v_mfma_f32_4x4x4_16b_bf16 v[62:65], v[102:103], v[74:75], v[62:65]
	v_add_u32_e32 v135, 0x400, v135
	v_mfma_f32_4x4x4_16b_bf16 v[58:61], v[102:103], v[86:87], v[58:61]
	s_cmp_ge_u32 s34, s12
	v_mfma_f32_4x4x4_16b_bf16 v[54:57], v[102:103], v[82:83], v[54:57]
	v_mfma_f32_4x4x4_16b_bf16 v[50:53], v[106:107], v[78:79], v[50:53]
	;; [unrolled: 1-line block ×61, first 2 shown]
	s_cbranch_scc1 .LBB261_58
.LBB261_24:                             ;   Parent Loop BB261_19 Depth=1
                                        ; =>  This Inner Loop Header: Depth=2
	v_add_u32_e32 v156, s34, v0
	v_min_u32_e32 v136, s40, v156
	v_lshl_add_u64 v[70:71], v[136:137], 1, s[24:25]
	v_lshl_add_u64 v[72:73], v[70:71], 0, v[146:147]
	v_add_u32_e32 v154, 0x100, v156
	v_lshl_add_u64 v[82:83], v[70:71], 0, v[148:149]
	global_load_dwordx4 v[78:81], v[72:73], off nt
	global_load_dwordx4 v[74:77], v[82:83], off nt
	v_lshl_add_u64 v[72:73], v[70:71], 0, v[150:151]
	v_lshl_add_u64 v[70:71], v[70:71], 0, v[152:153]
	v_min_u32_e32 v136, s40, v154
	global_load_dwordx4 v[86:89], v[72:73], off nt
	global_load_dwordx4 v[82:85], v[70:71], off nt
	v_lshl_add_u64 v[70:71], v[136:137], 1, s[24:25]
	v_lshl_add_u64 v[72:73], v[70:71], 0, v[146:147]
	;; [unrolled: 1-line block ×4, first 2 shown]
	global_load_dwordx4 v[94:97], v[72:73], off nt
	global_load_dwordx4 v[90:93], v[98:99], off nt
	v_lshl_add_u64 v[104:105], v[70:71], 0, v[152:153]
	global_load_dwordx4 v[98:101], v[102:103], off nt
	global_load_dwordx4 v[70:73], v[104:105], off nt
	s_mov_b32 s5, s4
	v_cmp_gt_u32_e32 vcc, s12, v156
	v_mov_b64_e32 v[102:103], s[4:5]
	v_mov_b32_e32 v123, 0
	v_mov_b32_e32 v122, 0
	;; [unrolled: 1-line block ×4, first 2 shown]
	v_mov_b64_e32 v[104:105], s[4:5]
	v_mov_b64_e32 v[118:119], s[4:5]
	;; [unrolled: 1-line block ×13, first 2 shown]
	s_and_saveexec_b64 s[6:7], vcc
	s_cbranch_execz .LBB261_23
; %bb.25:                               ;   in Loop: Header=BB261_24 Depth=2
	v_cmp_lt_u32_e32 vcc, s14, v156
                                        ; implicit-def: $vgpr102_vgpr103
	s_and_saveexec_b64 s[8:9], vcc
	s_xor_b64 s[8:9], exec, s[8:9]
	s_cbranch_execz .LBB261_27
; %bb.26:                               ;   in Loop: Header=BB261_24 Depth=2
	v_mov_b32_e32 v157, v137
	v_lshl_add_u64 v[102:103], v[156:157], 1, s[20:21]
	global_load_dwordx4 v[102:105], v[102:103], off
.LBB261_27:                             ;   in Loop: Header=BB261_24 Depth=2
	s_andn2_saveexec_b64 s[8:9], s[8:9]
	s_cbranch_execz .LBB261_29
; %bb.28:                               ;   in Loop: Header=BB261_24 Depth=2
	s_waitcnt vmcnt(0)
	ds_read_b128 v[102:105], v135
.LBB261_29:                             ;   in Loop: Header=BB261_24 Depth=2
	s_or_b64 exec, exec, s[8:9]
	v_add_u32_e32 v136, s34, v139
	v_cmp_lt_u32_e32 vcc, s14, v136
                                        ; implicit-def: $vgpr106_vgpr107
	s_and_saveexec_b64 s[8:9], vcc
	s_xor_b64 s[8:9], exec, s[8:9]
	s_cbranch_execz .LBB261_31
; %bb.30:                               ;   in Loop: Header=BB261_24 Depth=2
	v_lshl_add_u64 v[106:107], v[136:137], 1, s[20:21]
	global_load_dwordx4 v[106:109], v[106:107], off
.LBB261_31:                             ;   in Loop: Header=BB261_24 Depth=2
	s_andn2_saveexec_b64 s[8:9], s[8:9]
	s_cbranch_execz .LBB261_33
; %bb.32:                               ;   in Loop: Header=BB261_24 Depth=2
	s_waitcnt vmcnt(0)
	v_add_u32_e32 v106, s46, v135
	ds_read_b128 v[106:109], v106
.LBB261_33:                             ;   in Loop: Header=BB261_24 Depth=2
	s_or_b64 exec, exec, s[8:9]
	v_add_u32_e32 v158, s34, v161
	v_cmp_lt_u32_e32 vcc, s14, v158
                                        ; implicit-def: $vgpr110_vgpr111
	s_and_saveexec_b64 s[8:9], vcc
	s_xor_b64 s[8:9], exec, s[8:9]
	s_cbranch_execz .LBB261_35
; %bb.34:                               ;   in Loop: Header=BB261_24 Depth=2
	v_mov_b32_e32 v159, v137
	v_lshl_add_u64 v[110:111], v[158:159], 1, s[20:21]
	global_load_dwordx4 v[110:113], v[110:111], off
.LBB261_35:                             ;   in Loop: Header=BB261_24 Depth=2
	s_andn2_saveexec_b64 s[8:9], s[8:9]
	s_cbranch_execz .LBB261_37
; %bb.36:                               ;   in Loop: Header=BB261_24 Depth=2
	s_waitcnt vmcnt(0)
	v_add_u32_e32 v112, s33, v135
	ds_read2_b32 v[110:111], v112 offset1:1
	ds_read2_b32 v[112:113], v112 offset0:2 offset1:3
.LBB261_37:                             ;   in Loop: Header=BB261_24 Depth=2
	s_or_b64 exec, exec, s[8:9]
	v_add_u32_e32 v156, s34, v138
	v_cmp_lt_u32_e32 vcc, s14, v156
                                        ; implicit-def: $vgpr114_vgpr115
	s_and_saveexec_b64 s[8:9], vcc
	s_xor_b64 s[8:9], exec, s[8:9]
	s_cbranch_execz .LBB261_39
; %bb.38:                               ;   in Loop: Header=BB261_24 Depth=2
	v_mov_b32_e32 v157, v137
	v_lshl_add_u64 v[114:115], v[156:157], 1, s[20:21]
	global_load_dwordx4 v[114:117], v[114:115], off
.LBB261_39:                             ;   in Loop: Header=BB261_24 Depth=2
	s_andn2_saveexec_b64 s[8:9], s[8:9]
	s_cbranch_execz .LBB261_41
; %bb.40:                               ;   in Loop: Header=BB261_24 Depth=2
	s_waitcnt vmcnt(0)
	v_add_u32_e32 v114, s47, v135
	ds_read_b128 v[114:117], v114
.LBB261_41:                             ;   in Loop: Header=BB261_24 Depth=2
	s_or_b64 exec, exec, s[8:9]
	s_mov_b32 s31, s30
	v_cmp_gt_u32_e32 vcc, s12, v154
	v_mov_b32_e32 v123, 0
	v_mov_b64_e32 v[118:119], s[30:31]
	v_mov_b32_e32 v122, 0
	v_mov_b32_e32 v125, 0
	;; [unrolled: 1-line block ×3, first 2 shown]
	v_mov_b64_e32 v[120:121], s[30:31]
	v_mov_b64_e32 v[126:127], s[30:31]
	;; [unrolled: 1-line block ×5, first 2 shown]
	s_and_saveexec_b64 s[8:9], vcc
	s_cbranch_execz .LBB261_22
; %bb.42:                               ;   in Loop: Header=BB261_24 Depth=2
	v_cmp_lt_u32_e32 vcc, s14, v154
                                        ; implicit-def: $vgpr118_vgpr119
	s_and_saveexec_b64 s[10:11], vcc
	s_xor_b64 s[10:11], exec, s[10:11]
	s_cbranch_execz .LBB261_44
; %bb.43:                               ;   in Loop: Header=BB261_24 Depth=2
	v_mov_b32_e32 v155, v137
	v_lshl_add_u64 v[118:119], v[154:155], 1, s[20:21]
	global_load_dwordx4 v[118:121], v[118:119], off
.LBB261_44:                             ;   in Loop: Header=BB261_24 Depth=2
	s_andn2_saveexec_b64 s[10:11], s[10:11]
	s_cbranch_execz .LBB261_46
; %bb.45:                               ;   in Loop: Header=BB261_24 Depth=2
	s_waitcnt vmcnt(0)
	ds_read_b128 v[118:121], v135 offset:512
.LBB261_46:                             ;   in Loop: Header=BB261_24 Depth=2
	s_or_b64 exec, exec, s[10:11]
	v_add_u32_e32 v136, 0x100, v136
	v_cmp_lt_u32_e32 vcc, s14, v136
                                        ; implicit-def: $vgpr126_vgpr127
	s_and_saveexec_b64 s[10:11], vcc
	s_xor_b64 s[10:11], exec, s[10:11]
	s_cbranch_execz .LBB261_48
; %bb.47:                               ;   in Loop: Header=BB261_24 Depth=2
	v_lshl_add_u64 v[122:123], v[136:137], 1, s[20:21]
	global_load_dwordx4 v[126:129], v[122:123], off
.LBB261_48:                             ;   in Loop: Header=BB261_24 Depth=2
	s_andn2_saveexec_b64 s[10:11], s[10:11]
	s_cbranch_execz .LBB261_50
; %bb.49:                               ;   in Loop: Header=BB261_24 Depth=2
	v_add_u32_e32 v122, s46, v135
	s_waitcnt vmcnt(0)
	ds_read_b128 v[126:129], v122 offset:512
.LBB261_50:                             ;   in Loop: Header=BB261_24 Depth=2
	s_or_b64 exec, exec, s[10:11]
	v_add_u32_e32 v136, 0x100, v158
	v_cmp_lt_u32_e32 vcc, s14, v136
                                        ; implicit-def: $vgpr130_vgpr131
	s_and_saveexec_b64 s[10:11], vcc
	s_xor_b64 s[10:11], exec, s[10:11]
	s_cbranch_execz .LBB261_52
; %bb.51:                               ;   in Loop: Header=BB261_24 Depth=2
	v_lshl_add_u64 v[122:123], v[136:137], 1, s[20:21]
	global_load_dwordx4 v[130:133], v[122:123], off
.LBB261_52:                             ;   in Loop: Header=BB261_24 Depth=2
	s_andn2_saveexec_b64 s[10:11], s[10:11]
	s_cbranch_execz .LBB261_54
; %bb.53:                               ;   in Loop: Header=BB261_24 Depth=2
	v_add_u32_e32 v122, s33, v135
	s_waitcnt vmcnt(0)
	ds_read2_b32 v[130:131], v122 offset0:128 offset1:129
	ds_read2_b32 v[132:133], v122 offset0:130 offset1:131
.LBB261_54:                             ;   in Loop: Header=BB261_24 Depth=2
	s_or_b64 exec, exec, s[10:11]
	v_add_u32_e32 v136, 0x100, v156
	v_cmp_lt_u32_e32 vcc, s14, v136
                                        ; implicit-def: $vgpr123
	s_and_saveexec_b64 s[10:11], vcc
	s_xor_b64 s[10:11], exec, s[10:11]
	s_cbranch_execz .LBB261_56
; %bb.55:                               ;   in Loop: Header=BB261_24 Depth=2
	v_lshl_add_u64 v[122:123], v[136:137], 1, s[20:21]
	global_load_dwordx4 v[122:125], v[122:123], off
.LBB261_56:                             ;   in Loop: Header=BB261_24 Depth=2
	s_andn2_saveexec_b64 s[10:11], s[10:11]
	s_cbranch_execz .LBB261_21
; %bb.57:                               ;   in Loop: Header=BB261_24 Depth=2
	s_waitcnt vmcnt(0)
	v_add_u32_e32 v122, s47, v135
	ds_read_b128 v[122:125], v122 offset:512
	s_branch .LBB261_21
.LBB261_58:                             ;   in Loop: Header=BB261_19 Depth=1
	v_cvt_i32_f32_e32 v63, v63
	v_cvt_i32_f32_e32 v64, v64
	;; [unrolled: 1-line block ×4, first 2 shown]
	v_cvt_f32_i32_dpp v63, v63 row_shl:1 row_mask:0xf bank_mask:0xf bound_ctrl:1
	v_cvt_f32_i32_dpp v64, v64 row_shl:2 row_mask:0xf bank_mask:0xf bound_ctrl:1
	;; [unrolled: 1-line block ×3, first 2 shown]
	v_cvt_i32_f32_e32 v68, v68
	v_add_f32_e32 v62, v62, v63
	v_add_f32_e32 v62, v62, v64
	;; [unrolled: 1-line block ×3, first 2 shown]
	v_cvt_i32_f32_e32 v63, v62
	v_cvt_i32_f32_e32 v69, v69
	v_cvt_f32_i32_dpp v67, v67 row_shl:1 row_mask:0xf bank_mask:0xf bound_ctrl:1
	v_cvt_f32_i32_dpp v68, v68 row_shl:2 row_mask:0xf bank_mask:0xf bound_ctrl:1
	;; [unrolled: 1-line block ×4, first 2 shown]
	v_add_f32_e32 v66, v66, v67
	v_add_f32_e32 v66, v66, v68
	;; [unrolled: 1-line block ×3, first 2 shown]
	v_cvt_i32_f32_e32 v63, v62
	v_add_f32_e32 v66, v66, v69
	v_cvt_i32_f32_e32 v59, v59
	v_cvt_i32_f32_e32 v67, v66
	v_cvt_f32_i32_dpp v63, v63 row_shl:8 row_mask:0xf bank_mask:0xf bound_ctrl:1
	v_cvt_i32_f32_e32 v60, v60
	v_cvt_i32_f32_e32 v61, v61
	v_cvt_f32_i32_dpp v59, v59 row_shl:1 row_mask:0xf bank_mask:0xf bound_ctrl:1
	v_cvt_f32_i32_dpp v67, v67 row_shl:4 row_mask:0xf bank_mask:0xf bound_ctrl:1
	v_add_f32_e32 v62, v62, v63
	v_cvt_f32_i32_dpp v60, v60 row_shl:2 row_mask:0xf bank_mask:0xf bound_ctrl:1
	v_cvt_f32_i32_dpp v61, v61 row_shl:3 row_mask:0xf bank_mask:0xf bound_ctrl:1
	v_cvt_i32_f32_e32 v62, v62
	v_cvt_i32_f32_e32 v55, v55
	v_add_f32_e32 v58, v58, v59
	v_cvt_i32_f32_e32 v56, v56
	v_add_f32_e32 v64, v66, v67
	v_add_f32_e32 v58, v58, v60
	v_cvt_i32_f32_e32 v57, v57
	v_cvt_i32_f32_e32 v65, v64
	v_add_f32_e32 v58, v58, v61
	v_cvt_f32_i32_dpp v61, v62 row_shr:15 row_mask:0xf bank_mask:0xf bound_ctrl:1
	v_cvt_f32_i32_dpp v55, v55 row_shl:1 row_mask:0xf bank_mask:0xf bound_ctrl:1
	v_cvt_f32_i32_dpp v56, v56 row_shl:2 row_mask:0xf bank_mask:0xf bound_ctrl:1
	;; [unrolled: 1-line block ×4, first 2 shown]
	v_cvt_i32_f32_e32 v59, v58
	v_cvt_i32_f32_e32 v62, v61
	v_add_f32_e32 v54, v54, v55
	v_add_f32_e32 v54, v54, v56
	;; [unrolled: 1-line block ×4, first 2 shown]
	v_cvt_f32_i32_dpp v59, v59 row_shl:4 row_mask:0xf bank_mask:0xf bound_ctrl:1
	v_cvt_f32_i32_dpp v62, v62 row_bcast:15 row_mask:0xf bank_mask:0xf bound_ctrl:1
	v_cvt_i32_f32_e32 v55, v57
	v_cvt_i32_f32_e32 v64, v64
	;; [unrolled: 1-line block ×4, first 2 shown]
	v_add_f32_e32 v59, v58, v59
	v_add_f32_e32 v54, v61, v62
	v_cvt_f32_i32_dpp v62, v55 row_shl:4 row_mask:0xf bank_mask:0xf bound_ctrl:1
	v_cvt_i32_f32_e32 v53, v53
	v_cvt_f32_i32_dpp v64, v64 row_shr:15 row_mask:0xf bank_mask:0xf bound_ctrl:1
	v_cvt_i32_f32_e32 v63, v59
	v_cvt_i32_f32_e32 v61, v54
	v_cvt_f32_i32_dpp v51, v51 row_shl:1 row_mask:0xf bank_mask:0xf bound_ctrl:1
	v_cvt_f32_i32_dpp v52, v52 row_shl:2 row_mask:0xf bank_mask:0xf bound_ctrl:1
	v_add_f32_e32 v57, v57, v62
	v_cvt_f32_i32_dpp v53, v53 row_shl:3 row_mask:0xf bank_mask:0xf bound_ctrl:1
	v_cvt_i32_f32_e32 v60, v64
	v_cvt_f32_i32_dpp v63, v63 row_shl:8 row_mask:0xf bank_mask:0xf bound_ctrl:1
	v_mov_b32_dpp v55, v61 row_bcast:31 row_mask:0xf bank_mask:0xf bound_ctrl:1
	v_cvt_i32_f32_e32 v61, v57
	v_add_f32_e32 v50, v50, v51
	v_add_f32_e32 v50, v50, v52
	;; [unrolled: 1-line block ×3, first 2 shown]
	v_cvt_f32_i32_dpp v60, v60 row_bcast:15 row_mask:0xf bank_mask:0xf bound_ctrl:1
	v_add_f32_e32 v59, v59, v63
	v_cvt_f32_i32_dpp v61, v61 row_shl:8 row_mask:0xf bank_mask:0xf bound_ctrl:1
	v_cvt_i32_f32_e32 v50, v51
	v_cvt_i32_f32_e32 v59, v59
	;; [unrolled: 1-line block ×4, first 2 shown]
	v_add_f32_e32 v58, v64, v60
	v_add_f32_e32 v53, v57, v61
	v_cvt_f32_i32_dpp v57, v50 row_shl:4 row_mask:0xf bank_mask:0xf bound_ctrl:1
	v_cvt_i32_f32_e32 v49, v49
	v_cvt_i32_f32_e32 v60, v58
	v_cvt_f32_i32_dpp v59, v59 row_shr:15 row_mask:0xf bank_mask:0xf bound_ctrl:1
	v_cvt_f32_i32_dpp v47, v47 row_shl:1 row_mask:0xf bank_mask:0xf bound_ctrl:1
	v_cvt_f32_i32_dpp v48, v48 row_shl:2 row_mask:0xf bank_mask:0xf bound_ctrl:1
	v_add_f32_e32 v51, v51, v57
	v_cvt_f32_i32_dpp v49, v49 row_shl:3 row_mask:0xf bank_mask:0xf bound_ctrl:1
	v_mov_b32_dpp v56, v60 row_bcast:31 row_mask:0xf bank_mask:0xf bound_ctrl:1
	v_cvt_i32_f32_e32 v60, v59
	v_cvt_i32_f32_e32 v57, v51
	v_add_f32_e32 v46, v46, v47
	v_add_f32_e32 v46, v46, v48
	;; [unrolled: 1-line block ×3, first 2 shown]
	v_cvt_f32_i32_dpp v52, v60 row_bcast:15 row_mask:0xf bank_mask:0xf bound_ctrl:1
	v_cvt_f32_i32_dpp v57, v57 row_shl:8 row_mask:0xf bank_mask:0xf bound_ctrl:1
	v_cvt_i32_f32_e32 v47, v46
	v_cvt_i32_f32_e32 v53, v53
	v_add_f32_e32 v50, v59, v52
	v_add_f32_e32 v49, v51, v57
	v_cvt_f32_i32_dpp v51, v47 row_shl:4 row_mask:0xf bank_mask:0xf bound_ctrl:1
	v_cvt_i32_f32_e32 v52, v50
	v_cvt_f32_i32_dpp v53, v53 row_shr:15 row_mask:0xf bank_mask:0xf bound_ctrl:1
	v_cvt_i32_f32_e32 v43, v43
	v_add_f32_e32 v51, v46, v51
	v_cvt_i32_f32_e32 v44, v44
	v_cvt_i32_f32_e32 v48, v53
	v_mov_b32_dpp v47, v52 row_bcast:31 row_mask:0xf bank_mask:0xf bound_ctrl:1
	v_cvt_i32_f32_e32 v52, v51
	v_cvt_i32_f32_e32 v45, v45
	v_cvt_f32_i32_dpp v43, v43 row_shl:1 row_mask:0xf bank_mask:0xf bound_ctrl:1
	v_cvt_f32_i32_dpp v44, v44 row_shl:2 row_mask:0xf bank_mask:0xf bound_ctrl:1
	v_cvt_f32_i32_dpp v48, v48 row_bcast:15 row_mask:0xf bank_mask:0xf bound_ctrl:1
	v_cvt_f32_i32_dpp v52, v52 row_shl:8 row_mask:0xf bank_mask:0xf bound_ctrl:1
	v_cvt_f32_i32_dpp v45, v45 row_shl:3 row_mask:0xf bank_mask:0xf bound_ctrl:1
	v_cvt_i32_f32_e32 v49, v49
	v_add_f32_e32 v42, v42, v43
	v_add_f32_e32 v42, v42, v44
	;; [unrolled: 1-line block ×5, first 2 shown]
	v_cvt_i32_f32_e32 v48, v46
	v_cvt_i32_f32_e32 v51, v51
	;; [unrolled: 1-line block ×3, first 2 shown]
	v_cvt_f32_i32_dpp v49, v49 row_shr:15 row_mask:0xf bank_mask:0xf bound_ctrl:1
	v_cvt_i32_f32_e32 v39, v39
	v_cvt_i32_f32_e32 v40, v40
	v_mov_b32_dpp v43, v48 row_bcast:31 row_mask:0xf bank_mask:0xf bound_ctrl:1
	v_cvt_f32_i32_dpp v48, v51 row_shr:15 row_mask:0xf bank_mask:0xf bound_ctrl:1
	v_cvt_f32_i32_dpp v51, v42 row_shl:4 row_mask:0xf bank_mask:0xf bound_ctrl:1
	v_cvt_i32_f32_e32 v41, v41
	v_cvt_i32_f32_e32 v53, v49
	v_cvt_f32_i32_dpp v39, v39 row_shl:1 row_mask:0xf bank_mask:0xf bound_ctrl:1
	v_cvt_f32_i32_dpp v40, v40 row_shl:2 row_mask:0xf bank_mask:0xf bound_ctrl:1
	v_add_f32_e32 v44, v44, v51
	v_cvt_f32_i32_dpp v41, v41 row_shl:3 row_mask:0xf bank_mask:0xf bound_ctrl:1
	v_cvt_f32_i32_dpp v45, v53 row_bcast:15 row_mask:0xf bank_mask:0xf bound_ctrl:1
	v_cvt_i32_f32_e32 v51, v44
	v_add_f32_e32 v38, v38, v39
	v_add_f32_e32 v38, v38, v40
	;; [unrolled: 1-line block ×3, first 2 shown]
	v_cvt_i32_f32_e32 v35, v35
	v_add_f32_e32 v42, v49, v45
	v_cvt_i32_f32_e32 v49, v48
	v_cvt_f32_i32_dpp v51, v51 row_shl:8 row_mask:0xf bank_mask:0xf bound_ctrl:1
	v_cvt_i32_f32_e32 v38, v40
	v_cvt_i32_f32_e32 v36, v36
	;; [unrolled: 1-line block ×3, first 2 shown]
	v_cvt_f32_i32_dpp v35, v35 row_shl:1 row_mask:0xf bank_mask:0xf bound_ctrl:1
	v_cvt_f32_i32_dpp v41, v49 row_bcast:15 row_mask:0xf bank_mask:0xf bound_ctrl:1
	v_add_f32_e32 v39, v44, v51
	v_cvt_f32_i32_dpp v49, v38 row_shl:4 row_mask:0xf bank_mask:0xf bound_ctrl:1
	v_cvt_f32_i32_dpp v36, v36 row_shl:2 row_mask:0xf bank_mask:0xf bound_ctrl:1
	v_cvt_i32_f32_e32 v44, v39
	v_cvt_f32_i32_dpp v37, v37 row_shl:3 row_mask:0xf bank_mask:0xf bound_ctrl:1
	v_add_f32_e32 v34, v34, v35
	v_add_f32_e32 v40, v40, v49
	;; [unrolled: 1-line block ×4, first 2 shown]
	v_cvt_f32_i32_dpp v41, v44 row_shr:15 row_mask:0xf bank_mask:0xf bound_ctrl:1
	v_cvt_i32_f32_e32 v44, v40
	v_add_f32_e32 v34, v34, v37
	v_cvt_i32_f32_e32 v35, v34
	v_cvt_i32_f32_e32 v36, v41
	v_cvt_f32_i32_dpp v44, v44 row_shl:8 row_mask:0xf bank_mask:0xf bound_ctrl:1
	v_cvt_i32_f32_e32 v31, v31
	v_cvt_f32_i32_dpp v35, v35 row_shl:4 row_mask:0xf bank_mask:0xf bound_ctrl:1
	v_cvt_i32_f32_e32 v32, v32
	v_add_f32_e32 v37, v40, v44
	v_cvt_i32_f32_e32 v37, v37
	v_cvt_f32_i32_dpp v36, v36 row_bcast:15 row_mask:0xf bank_mask:0xf bound_ctrl:1
	v_add_f32_e32 v44, v34, v35
	v_cvt_i32_f32_e32 v33, v33
	v_cvt_i32_f32_e32 v35, v44
	v_cvt_f32_i32_dpp v31, v31 row_shl:1 row_mask:0xf bank_mask:0xf bound_ctrl:1
	v_cvt_f32_i32_dpp v32, v32 row_shl:2 row_mask:0xf bank_mask:0xf bound_ctrl:1
	v_cvt_i32_f32_e32 v45, v42
	v_cvt_f32_i32_dpp v37, v37 row_shr:15 row_mask:0xf bank_mask:0xf bound_ctrl:1
	v_add_f32_e32 v34, v41, v36
	v_cvt_f32_i32_dpp v33, v33 row_shl:3 row_mask:0xf bank_mask:0xf bound_ctrl:1
	v_cvt_i32_f32_e32 v41, v34
	v_cvt_f32_i32_dpp v48, v35 row_shl:8 row_mask:0xf bank_mask:0xf bound_ctrl:1
	v_add_f32_e32 v30, v30, v31
	v_cvt_i32_f32_e32 v27, v27
	v_add_f32_e32 v30, v30, v32
	v_cvt_i32_f32_e32 v28, v28
	v_mov_b32_dpp v39, v45 row_bcast:31 row_mask:0xf bank_mask:0xf bound_ctrl:1
	v_cvt_i32_f32_e32 v40, v38
	v_cvt_i32_f32_e32 v45, v37
	v_add_f32_e32 v31, v30, v33
	v_cvt_i32_f32_e32 v29, v29
	v_mov_b32_dpp v35, v41 row_bcast:31 row_mask:0xf bank_mask:0xf bound_ctrl:1
	v_add_f32_e32 v41, v44, v48
	v_cvt_i32_f32_e32 v32, v31
	v_cvt_i32_f32_e32 v41, v41
	v_cvt_f32_i32_dpp v27, v27 row_shl:1 row_mask:0xf bank_mask:0xf bound_ctrl:1
	v_cvt_f32_i32_dpp v28, v28 row_shl:2 row_mask:0xf bank_mask:0xf bound_ctrl:1
	v_mov_b32_dpp v36, v40 row_bcast:31 row_mask:0xf bank_mask:0xf bound_ctrl:1
	v_cvt_f32_i32_dpp v40, v45 row_bcast:15 row_mask:0xf bank_mask:0xf bound_ctrl:1
	v_cvt_f32_i32_dpp v29, v29 row_shl:3 row_mask:0xf bank_mask:0xf bound_ctrl:1
	v_cvt_f32_i32_dpp v32, v32 row_shl:4 row_mask:0xf bank_mask:0xf bound_ctrl:1
	v_cvt_f32_i32_dpp v41, v41 row_shr:15 row_mask:0xf bank_mask:0xf bound_ctrl:1
	v_add_f32_e32 v26, v26, v27
	v_add_f32_e32 v26, v26, v28
	v_cvt_i32_f32_e32 v23, v23
	v_add_f32_e32 v30, v37, v40
	v_add_f32_e32 v28, v26, v29
	v_cvt_i32_f32_e32 v24, v24
	v_cvt_i32_f32_e32 v33, v30
	v_add_f32_e32 v31, v31, v32
	v_cvt_i32_f32_e32 v26, v28
	v_cvt_i32_f32_e32 v25, v25
	;; [unrolled: 1-line block ×4, first 2 shown]
	v_cvt_f32_i32_dpp v23, v23 row_shl:1 row_mask:0xf bank_mask:0xf bound_ctrl:1
	v_cvt_f32_i32_dpp v24, v24 row_shl:2 row_mask:0xf bank_mask:0xf bound_ctrl:1
	v_mov_b32_dpp v27, v33 row_bcast:31 row_mask:0xf bank_mask:0xf bound_ctrl:1
	v_cvt_f32_i32_dpp v33, v26 row_shl:4 row_mask:0xf bank_mask:0xf bound_ctrl:1
	v_cvt_f32_i32_dpp v25, v25 row_shl:3 row_mask:0xf bank_mask:0xf bound_ctrl:1
	v_cvt_f32_i32_dpp v29, v37 row_bcast:15 row_mask:0xf bank_mask:0xf bound_ctrl:1
	v_cvt_f32_i32_dpp v32, v32 row_shl:8 row_mask:0xf bank_mask:0xf bound_ctrl:1
	v_add_f32_e32 v22, v22, v23
	v_add_f32_e32 v22, v22, v24
	;; [unrolled: 1-line block ×6, first 2 shown]
	v_cvt_i32_f32_e32 v31, v28
	v_cvt_i32_f32_e32 v23, v22
	;; [unrolled: 1-line block ×4, first 2 shown]
	v_cvt_f32_i32_dpp v31, v31 row_shl:8 row_mask:0xf bank_mask:0xf bound_ctrl:1
	v_cvt_f32_i32_dpp v23, v23 row_shl:4 row_mask:0xf bank_mask:0xf bound_ctrl:1
	v_cvt_f32_i32_dpp v24, v29 row_shr:15 row_mask:0xf bank_mask:0xf bound_ctrl:1
	v_cvt_i32_f32_e32 v7, v7
	v_add_f32_e32 v25, v28, v31
	v_add_f32_e32 v31, v22, v23
	v_cvt_i32_f32_e32 v25, v25
	v_cvt_i32_f32_e32 v29, v24
	;; [unrolled: 1-line block ×10, first 2 shown]
	v_cvt_f32_i32_dpp v25, v25 row_shr:15 row_mask:0xf bank_mask:0xf bound_ctrl:1
	v_cvt_f32_i32_dpp v29, v29 row_bcast:15 row_mask:0xf bank_mask:0xf bound_ctrl:1
	v_cvt_f32_i32_dpp v32, v22 row_shl:8 row_mask:0xf bank_mask:0xf bound_ctrl:1
	v_cvt_f32_i32_dpp v11, v11 row_shl:1 row_mask:0xf bank_mask:0xf bound_ctrl:1
	;; [unrolled: 1-line block ×6, first 2 shown]
	v_cvt_i32_f32_e32 v9, v9
	v_cvt_f32_i32_dpp v20, v20 row_shl:2 row_mask:0xf bank_mask:0xf bound_ctrl:1
	v_cvt_f32_i32_dpp v13, v13 row_shl:3 row_mask:0xf bank_mask:0xf bound_ctrl:1
	;; [unrolled: 1-line block ×3, first 2 shown]
	v_mov_b32_dpp v23, v28 row_bcast:31 row_mask:0xf bank_mask:0xf bound_ctrl:1
	v_cvt_i32_f32_e32 v28, v25
	v_add_f32_e32 v22, v24, v29
	v_add_f32_e32 v29, v31, v32
	;; [unrolled: 1-line block ×4, first 2 shown]
	v_cvt_i32_f32_e32 v29, v29
	v_add_f32_e32 v18, v18, v19
	v_add_f32_e32 v10, v10, v12
	;; [unrolled: 1-line block ×3, first 2 shown]
	v_cvt_f32_i32_dpp v7, v9 row_shl:3 row_mask:0xf bank_mask:0xf bound_ctrl:1
	v_cvt_i32_f32_e32 v8, v15
	v_add_f32_e32 v18, v18, v20
	v_add_f32_e32 v10, v10, v13
	v_cvt_i32_f32_e32 v9, v16
	v_add_f32_e32 v20, v18, v21
	v_cvt_i32_f32_e32 v11, v10
	v_cvt_i32_f32_e32 v15, v17
	v_cvt_f32_i32_dpp v28, v28 row_bcast:15 row_mask:0xf bank_mask:0xf bound_ctrl:1
	v_cvt_i32_f32_e32 v18, v20
	v_cvt_f32_i32_dpp v29, v29 row_shr:15 row_mask:0xf bank_mask:0xf bound_ctrl:1
	v_add_f32_e32 v6, v6, v7
	v_cvt_f32_i32_dpp v7, v8 row_shl:1 row_mask:0xf bank_mask:0xf bound_ctrl:1
	v_cvt_f32_i32_dpp v8, v9 row_shl:2 row_mask:0xf bank_mask:0xf bound_ctrl:1
	;; [unrolled: 1-line block ×4, first 2 shown]
	v_add_f32_e32 v19, v25, v28
	v_cvt_f32_i32_dpp v25, v18 row_shl:4 row_mask:0xf bank_mask:0xf bound_ctrl:1
	v_cvt_i32_f32_e32 v24, v22
	v_cvt_i32_f32_e32 v31, v29
	v_add_f32_e32 v7, v14, v7
	v_add_f32_e32 v7, v7, v8
	;; [unrolled: 1-line block ×5, first 2 shown]
	v_cvt_i32_f32_e32 v11, v10
	v_cvt_i32_f32_e32 v15, v6
	;; [unrolled: 1-line block ×3, first 2 shown]
	v_mov_b32_dpp v21, v24 row_bcast:31 row_mask:0xf bank_mask:0xf bound_ctrl:1
	v_cvt_f32_i32_dpp v24, v31 row_bcast:15 row_mask:0xf bank_mask:0xf bound_ctrl:1
	v_cvt_i32_f32_e32 v20, v25
	v_cvt_f32_i32_dpp v9, v11 row_shl:8 row_mask:0xf bank_mask:0xf bound_ctrl:1
	v_cvt_f32_i32_dpp v11, v15 row_shl:4 row_mask:0xf bank_mask:0xf bound_ctrl:1
	;; [unrolled: 1-line block ×3, first 2 shown]
	v_add_f32_e32 v18, v29, v24
	v_cvt_f32_i32_dpp v29, v20 row_shl:8 row_mask:0xf bank_mask:0xf bound_ctrl:1
	v_add_f32_e32 v6, v6, v11
	v_add_f32_e32 v7, v7, v8
	v_add_f32_e32 v9, v10, v9
	v_add_f32_e32 v13, v25, v29
	v_cvt_i32_f32_e32 v10, v6
	v_cvt_i32_f32_e32 v8, v7
	;; [unrolled: 1-line block ×4, first 2 shown]
	v_cvt_f32_i32_dpp v10, v10 row_shl:8 row_mask:0xf bank_mask:0xf bound_ctrl:1
	v_cvt_f32_i32_dpp v8, v8 row_shl:8 row_mask:0xf bank_mask:0xf bound_ctrl:1
	v_cvt_f32_i32_dpp v13, v13 row_shr:15 row_mask:0xf bank_mask:0xf bound_ctrl:1
	v_cvt_f32_i32_dpp v9, v9 row_shr:15 row_mask:0xf bank_mask:0xf bound_ctrl:1
	v_add_f32_e32 v6, v6, v10
	v_add_f32_e32 v7, v7, v8
	v_cvt_i32_f32_e32 v11, v13
	v_cvt_i32_f32_e32 v6, v6
	;; [unrolled: 1-line block ×4, first 2 shown]
	v_cvt_f32_i32_dpp v8, v11 row_bcast:15 row_mask:0xf bank_mask:0xf bound_ctrl:1
	v_cvt_f32_i32_dpp v6, v6 row_shr:15 row_mask:0xf bank_mask:0xf bound_ctrl:1
	v_cvt_f32_i32_dpp v7, v7 row_shr:15 row_mask:0xf bank_mask:0xf bound_ctrl:1
	v_cvt_f32_i32_dpp v10, v10 row_bcast:15 row_mask:0xf bank_mask:0xf bound_ctrl:1
	v_add_f32_e32 v13, v13, v8
	v_cvt_i32_f32_e32 v8, v6
	v_cvt_i32_f32_e32 v11, v7
	v_add_f32_e32 v10, v9, v10
	v_cvt_i32_f32_e32 v28, v19
	v_cvt_f32_i32_dpp v8, v8 row_bcast:15 row_mask:0xf bank_mask:0xf bound_ctrl:1
	v_cvt_f32_i32_dpp v9, v11 row_bcast:15 row_mask:0xf bank_mask:0xf bound_ctrl:1
	v_cvt_i32_f32_e32 v24, v18
	v_cvt_i32_f32_e32 v14, v13
	v_add_f32_e32 v8, v6, v8
	v_add_f32_e32 v6, v7, v9
	v_cvt_i32_f32_e32 v11, v10
	v_cvt_i32_f32_e32 v15, v8
	;; [unrolled: 1-line block ×3, first 2 shown]
	v_mov_b32_dpp v20, v28 row_bcast:31 row_mask:0xf bank_mask:0xf bound_ctrl:1
	v_mov_b32_dpp v12, v24 row_bcast:31 row_mask:0xf bank_mask:0xf bound_ctrl:1
	v_mov_b32_dpp v14, v14 row_bcast:31 row_mask:0xf bank_mask:0xf bound_ctrl:1
	v_mov_b32_dpp v11, v11 row_bcast:31 row_mask:0xf bank_mask:0xf bound_ctrl:1
	v_mov_b32_dpp v9, v15 row_bcast:31 row_mask:0xf bank_mask:0xf bound_ctrl:1
	v_mov_b32_dpp v7, v7 row_bcast:31 row_mask:0xf bank_mask:0xf bound_ctrl:1
	s_and_saveexec_b64 s[34:35], s[0:1]
	s_cbranch_execz .LBB261_157
; %bb.59:                               ;   in Loop: Header=BB261_19 Depth=1
	s_andn2_b64 vcc, exec, s[28:29]
	v_mov_b32_e32 v48, 0
	v_mov_b32_e32 v45, 0
	;; [unrolled: 1-line block ×16, first 2 shown]
	s_cbranch_vccnz .LBB261_61
; %bb.60:                               ;   in Loop: Header=BB261_19 Depth=1
	v_mul_hi_u32 v15, v134, v1
	v_mul_lo_u32 v15, v15, s22
	v_sub_u32_e32 v15, v134, v15
	v_subrev_u32_e32 v16, s22, v15
	v_cmp_le_u32_e32 vcc, s22, v15
	v_mov_b32_e32 v25, v137
	v_mov_b32_e32 v33, v137
	v_cndmask_b32_e32 v15, v15, v16, vcc
	v_subrev_u32_e32 v16, s22, v15
	v_cmp_le_u32_e32 vcc, s22, v15
	v_mov_b32_e32 v53, v137
	v_mov_b32_e32 v63, v137
	v_cndmask_b32_e32 v136, v15, v16, vcc
	v_mul_hi_u32 v15, v144, v1
	v_mul_lo_u32 v15, v15, s22
	v_sub_u32_e32 v15, v144, v15
	v_subrev_u32_e32 v24, s22, v15
	v_cmp_le_u32_e32 vcc, s22, v15
	v_add_u32_e32 v32, s43, v136
	v_lshl_add_u64 v[66:67], v[32:33], 1, s[16:17]
	v_cndmask_b32_e32 v15, v15, v24, vcc
	v_subrev_u32_e32 v24, s22, v15
	v_cmp_le_u32_e32 vcc, s22, v15
	v_lshl_add_u64 v[16:17], v[136:137], 1, s[16:17]
	s_nop 0
	v_cndmask_b32_e32 v24, v15, v24, vcc
	v_mul_hi_u32 v15, v142, v1
	v_mul_lo_u32 v15, v15, s22
	v_sub_u32_e32 v15, v142, v15
	v_lshl_add_u64 v[28:29], v[24:25], 1, s[16:17]
	v_subrev_u32_e32 v25, s22, v15
	v_cmp_le_u32_e32 vcc, s22, v15
	v_add_u32_e32 v32, s43, v24
	v_lshl_add_u64 v[68:69], v[32:33], 1, s[16:17]
	v_cndmask_b32_e32 v15, v15, v25, vcc
	v_subrev_u32_e32 v25, s22, v15
	v_cmp_le_u32_e32 vcc, s22, v15
	s_nop 1
	v_cndmask_b32_e32 v52, v15, v25, vcc
	v_mul_hi_u32 v15, v140, v1
	v_mul_lo_u32 v15, v15, s22
	v_sub_u32_e32 v15, v140, v15
	v_subrev_u32_e32 v25, s22, v15
	v_cmp_le_u32_e32 vcc, s22, v15
	v_add_u32_e32 v32, s43, v52
	v_lshl_add_u64 v[70:71], v[32:33], 1, s[16:17]
	v_cndmask_b32_e32 v15, v15, v25, vcc
	v_subrev_u32_e32 v25, s22, v15
	v_cmp_le_u32_e32 vcc, s22, v15
	v_lshl_add_u64 v[60:61], v[52:53], 1, s[16:17]
	s_nop 0
	v_cndmask_b32_e32 v62, v15, v25, vcc
	v_add_u32_e32 v32, s43, v62
	v_lshl_add_u64 v[64:65], v[62:63], 1, s[16:17]
	v_lshl_add_u64 v[72:73], v[32:33], 1, s[16:17]
	global_load_ushort v48, v[16:17], off
	global_load_ushort v45, v[28:29], off
	;; [unrolled: 1-line block ×8, first 2 shown]
	v_add_u32_e32 v16, s44, v136
	v_mov_b32_e32 v17, v137
	v_add_u32_e32 v136, s45, v136
	v_lshl_add_u64 v[60:61], v[16:17], 1, s[16:17]
	v_add_u32_e32 v16, s44, v24
	v_lshl_add_u64 v[70:71], v[136:137], 1, s[16:17]
	;; [unrolled: 2-line block ×7, first 2 shown]
	v_lshl_add_u64 v[62:63], v[136:137], 1, s[16:17]
	global_load_ushort v31, v[60:61], off
	global_load_ushort v29, v[64:65], off
	;; [unrolled: 1-line block ×8, first 2 shown]
.LBB261_61:                             ;   in Loop: Header=BB261_19 Depth=1
	v_cmp_ne_u32_e32 vcc, 0, v2
	s_and_saveexec_b64 s[6:7], vcc
	s_cbranch_execnz .LBB261_77
; %bb.62:                               ;   in Loop: Header=BB261_19 Depth=1
	s_or_b64 exec, exec, s[6:7]
	v_cmp_ne_u32_e64 s[4:5], 0, v3
	s_and_saveexec_b64 s[8:9], s[4:5]
	s_cbranch_execnz .LBB261_82
.LBB261_63:                             ;   in Loop: Header=BB261_19 Depth=1
	s_or_b64 exec, exec, s[8:9]
	v_cmp_ne_u32_e64 s[6:7], 0, v4
	s_and_saveexec_b64 s[10:11], s[6:7]
	s_cbranch_execnz .LBB261_87
.LBB261_64:                             ;   in Loop: Header=BB261_19 Depth=1
	s_or_b64 exec, exec, s[10:11]
	v_cmp_ne_u32_e64 s[8:9], 0, v5
	s_and_saveexec_b64 s[36:37], s[8:9]
	s_cbranch_execnz .LBB261_92
.LBB261_65:                             ;   in Loop: Header=BB261_19 Depth=1
	s_or_b64 exec, exec, s[36:37]
	v_add_u32_e32 v136, s15, v134
	s_and_saveexec_b64 s[36:37], vcc
	s_cbranch_execnz .LBB261_97
.LBB261_66:                             ;   in Loop: Header=BB261_19 Depth=1
	s_or_b64 exec, exec, s[36:37]
	s_and_saveexec_b64 s[36:37], s[4:5]
	s_cbranch_execnz .LBB261_102
.LBB261_67:                             ;   in Loop: Header=BB261_19 Depth=1
	s_or_b64 exec, exec, s[36:37]
	s_and_saveexec_b64 s[36:37], s[6:7]
	s_cbranch_execnz .LBB261_107
.LBB261_68:                             ;   in Loop: Header=BB261_19 Depth=1
	s_or_b64 exec, exec, s[36:37]
	s_and_saveexec_b64 s[36:37], s[8:9]
	s_cbranch_execnz .LBB261_112
.LBB261_69:                             ;   in Loop: Header=BB261_19 Depth=1
	s_or_b64 exec, exec, s[36:37]
	v_add_u32_e32 v136, s15, v136
	s_and_saveexec_b64 s[36:37], vcc
	s_cbranch_execnz .LBB261_117
.LBB261_70:                             ;   in Loop: Header=BB261_19 Depth=1
	s_or_b64 exec, exec, s[36:37]
	s_and_saveexec_b64 s[36:37], s[4:5]
	s_cbranch_execnz .LBB261_122
.LBB261_71:                             ;   in Loop: Header=BB261_19 Depth=1
	s_or_b64 exec, exec, s[36:37]
	s_and_saveexec_b64 s[36:37], s[6:7]
	s_cbranch_execnz .LBB261_127
.LBB261_72:                             ;   in Loop: Header=BB261_19 Depth=1
	s_or_b64 exec, exec, s[36:37]
	s_and_saveexec_b64 s[36:37], s[8:9]
	s_cbranch_execnz .LBB261_132
.LBB261_73:                             ;   in Loop: Header=BB261_19 Depth=1
	s_or_b64 exec, exec, s[36:37]
	v_add_u32_e32 v136, s15, v136
	s_and_saveexec_b64 s[10:11], vcc
	s_cbranch_execnz .LBB261_137
.LBB261_74:                             ;   in Loop: Header=BB261_19 Depth=1
	s_or_b64 exec, exec, s[10:11]
	s_and_saveexec_b64 s[10:11], s[4:5]
	s_cbranch_execnz .LBB261_142
.LBB261_75:                             ;   in Loop: Header=BB261_19 Depth=1
	s_or_b64 exec, exec, s[10:11]
	s_and_saveexec_b64 s[4:5], s[6:7]
	s_cbranch_execnz .LBB261_147
.LBB261_76:                             ;   in Loop: Header=BB261_19 Depth=1
	s_or_b64 exec, exec, s[4:5]
	s_and_b64 exec, exec, s[8:9]
	s_cbranch_execnz .LBB261_152
	s_branch .LBB261_157
.LBB261_77:                             ;   in Loop: Header=BB261_19 Depth=1
	v_cvt_f32_i32_e32 v49, v56
	s_waitcnt vmcnt(15)
	v_lshlrev_b32_e32 v48, 16, v48
	v_add_f32_e32 v49, v58, v49
	v_add_f32_e32 v49, v49, v48
	v_and_b32_e32 v48, 0x7f800000, v49
	v_cmp_ne_u32_e64 s[4:5], s48, v48
                                        ; implicit-def: $vgpr48
	s_and_saveexec_b64 s[8:9], s[4:5]
	s_xor_b64 s[4:5], exec, s[8:9]
; %bb.78:                               ;   in Loop: Header=BB261_19 Depth=1
	v_bfe_u32 v48, v49, 16, 1
	v_add3_u32 v48, v49, v48, s14
                                        ; implicit-def: $vgpr49
; %bb.79:                               ;   in Loop: Header=BB261_19 Depth=1
	s_andn2_saveexec_b64 s[8:9], s[4:5]
; %bb.80:                               ;   in Loop: Header=BB261_19 Depth=1
	v_or_b32_e32 v48, 0x10000, v49
	v_cmp_eq_u32_sdwa s[4:5], v49, v137 src0_sel:WORD_0 src1_sel:DWORD
	s_nop 1
	v_cndmask_b32_e64 v48, v48, v49, s[4:5]
; %bb.81:                               ;   in Loop: Header=BB261_19 Depth=1
	s_or_b64 exec, exec, s[8:9]
	v_mov_b32_e32 v135, v137
	v_lshl_add_u64 v[52:53], v[134:135], 1, s[18:19]
	global_store_short_d16_hi v[52:53], v48, off
	s_or_b64 exec, exec, s[6:7]
	v_cmp_ne_u32_e64 s[4:5], 0, v3
	s_and_saveexec_b64 s[8:9], s[4:5]
	s_cbranch_execz .LBB261_63
.LBB261_82:                             ;   in Loop: Header=BB261_19 Depth=1
	s_waitcnt vmcnt(15)
	v_cvt_f32_i32_e32 v48, v55
	s_waitcnt vmcnt(14)
	v_lshlrev_b32_e32 v45, 16, v45
	v_add_f32_e32 v48, v54, v48
	v_add_f32_e32 v48, v48, v45
	v_and_b32_e32 v45, 0x7f800000, v48
	v_cmp_ne_u32_e64 s[6:7], s48, v45
                                        ; implicit-def: $vgpr45
	s_and_saveexec_b64 s[10:11], s[6:7]
	s_xor_b64 s[6:7], exec, s[10:11]
; %bb.83:                               ;   in Loop: Header=BB261_19 Depth=1
	v_bfe_u32 v45, v48, 16, 1
	v_add3_u32 v45, v48, v45, s14
                                        ; implicit-def: $vgpr48
; %bb.84:                               ;   in Loop: Header=BB261_19 Depth=1
	s_andn2_saveexec_b64 s[10:11], s[6:7]
; %bb.85:                               ;   in Loop: Header=BB261_19 Depth=1
	v_or_b32_e32 v45, 0x10000, v48
	v_cmp_eq_u32_sdwa s[6:7], v48, v137 src0_sel:WORD_0 src1_sel:DWORD
	s_nop 1
	v_cndmask_b32_e64 v45, v45, v48, s[6:7]
; %bb.86:                               ;   in Loop: Header=BB261_19 Depth=1
	s_or_b64 exec, exec, s[10:11]
	v_mov_b32_e32 v145, v137
	v_lshl_add_u64 v[48:49], v[144:145], 1, s[18:19]
	global_store_short_d16_hi v[48:49], v45, off
	s_or_b64 exec, exec, s[8:9]
	v_cmp_ne_u32_e64 s[6:7], 0, v4
	s_and_saveexec_b64 s[10:11], s[6:7]
	s_cbranch_execz .LBB261_64
.LBB261_87:                             ;   in Loop: Header=BB261_19 Depth=1
	s_waitcnt vmcnt(14)
	v_cvt_f32_i32_e32 v45, v47
	s_waitcnt vmcnt(13)
	v_lshlrev_b32_e32 v44, 16, v44
	v_add_f32_e32 v45, v50, v45
	v_add_f32_e32 v45, v45, v44
	v_and_b32_e32 v44, 0x7f800000, v45
	v_cmp_ne_u32_e64 s[8:9], s48, v44
                                        ; implicit-def: $vgpr44
	s_and_saveexec_b64 s[36:37], s[8:9]
	s_xor_b64 s[8:9], exec, s[36:37]
; %bb.88:                               ;   in Loop: Header=BB261_19 Depth=1
	v_bfe_u32 v44, v45, 16, 1
	v_add3_u32 v44, v45, v44, s14
                                        ; implicit-def: $vgpr45
; %bb.89:                               ;   in Loop: Header=BB261_19 Depth=1
	s_andn2_saveexec_b64 s[36:37], s[8:9]
; %bb.90:                               ;   in Loop: Header=BB261_19 Depth=1
	v_or_b32_e32 v44, 0x10000, v45
	v_cmp_eq_u32_sdwa s[8:9], v45, v137 src0_sel:WORD_0 src1_sel:DWORD
	s_nop 1
	v_cndmask_b32_e64 v44, v44, v45, s[8:9]
; %bb.91:                               ;   in Loop: Header=BB261_19 Depth=1
	s_or_b64 exec, exec, s[36:37]
	v_mov_b32_e32 v143, v137
	v_lshl_add_u64 v[48:49], v[142:143], 1, s[18:19]
	global_store_short_d16_hi v[48:49], v44, off
	s_or_b64 exec, exec, s[10:11]
	v_cmp_ne_u32_e64 s[8:9], 0, v5
	s_and_saveexec_b64 s[36:37], s[8:9]
	s_cbranch_execz .LBB261_65
.LBB261_92:                             ;   in Loop: Header=BB261_19 Depth=1
	v_cvt_f32_i32_e32 v43, v43
	s_waitcnt vmcnt(12)
	v_lshlrev_b32_e32 v41, 16, v41
	v_add_f32_e32 v43, v46, v43
	v_add_f32_e32 v43, v43, v41
	v_and_b32_e32 v41, 0x7f800000, v43
	v_cmp_ne_u32_e64 s[10:11], s48, v41
                                        ; implicit-def: $vgpr41
	s_and_saveexec_b64 s[38:39], s[10:11]
	s_xor_b64 s[10:11], exec, s[38:39]
; %bb.93:                               ;   in Loop: Header=BB261_19 Depth=1
	v_bfe_u32 v41, v43, 16, 1
	v_add3_u32 v41, v43, v41, s14
                                        ; implicit-def: $vgpr43
; %bb.94:                               ;   in Loop: Header=BB261_19 Depth=1
	s_andn2_saveexec_b64 s[38:39], s[10:11]
; %bb.95:                               ;   in Loop: Header=BB261_19 Depth=1
	v_or_b32_e32 v41, 0x10000, v43
	v_cmp_eq_u32_sdwa s[10:11], v43, v137 src0_sel:WORD_0 src1_sel:DWORD
	s_nop 1
	v_cndmask_b32_e64 v41, v41, v43, s[10:11]
; %bb.96:                               ;   in Loop: Header=BB261_19 Depth=1
	s_or_b64 exec, exec, s[38:39]
	v_mov_b32_e32 v141, v137
	v_lshl_add_u64 v[44:45], v[140:141], 1, s[18:19]
	global_store_short_d16_hi v[44:45], v41, off
	s_or_b64 exec, exec, s[36:37]
	v_add_u32_e32 v136, s15, v134
	s_and_saveexec_b64 s[36:37], vcc
	s_cbranch_execz .LBB261_66
.LBB261_97:                             ;   in Loop: Header=BB261_19 Depth=1
	v_cvt_f32_i32_e32 v39, v39
	s_waitcnt vmcnt(11)
	v_lshlrev_b32_e32 v40, 16, v40
	v_add_f32_e32 v39, v42, v39
	v_add_f32_e32 v40, v39, v40
	v_and_b32_e32 v39, 0x7f800000, v40
	v_cmp_ne_u32_e64 s[10:11], s48, v39
                                        ; implicit-def: $vgpr39
	s_and_saveexec_b64 s[38:39], s[10:11]
	s_xor_b64 s[10:11], exec, s[38:39]
; %bb.98:                               ;   in Loop: Header=BB261_19 Depth=1
	v_bfe_u32 v39, v40, 16, 1
	v_add3_u32 v39, v40, v39, s14
                                        ; implicit-def: $vgpr40
; %bb.99:                               ;   in Loop: Header=BB261_19 Depth=1
	s_andn2_saveexec_b64 s[38:39], s[10:11]
; %bb.100:                              ;   in Loop: Header=BB261_19 Depth=1
	v_or_b32_e32 v39, 0x10000, v40
	v_cmp_eq_u32_sdwa s[10:11], v40, v137 src0_sel:WORD_0 src1_sel:DWORD
	s_nop 1
	v_cndmask_b32_e64 v39, v39, v40, s[10:11]
; %bb.101:                              ;   in Loop: Header=BB261_19 Depth=1
	s_or_b64 exec, exec, s[38:39]
	v_lshl_add_u64 v[40:41], v[136:137], 1, s[18:19]
	global_store_short_d16_hi v[40:41], v39, off
	s_or_b64 exec, exec, s[36:37]
	s_and_saveexec_b64 s[36:37], s[4:5]
	s_cbranch_execz .LBB261_67
.LBB261_102:                            ;   in Loop: Header=BB261_19 Depth=1
	v_cvt_f32_i32_e32 v36, v36
	s_waitcnt vmcnt(10)
	v_lshlrev_b32_e32 v37, 16, v37
	v_add_f32_e32 v36, v38, v36
	v_add_f32_e32 v37, v36, v37
	v_and_b32_e32 v36, 0x7f800000, v37
	v_cmp_ne_u32_e64 s[10:11], s48, v36
                                        ; implicit-def: $vgpr36
	s_and_saveexec_b64 s[38:39], s[10:11]
	s_xor_b64 s[10:11], exec, s[38:39]
; %bb.103:                              ;   in Loop: Header=BB261_19 Depth=1
	v_bfe_u32 v36, v37, 16, 1
	v_add3_u32 v36, v37, v36, s14
                                        ; implicit-def: $vgpr37
; %bb.104:                              ;   in Loop: Header=BB261_19 Depth=1
	s_andn2_saveexec_b64 s[38:39], s[10:11]
; %bb.105:                              ;   in Loop: Header=BB261_19 Depth=1
	v_or_b32_e32 v36, 0x10000, v37
	v_cmp_eq_u32_sdwa s[10:11], v37, v137 src0_sel:WORD_0 src1_sel:DWORD
	s_nop 1
	v_cndmask_b32_e64 v36, v36, v37, s[10:11]
; %bb.106:                              ;   in Loop: Header=BB261_19 Depth=1
	s_or_b64 exec, exec, s[38:39]
	v_add_u32_e32 v38, 1, v136
	v_mov_b32_e32 v39, v137
	v_lshl_add_u64 v[38:39], v[38:39], 1, s[18:19]
	global_store_short_d16_hi v[38:39], v36, off
	s_or_b64 exec, exec, s[36:37]
	s_and_saveexec_b64 s[36:37], s[6:7]
	s_cbranch_execz .LBB261_68
.LBB261_107:                            ;   in Loop: Header=BB261_19 Depth=1
	v_cvt_f32_i32_e32 v35, v35
	s_waitcnt vmcnt(9)
	v_lshlrev_b32_e32 v33, 16, v33
	v_add_f32_e32 v34, v34, v35
	v_add_f32_e32 v34, v34, v33
	v_and_b32_e32 v33, 0x7f800000, v34
	v_cmp_ne_u32_e64 s[10:11], s48, v33
                                        ; implicit-def: $vgpr33
	s_and_saveexec_b64 s[38:39], s[10:11]
	s_xor_b64 s[10:11], exec, s[38:39]
; %bb.108:                              ;   in Loop: Header=BB261_19 Depth=1
	v_bfe_u32 v33, v34, 16, 1
	v_add3_u32 v33, v34, v33, s14
                                        ; implicit-def: $vgpr34
; %bb.109:                              ;   in Loop: Header=BB261_19 Depth=1
	s_andn2_saveexec_b64 s[38:39], s[10:11]
; %bb.110:                              ;   in Loop: Header=BB261_19 Depth=1
	v_or_b32_e32 v33, 0x10000, v34
	v_cmp_eq_u32_sdwa s[10:11], v34, v137 src0_sel:WORD_0 src1_sel:DWORD
	s_nop 1
	v_cndmask_b32_e64 v33, v33, v34, s[10:11]
; %bb.111:                              ;   in Loop: Header=BB261_19 Depth=1
	s_or_b64 exec, exec, s[38:39]
	v_add_u32_e32 v34, 2, v136
	v_mov_b32_e32 v35, v137
	v_lshl_add_u64 v[34:35], v[34:35], 1, s[18:19]
	global_store_short_d16_hi v[34:35], v33, off
	s_or_b64 exec, exec, s[36:37]
	s_and_saveexec_b64 s[36:37], s[8:9]
	s_cbranch_execz .LBB261_69
.LBB261_112:                            ;   in Loop: Header=BB261_19 Depth=1
	v_cvt_f32_i32_e32 v27, v27
	v_add_f32_e32 v27, v30, v27
	s_waitcnt vmcnt(8)
	v_lshlrev_b32_e32 v30, 16, v32
	v_add_f32_e32 v30, v27, v30
	v_and_b32_e32 v27, 0x7f800000, v30
	v_cmp_ne_u32_e64 s[10:11], s48, v27
                                        ; implicit-def: $vgpr27
	s_and_saveexec_b64 s[38:39], s[10:11]
	s_xor_b64 s[10:11], exec, s[38:39]
; %bb.113:                              ;   in Loop: Header=BB261_19 Depth=1
	v_bfe_u32 v27, v30, 16, 1
	v_add3_u32 v27, v30, v27, s14
                                        ; implicit-def: $vgpr30
; %bb.114:                              ;   in Loop: Header=BB261_19 Depth=1
	s_andn2_saveexec_b64 s[38:39], s[10:11]
; %bb.115:                              ;   in Loop: Header=BB261_19 Depth=1
	v_or_b32_e32 v27, 0x10000, v30
	v_cmp_eq_u32_sdwa s[10:11], v30, v137 src0_sel:WORD_0 src1_sel:DWORD
	s_nop 1
	v_cndmask_b32_e64 v27, v27, v30, s[10:11]
; %bb.116:                              ;   in Loop: Header=BB261_19 Depth=1
	s_or_b64 exec, exec, s[38:39]
	v_add_u32_e32 v32, 3, v136
	v_mov_b32_e32 v33, v137
	v_lshl_add_u64 v[32:33], v[32:33], 1, s[18:19]
	global_store_short_d16_hi v[32:33], v27, off
	s_or_b64 exec, exec, s[36:37]
	v_add_u32_e32 v136, s15, v136
	s_and_saveexec_b64 s[36:37], vcc
	s_cbranch_execz .LBB261_70
.LBB261_117:                            ;   in Loop: Header=BB261_19 Depth=1
	v_cvt_f32_i32_e32 v23, v23
	v_add_f32_e32 v23, v26, v23
	s_waitcnt vmcnt(7)
	v_lshlrev_b32_e32 v26, 16, v31
	v_add_f32_e32 v26, v23, v26
	v_and_b32_e32 v23, 0x7f800000, v26
	v_cmp_ne_u32_e64 s[10:11], s48, v23
                                        ; implicit-def: $vgpr23
	s_and_saveexec_b64 s[38:39], s[10:11]
	s_xor_b64 s[10:11], exec, s[38:39]
; %bb.118:                              ;   in Loop: Header=BB261_19 Depth=1
	v_bfe_u32 v23, v26, 16, 1
	v_add3_u32 v23, v26, v23, s14
                                        ; implicit-def: $vgpr26
; %bb.119:                              ;   in Loop: Header=BB261_19 Depth=1
	s_andn2_saveexec_b64 s[38:39], s[10:11]
; %bb.120:                              ;   in Loop: Header=BB261_19 Depth=1
	v_or_b32_e32 v23, 0x10000, v26
	v_cmp_eq_u32_sdwa s[10:11], v26, v137 src0_sel:WORD_0 src1_sel:DWORD
	s_nop 1
	v_cndmask_b32_e64 v23, v23, v26, s[10:11]
; %bb.121:                              ;   in Loop: Header=BB261_19 Depth=1
	s_or_b64 exec, exec, s[38:39]
	v_lshl_add_u64 v[26:27], v[136:137], 1, s[18:19]
	global_store_short_d16_hi v[26:27], v23, off
	s_or_b64 exec, exec, s[36:37]
	s_and_saveexec_b64 s[36:37], s[4:5]
	s_cbranch_execz .LBB261_71
.LBB261_122:                            ;   in Loop: Header=BB261_19 Depth=1
	v_cvt_f32_i32_e32 v21, v21
	v_add_f32_e32 v21, v22, v21
	s_waitcnt vmcnt(6)
	v_lshlrev_b32_e32 v22, 16, v29
	v_add_f32_e32 v22, v21, v22
	v_and_b32_e32 v21, 0x7f800000, v22
	v_cmp_ne_u32_e64 s[10:11], s48, v21
                                        ; implicit-def: $vgpr21
	s_and_saveexec_b64 s[38:39], s[10:11]
	s_xor_b64 s[10:11], exec, s[38:39]
; %bb.123:                              ;   in Loop: Header=BB261_19 Depth=1
	v_bfe_u32 v21, v22, 16, 1
	v_add3_u32 v21, v22, v21, s14
                                        ; implicit-def: $vgpr22
; %bb.124:                              ;   in Loop: Header=BB261_19 Depth=1
	s_andn2_saveexec_b64 s[38:39], s[10:11]
; %bb.125:                              ;   in Loop: Header=BB261_19 Depth=1
	v_or_b32_e32 v21, 0x10000, v22
	v_cmp_eq_u32_sdwa s[10:11], v22, v137 src0_sel:WORD_0 src1_sel:DWORD
	s_nop 1
	v_cndmask_b32_e64 v21, v21, v22, s[10:11]
; %bb.126:                              ;   in Loop: Header=BB261_19 Depth=1
	s_or_b64 exec, exec, s[38:39]
	v_add_u32_e32 v22, 1, v136
	v_mov_b32_e32 v23, v137
	v_lshl_add_u64 v[22:23], v[22:23], 1, s[18:19]
	global_store_short_d16_hi v[22:23], v21, off
	s_or_b64 exec, exec, s[36:37]
	s_and_saveexec_b64 s[36:37], s[6:7]
	s_cbranch_execz .LBB261_72
.LBB261_127:                            ;   in Loop: Header=BB261_19 Depth=1
	v_cvt_f32_i32_e32 v20, v20
	v_add_f32_e32 v19, v19, v20
	s_waitcnt vmcnt(5)
	v_lshlrev_b32_e32 v20, 16, v28
	v_add_f32_e32 v20, v19, v20
	v_and_b32_e32 v19, 0x7f800000, v20
	v_cmp_ne_u32_e64 s[10:11], s48, v19
                                        ; implicit-def: $vgpr19
	s_and_saveexec_b64 s[38:39], s[10:11]
	s_xor_b64 s[10:11], exec, s[38:39]
; %bb.128:                              ;   in Loop: Header=BB261_19 Depth=1
	v_bfe_u32 v19, v20, 16, 1
	v_add3_u32 v19, v20, v19, s14
                                        ; implicit-def: $vgpr20
; %bb.129:                              ;   in Loop: Header=BB261_19 Depth=1
	s_andn2_saveexec_b64 s[38:39], s[10:11]
; %bb.130:                              ;   in Loop: Header=BB261_19 Depth=1
	v_or_b32_e32 v19, 0x10000, v20
	v_cmp_eq_u32_sdwa s[10:11], v20, v137 src0_sel:WORD_0 src1_sel:DWORD
	s_nop 1
	v_cndmask_b32_e64 v19, v19, v20, s[10:11]
; %bb.131:                              ;   in Loop: Header=BB261_19 Depth=1
	s_or_b64 exec, exec, s[38:39]
	v_add_u32_e32 v20, 2, v136
	v_mov_b32_e32 v21, v137
	v_lshl_add_u64 v[20:21], v[20:21], 1, s[18:19]
	global_store_short_d16_hi v[20:21], v19, off
	s_or_b64 exec, exec, s[36:37]
	s_and_saveexec_b64 s[36:37], s[8:9]
	s_cbranch_execz .LBB261_73
.LBB261_132:                            ;   in Loop: Header=BB261_19 Depth=1
	v_cvt_f32_i32_e32 v12, v12
	v_add_f32_e32 v12, v18, v12
	s_waitcnt vmcnt(4)
	v_lshlrev_b32_e32 v18, 16, v25
	v_add_f32_e32 v18, v12, v18
	v_and_b32_e32 v12, 0x7f800000, v18
	v_cmp_ne_u32_e64 s[10:11], s48, v12
                                        ; implicit-def: $vgpr12
	s_and_saveexec_b64 s[38:39], s[10:11]
	s_xor_b64 s[10:11], exec, s[38:39]
; %bb.133:                              ;   in Loop: Header=BB261_19 Depth=1
	v_bfe_u32 v12, v18, 16, 1
	v_add3_u32 v12, v18, v12, s14
                                        ; implicit-def: $vgpr18
; %bb.134:                              ;   in Loop: Header=BB261_19 Depth=1
	s_andn2_saveexec_b64 s[38:39], s[10:11]
; %bb.135:                              ;   in Loop: Header=BB261_19 Depth=1
	v_or_b32_e32 v12, 0x10000, v18
	v_cmp_eq_u32_sdwa s[10:11], v18, v137 src0_sel:WORD_0 src1_sel:DWORD
	s_nop 1
	v_cndmask_b32_e64 v12, v12, v18, s[10:11]
; %bb.136:                              ;   in Loop: Header=BB261_19 Depth=1
	s_or_b64 exec, exec, s[38:39]
	v_add_u32_e32 v18, 3, v136
	v_mov_b32_e32 v19, v137
	v_lshl_add_u64 v[18:19], v[18:19], 1, s[18:19]
	global_store_short_d16_hi v[18:19], v12, off
	s_or_b64 exec, exec, s[36:37]
	v_add_u32_e32 v136, s15, v136
	s_and_saveexec_b64 s[10:11], vcc
	s_cbranch_execz .LBB261_74
.LBB261_137:                            ;   in Loop: Header=BB261_19 Depth=1
	v_cvt_f32_i32_e32 v12, v14
	v_add_f32_e32 v12, v13, v12
	s_waitcnt vmcnt(3)
	v_lshlrev_b32_e32 v13, 16, v24
	v_add_f32_e32 v13, v12, v13
	v_and_b32_e32 v12, 0x7f800000, v13
	v_cmp_ne_u32_e32 vcc, s48, v12
                                        ; implicit-def: $vgpr12
	s_and_saveexec_b64 s[36:37], vcc
	s_xor_b64 s[36:37], exec, s[36:37]
; %bb.138:                              ;   in Loop: Header=BB261_19 Depth=1
	v_bfe_u32 v12, v13, 16, 1
	v_add3_u32 v12, v13, v12, s14
                                        ; implicit-def: $vgpr13
; %bb.139:                              ;   in Loop: Header=BB261_19 Depth=1
	s_andn2_saveexec_b64 s[36:37], s[36:37]
; %bb.140:                              ;   in Loop: Header=BB261_19 Depth=1
	v_or_b32_e32 v12, 0x10000, v13
	v_cmp_eq_u32_sdwa vcc, v13, v137 src0_sel:WORD_0 src1_sel:DWORD
	s_nop 1
	v_cndmask_b32_e32 v12, v12, v13, vcc
; %bb.141:                              ;   in Loop: Header=BB261_19 Depth=1
	s_or_b64 exec, exec, s[36:37]
	v_lshl_add_u64 v[18:19], v[136:137], 1, s[18:19]
	global_store_short_d16_hi v[18:19], v12, off
	s_or_b64 exec, exec, s[10:11]
	s_and_saveexec_b64 s[10:11], s[4:5]
	s_cbranch_execz .LBB261_75
.LBB261_142:                            ;   in Loop: Header=BB261_19 Depth=1
	v_cvt_f32_i32_e32 v11, v11
	v_add_f32_e32 v10, v10, v11
	s_waitcnt vmcnt(2)
	v_lshlrev_b32_e32 v11, 16, v17
	v_add_f32_e32 v11, v10, v11
	v_and_b32_e32 v10, 0x7f800000, v11
	v_cmp_ne_u32_e32 vcc, s48, v10
                                        ; implicit-def: $vgpr10
	s_and_saveexec_b64 s[4:5], vcc
	s_xor_b64 s[4:5], exec, s[4:5]
; %bb.143:                              ;   in Loop: Header=BB261_19 Depth=1
	v_bfe_u32 v10, v11, 16, 1
	v_add3_u32 v10, v11, v10, s14
                                        ; implicit-def: $vgpr11
; %bb.144:                              ;   in Loop: Header=BB261_19 Depth=1
	s_andn2_saveexec_b64 s[4:5], s[4:5]
; %bb.145:                              ;   in Loop: Header=BB261_19 Depth=1
	v_or_b32_e32 v10, 0x10000, v11
	v_cmp_eq_u32_sdwa vcc, v11, v137 src0_sel:WORD_0 src1_sel:DWORD
	s_nop 1
	v_cndmask_b32_e32 v10, v10, v11, vcc
; %bb.146:                              ;   in Loop: Header=BB261_19 Depth=1
	s_or_b64 exec, exec, s[4:5]
	v_add_u32_e32 v12, 1, v136
	v_mov_b32_e32 v13, v137
	v_lshl_add_u64 v[12:13], v[12:13], 1, s[18:19]
	global_store_short_d16_hi v[12:13], v10, off
	s_or_b64 exec, exec, s[10:11]
	s_and_saveexec_b64 s[4:5], s[6:7]
	s_cbranch_execz .LBB261_76
.LBB261_147:                            ;   in Loop: Header=BB261_19 Depth=1
	v_cvt_f32_i32_e32 v9, v9
	v_add_f32_e32 v8, v8, v9
	s_waitcnt vmcnt(1)
	v_lshlrev_b32_e32 v9, 16, v16
	v_add_f32_e32 v9, v8, v9
	v_and_b32_e32 v8, 0x7f800000, v9
	v_cmp_ne_u32_e32 vcc, s48, v8
                                        ; implicit-def: $vgpr8
	s_and_saveexec_b64 s[6:7], vcc
	s_xor_b64 s[6:7], exec, s[6:7]
; %bb.148:                              ;   in Loop: Header=BB261_19 Depth=1
	v_bfe_u32 v8, v9, 16, 1
	v_add3_u32 v8, v9, v8, s14
                                        ; implicit-def: $vgpr9
; %bb.149:                              ;   in Loop: Header=BB261_19 Depth=1
	s_andn2_saveexec_b64 s[6:7], s[6:7]
; %bb.150:                              ;   in Loop: Header=BB261_19 Depth=1
	v_or_b32_e32 v8, 0x10000, v9
	v_cmp_eq_u32_sdwa vcc, v9, v137 src0_sel:WORD_0 src1_sel:DWORD
	s_nop 1
	v_cndmask_b32_e32 v8, v8, v9, vcc
; %bb.151:                              ;   in Loop: Header=BB261_19 Depth=1
	s_or_b64 exec, exec, s[6:7]
	v_add_u32_e32 v10, 2, v136
	v_mov_b32_e32 v11, v137
	v_lshl_add_u64 v[10:11], v[10:11], 1, s[18:19]
	global_store_short_d16_hi v[10:11], v8, off
	s_or_b64 exec, exec, s[4:5]
	s_and_b64 exec, exec, s[8:9]
	s_cbranch_execz .LBB261_157
.LBB261_152:                            ;   in Loop: Header=BB261_19 Depth=1
	v_cvt_f32_i32_e32 v7, v7
	v_add_f32_e32 v6, v6, v7
	s_waitcnt vmcnt(0)
	v_lshlrev_b32_e32 v7, 16, v15
	v_add_f32_e32 v7, v6, v7
	v_and_b32_e32 v6, 0x7f800000, v7
	v_cmp_ne_u32_e32 vcc, s48, v6
                                        ; implicit-def: $vgpr6
	s_and_saveexec_b64 s[4:5], vcc
	s_xor_b64 s[4:5], exec, s[4:5]
; %bb.153:                              ;   in Loop: Header=BB261_19 Depth=1
	v_bfe_u32 v6, v7, 16, 1
	v_add3_u32 v6, v7, v6, s14
                                        ; implicit-def: $vgpr7
; %bb.154:                              ;   in Loop: Header=BB261_19 Depth=1
	s_andn2_saveexec_b64 s[4:5], s[4:5]
; %bb.155:                              ;   in Loop: Header=BB261_19 Depth=1
	v_or_b32_e32 v6, 0x10000, v7
	v_cmp_eq_u32_sdwa vcc, v7, v137 src0_sel:WORD_0 src1_sel:DWORD
	s_nop 1
	v_cndmask_b32_e32 v6, v6, v7, vcc
; %bb.156:                              ;   in Loop: Header=BB261_19 Depth=1
	s_or_b64 exec, exec, s[4:5]
	v_add_u32_e32 v136, 3, v136
	v_lshl_add_u64 v[8:9], v[136:137], 1, s[18:19]
	global_store_short_d16_hi v[8:9], v6, off
.LBB261_157:                            ;   in Loop: Header=BB261_19 Depth=1
	s_or_b64 exec, exec, s[34:35]
	v_add_u32_e32 v134, s42, v134
	v_add_u32_e32 v6, 4, v134
	v_cmp_gt_u32_e32 vcc, s15, v134
	v_cmp_le_u32_e64 s[4:5], s15, v6
	s_and_b64 s[4:5], vcc, s[4:5]
	s_and_saveexec_b64 s[6:7], s[4:5]
	s_cbranch_execz .LBB261_18
; %bb.158:                              ;   in Loop: Header=BB261_19 Depth=1
	v_cmp_ne_u32_e32 vcc, s23, v134
	s_and_saveexec_b64 s[8:9], vcc
	s_cbranch_execz .LBB261_17
; %bb.159:                              ;   in Loop: Header=BB261_19 Depth=1
	v_subrev_u32_e32 v6, s23, v134
	v_cmp_lt_u32_e32 vcc, 1, v6
	s_mov_b64 s[10:11], 0
	s_mov_b64 s[34:35], 0
	v_cndmask_b32_e32 v6, 1, v6, vcc
.LBB261_160:                            ;   Parent Loop BB261_19 Depth=1
                                        ; =>  This Inner Loop Header: Depth=2
	s_cmp_lg_u32 s34, 3
	s_cselect_b64 vcc, -1, 0
	s_cmp_lg_u32 s34, 2
	v_cndmask_b32_e32 v5, 0, v5, vcc
	s_cselect_b64 vcc, -1, 0
	s_cmp_lg_u32 s34, 1
	v_cndmask_b32_e32 v4, 0, v4, vcc
	s_cselect_b64 vcc, -1, 0
	s_cmp_lg_u32 s34, 0
	v_cndmask_b32_e32 v3, 0, v3, vcc
	s_cselect_b64 vcc, -1, 0
	s_add_u32 s34, s34, 1
	s_addc_u32 s35, s35, 0
	v_cmp_eq_u32_e64 s[4:5], s34, v6
	s_or_b64 s[10:11], s[4:5], s[10:11]
	v_cndmask_b32_e32 v2, 0, v2, vcc
	s_andn2_b64 exec, exec, s[10:11]
	s_cbranch_execnz .LBB261_160
; %bb.161:                              ;   in Loop: Header=BB261_19 Depth=1
	s_or_b64 exec, exec, s[10:11]
	s_branch .LBB261_17
.LBB261_162:
	s_endpgm
	.section	.rodata,"a",@progbits
	.p2align	6, 0x0
	.amdhsa_kernel _Z12wvSplitK_hf_I14__hip_bfloat16Li32ELi4ELi16ELi8ELi2ELi4EEviiiiiiPKT_S3_S3_PS1_ii
		.amdhsa_group_segment_fixed_size 65536
		.amdhsa_private_segment_fixed_size 0
		.amdhsa_kernarg_size 64
		.amdhsa_user_sgpr_count 2
		.amdhsa_user_sgpr_dispatch_ptr 0
		.amdhsa_user_sgpr_queue_ptr 0
		.amdhsa_user_sgpr_kernarg_segment_ptr 1
		.amdhsa_user_sgpr_dispatch_id 0
		.amdhsa_user_sgpr_kernarg_preload_length 0
		.amdhsa_user_sgpr_kernarg_preload_offset 0
		.amdhsa_user_sgpr_private_segment_size 0
		.amdhsa_uses_dynamic_stack 0
		.amdhsa_enable_private_segment 0
		.amdhsa_system_sgpr_workgroup_id_x 1
		.amdhsa_system_sgpr_workgroup_id_y 0
		.amdhsa_system_sgpr_workgroup_id_z 0
		.amdhsa_system_sgpr_workgroup_info 0
		.amdhsa_system_vgpr_workitem_id 1
		.amdhsa_next_free_vgpr 162
		.amdhsa_next_free_sgpr 49
		.amdhsa_accum_offset 164
		.amdhsa_reserve_vcc 1
		.amdhsa_float_round_mode_32 0
		.amdhsa_float_round_mode_16_64 0
		.amdhsa_float_denorm_mode_32 3
		.amdhsa_float_denorm_mode_16_64 3
		.amdhsa_dx10_clamp 1
		.amdhsa_ieee_mode 1
		.amdhsa_fp16_overflow 0
		.amdhsa_tg_split 0
		.amdhsa_exception_fp_ieee_invalid_op 0
		.amdhsa_exception_fp_denorm_src 0
		.amdhsa_exception_fp_ieee_div_zero 0
		.amdhsa_exception_fp_ieee_overflow 0
		.amdhsa_exception_fp_ieee_underflow 0
		.amdhsa_exception_fp_ieee_inexact 0
		.amdhsa_exception_int_div_zero 0
	.end_amdhsa_kernel
	.section	.text._Z12wvSplitK_hf_I14__hip_bfloat16Li32ELi4ELi16ELi8ELi2ELi4EEviiiiiiPKT_S3_S3_PS1_ii,"axG",@progbits,_Z12wvSplitK_hf_I14__hip_bfloat16Li32ELi4ELi16ELi8ELi2ELi4EEviiiiiiPKT_S3_S3_PS1_ii,comdat
.Lfunc_end261:
	.size	_Z12wvSplitK_hf_I14__hip_bfloat16Li32ELi4ELi16ELi8ELi2ELi4EEviiiiiiPKT_S3_S3_PS1_ii, .Lfunc_end261-_Z12wvSplitK_hf_I14__hip_bfloat16Li32ELi4ELi16ELi8ELi2ELi4EEviiiiiiPKT_S3_S3_PS1_ii
                                        ; -- End function
	.section	.AMDGPU.csdata,"",@progbits
; Kernel info:
; codeLenInByte = 8156
; NumSgprs: 55
; NumVgprs: 162
; NumAgprs: 0
; TotalNumVgprs: 162
; ScratchSize: 0
; MemoryBound: 1
; FloatMode: 240
; IeeeMode: 1
; LDSByteSize: 65536 bytes/workgroup (compile time only)
; SGPRBlocks: 6
; VGPRBlocks: 20
; NumSGPRsForWavesPerEU: 55
; NumVGPRsForWavesPerEU: 162
; AccumOffset: 164
; Occupancy: 2
; WaveLimiterHint : 0
; COMPUTE_PGM_RSRC2:SCRATCH_EN: 0
; COMPUTE_PGM_RSRC2:USER_SGPR: 2
; COMPUTE_PGM_RSRC2:TRAP_HANDLER: 0
; COMPUTE_PGM_RSRC2:TGID_X_EN: 1
; COMPUTE_PGM_RSRC2:TGID_Y_EN: 0
; COMPUTE_PGM_RSRC2:TGID_Z_EN: 0
; COMPUTE_PGM_RSRC2:TIDIG_COMP_CNT: 1
; COMPUTE_PGM_RSRC3_GFX90A:ACCUM_OFFSET: 40
; COMPUTE_PGM_RSRC3_GFX90A:TG_SPLIT: 0
	.section	.text._Z16wvSplitK_hf_big_I14__hip_bfloat16Li32ELi4ELi16ELi8ELi2ELi4EEviiiiiiPKT_S3_S3_PS1_ii,"axG",@progbits,_Z16wvSplitK_hf_big_I14__hip_bfloat16Li32ELi4ELi16ELi8ELi2ELi4EEviiiiiiPKT_S3_S3_PS1_ii,comdat
	.protected	_Z16wvSplitK_hf_big_I14__hip_bfloat16Li32ELi4ELi16ELi8ELi2ELi4EEviiiiiiPKT_S3_S3_PS1_ii ; -- Begin function _Z16wvSplitK_hf_big_I14__hip_bfloat16Li32ELi4ELi16ELi8ELi2ELi4EEviiiiiiPKT_S3_S3_PS1_ii
	.globl	_Z16wvSplitK_hf_big_I14__hip_bfloat16Li32ELi4ELi16ELi8ELi2ELi4EEviiiiiiPKT_S3_S3_PS1_ii
	.p2align	8
	.type	_Z16wvSplitK_hf_big_I14__hip_bfloat16Li32ELi4ELi16ELi8ELi2ELi4EEviiiiiiPKT_S3_S3_PS1_ii,@function
_Z16wvSplitK_hf_big_I14__hip_bfloat16Li32ELi4ELi16ELi8ELi2ELi4EEviiiiiiPKT_S3_S3_PS1_ii: ; @_Z16wvSplitK_hf_big_I14__hip_bfloat16Li32ELi4ELi16ELi8ELi2ELi4EEviiiiiiPKT_S3_S3_PS1_ii
; %bb.0:
	s_load_dwordx2 s[8:9], s[0:1], 0x38
	v_bfe_u32 v7, v0, 10, 10
	s_waitcnt lgkmcnt(0)
	v_cmp_gt_u32_e32 vcc, s8, v7
	s_and_saveexec_b64 s[4:5], vcc
	s_cbranch_execz .LBB262_136
; %bb.1:
	s_load_dwordx4 s[24:27], s[0:1], 0x0
	s_mul_i32 s2, s2, s8
	v_add_lshl_u32 v134, s2, v7, 2
	s_mov_b32 s4, 1
	v_add_u32_e32 v1, 4, v134
	s_mov_b32 s5, s4
	s_waitcnt lgkmcnt(0)
	v_cmp_gt_u32_e32 vcc, s27, v134
	v_cmp_le_u32_e64 s[2:3], s27, v1
	s_mov_b32 s6, s4
	s_mov_b32 s7, s4
	v_mov_b64_e32 v[2:3], s[4:5]
	s_and_b64 s[10:11], vcc, s[2:3]
	v_mov_b64_e32 v[4:5], s[6:7]
	s_and_saveexec_b64 s[2:3], s[10:11]
	s_cbranch_execz .LBB262_7
; %bb.2:
	s_add_i32 s16, s27, -4
	v_mov_b64_e32 v[2:3], s[4:5]
	v_cmp_ne_u32_e32 vcc, s16, v134
	v_mov_b64_e32 v[4:5], s[6:7]
	s_and_saveexec_b64 s[10:11], vcc
	s_cbranch_execz .LBB262_6
; %bb.3:
	v_subrev_u32_e32 v1, s16, v134
	v_cmp_lt_u32_e32 vcc, 1, v1
	s_mov_b64 s[12:13], 0
	s_mov_b64 s[14:15], 0
	v_cndmask_b32_e32 v6, 1, v1, vcc
	s_mov_b32 s5, s4
	s_mov_b32 s6, s4
	;; [unrolled: 1-line block ×3, first 2 shown]
.LBB262_4:                              ; =>This Inner Loop Header: Depth=1
	s_cmp_lg_u32 s14, 3
	s_cselect_b32 s7, s7, 0
	s_cmp_lg_u32 s14, 2
	s_cselect_b32 s6, s6, 0
	;; [unrolled: 2-line block ×4, first 2 shown]
	s_add_u32 s14, s14, 1
	s_addc_u32 s15, s15, 0
	v_cmp_eq_u32_e32 vcc, s14, v6
	v_mov_b64_e32 v[2:3], s[4:5]
	s_or_b64 s[12:13], vcc, s[12:13]
	v_mov_b64_e32 v[4:5], s[6:7]
	s_andn2_b64 exec, exec, s[12:13]
	s_cbranch_execnz .LBB262_4
; %bb.5:
	s_or_b64 exec, exec, s[12:13]
	v_mov_b32_e32 v134, s16
.LBB262_6:
	s_or_b64 exec, exec, s[10:11]
.LBB262_7:
	s_or_b64 exec, exec, s[2:3]
	s_lshl_b32 s2, s8, 2
	s_abs_i32 s3, s2
	v_cvt_f32_u32_e32 v1, s3
	s_sub_i32 s6, 0, s3
	s_abs_i32 s5, s27
	s_ashr_i32 s4, s27, 31
	v_rcp_iflag_f32_e32 v1, v1
	s_nop 0
	v_mul_f32_e32 v1, 0x4f7ffffe, v1
	v_cvt_u32_f32_e32 v1, v1
	s_nop 0
	v_readfirstlane_b32 s7, v1
	s_mul_i32 s6, s6, s7
	s_mul_hi_u32 s6, s7, s6
	s_add_i32 s7, s7, s6
	s_mul_hi_u32 s6, s5, s7
	s_mul_i32 s6, s6, s3
	s_sub_i32 s5, s5, s6
	s_sub_i32 s6, s5, s3
	s_cmp_ge_u32 s5, s3
	s_cselect_b32 s5, s6, s5
	s_sub_i32 s6, s5, s3
	s_cmp_ge_u32 s5, s3
	s_cselect_b32 s3, s6, s5
	s_xor_b32 s3, s3, s4
	s_sub_i32 s3, s3, s4
	s_add_i32 s2, s2, s27
	s_sub_i32 s2, s2, s3
	s_cmp_eq_u32 s3, 0
	s_cselect_b32 s33, s27, s2
	v_cmp_gt_u32_e32 vcc, s33, v134
	s_and_b64 exec, exec, vcc
	s_cbranch_execz .LBB262_136
; %bb.8:
	s_load_dwordx8 s[16:23], s[0:1], 0x10
	s_min_u32 s44, s26, 0x2000
	s_cmp_lg_u32 s24, 0
	s_load_dwordx2 s[14:15], s[0:1], 0x30
	s_cselect_b64 s[2:3], -1, 0
	s_cmp_lg_u32 s26, 0
	s_mul_i32 s0, s9, s8
	s_cselect_b64 s[4:5], -1, 0
	s_lshl_b32 s45, s8, 8
	s_add_i32 s46, s24, -8
	s_add_i32 s47, s27, -1
	s_lshl_b32 s48, s0, 2
	s_waitcnt lgkmcnt(0)
	s_cmp_lg_u64 s[22:23], 0
	s_cselect_b64 s[30:31], -1, 0
	s_abs_i32 s6, s17
	v_cvt_f32_u32_e32 v1, s16
	v_cvt_f32_u32_e32 v6, s6
	s_sub_i32 s7, 0, s16
	s_add_i32 s17, s27, -4
	v_rcp_iflag_f32_e32 v1, v1
	v_rcp_iflag_f32_e32 v6, v6
	v_and_b32_e32 v0, 0x3ff, v0
	v_lshlrev_b32_e32 v137, 3, v0
	v_mul_f32_e32 v1, 0x4f7ffffe, v1
	v_mul_f32_e32 v6, 0x4f7ffffe, v6
	v_cvt_u32_f32_e32 v1, v1
	v_cvt_u32_f32_e32 v6, v6
	v_cmp_eq_u32_e64 s[0:1], 31, v0
	v_lshlrev_b32_e32 v0, 4, v0
	v_mul_lo_u32 v8, s7, v1
	s_sub_i32 s7, 0, s6
	v_readfirstlane_b32 s9, v6
	s_mul_i32 s7, s7, s9
	s_mul_hi_u32 s7, s9, s7
	s_add_i32 s9, s9, s7
	s_sub_i32 s7, 1, s6
	s_cmp_lt_u32 s6, 2
	s_cselect_b32 s7, s7, 1
	s_sub_i32 s10, s7, s6
	s_cmp_ge_u32 s7, s6
	s_cselect_b32 s49, s10, s7
	s_lshr_b32 s7, s9, 31
	s_mul_i32 s7, s7, s6
	s_sub_i32 s7, 2, s7
	s_sub_i32 s10, s7, s6
	s_cmp_ge_u32 s7, s6
	s_cselect_b32 s7, s10, s7
	s_sub_i32 s10, s7, s6
	s_cmp_ge_u32 s7, s6
	s_cselect_b32 s50, s10, s7
	s_mul_hi_u32 s7, s9, 3
	s_mul_i32 s7, s7, s6
	s_sub_i32 s7, 3, s7
	s_sub_i32 s9, s7, s6
	s_cmp_ge_u32 s7, s6
	s_cselect_b32 s7, s9, s7
	s_sub_i32 s9, s7, s6
	s_cmp_ge_u32 s7, s6
	v_lshl_add_u32 v149, v7, 9, v0
	v_lshl_add_u32 v136, v7, 8, v137
	v_cndmask_b32_e64 v0, 0, 1, s[2:3]
	v_mul_hi_u32 v8, v1, v8
	s_cselect_b32 s51, s9, s7
	s_add_u32 s34, s14, 2
	v_mad_u64_u32 v[138:139], s[6:7], s26, 3, v[136:137]
	v_cmp_ne_u32_e64 s[2:3], 1, v0
	v_cndmask_b32_e64 v0, 0, 1, s[4:5]
	s_mov_b64 s[28:29], 0
	v_add_u32_e32 v148, v1, v8
	v_mov_b32_e32 v1, 0
	s_mul_i32 s49, s49, s16
	s_mul_i32 s50, s50, s16
	;; [unrolled: 1-line block ×3, first 2 shown]
	s_addc_u32 s35, s15, 0
	s_mul_i32 s52, s44, 6
	s_lshl_b32 s53, s8, 9
	s_lshl_b32 s54, s44, 2
	;; [unrolled: 1-line block ×3, first 2 shown]
	v_lshl_add_u32 v150, s26, 1, v136
	v_add_u32_e32 v139, s26, v136
	v_cmp_ne_u32_e64 s[4:5], 1, v0
	s_mov_b32 s56, 0x7f800000
	s_movk_i32 s57, 0x7fff
	s_branch .LBB262_12
.LBB262_9:                              ;   in Loop: Header=BB262_12 Depth=1
	s_or_b64 exec, exec, s[10:11]
	v_mov_b32_e32 v134, s17
.LBB262_10:                             ;   in Loop: Header=BB262_12 Depth=1
	s_or_b64 exec, exec, s[8:9]
.LBB262_11:                             ;   in Loop: Header=BB262_12 Depth=1
	s_or_b64 exec, exec, s[36:37]
	v_cmp_le_u32_e32 vcc, s33, v134
	s_or_b64 s[28:29], vcc, s[28:29]
	s_andn2_b64 exec, exec, s[28:29]
	s_cbranch_execz .LBB262_136
.LBB262_12:                             ; =>This Loop Header: Depth=1
                                        ;     Child Loop BB262_17 Depth 2
                                        ;       Child Loop BB262_22 Depth 3
                                        ;     Child Loop BB262_134 Depth 2
	s_and_b64 vcc, exec, s[2:3]
	v_mov_b32_e32 v9, v1
	v_mov_b32_e32 v8, v1
	s_waitcnt vmcnt(12)
	v_mov_b32_e32 v7, v1
	v_mov_b32_e32 v6, v1
	;; [unrolled: 1-line block ×6, first 2 shown]
	s_waitcnt vmcnt(0)
	v_mov_b32_e32 v17, v1
	v_mov_b32_e32 v16, v1
	;; [unrolled: 1-line block ×56, first 2 shown]
	s_cbranch_vccnz .LBB262_29
; %bb.13:                               ;   in Loop: Header=BB262_12 Depth=1
	v_add_u32_e32 v6, 1, v134
	v_add_u32_e32 v8, 2, v134
	;; [unrolled: 1-line block ×3, first 2 shown]
	v_min_u32_e32 v0, s47, v134
	v_min_u32_e32 v6, s47, v6
	;; [unrolled: 1-line block ×4, first 2 shown]
	v_mul_lo_u32 v0, v0, s25
	v_mul_lo_u32 v6, v6, s25
	v_mov_b32_e32 v7, v1
	v_mul_lo_u32 v8, v8, s25
	v_mov_b32_e32 v9, v1
	;; [unrolled: 2-line block ×3, first 2 shown]
	v_mov_b32_e32 v38, 0
	v_cmp_gt_u32_e64 s[6:7], s27, v134
	s_mov_b32 s36, 0
	v_lshlrev_b64 v[140:141], 1, v[0:1]
	v_lshlrev_b64 v[142:143], 1, v[6:7]
	;; [unrolled: 1-line block ×4, first 2 shown]
	s_mov_b32 s37, 0
	v_mov_b32_e32 v39, v38
	v_mov_b32_e32 v40, v38
	v_mov_b32_e32 v41, v38
	v_mov_b32_e32 v42, v38
	v_mov_b32_e32 v43, v38
	v_mov_b32_e32 v44, v38
	v_mov_b32_e32 v45, v38
	v_mov_b32_e32 v46, v38
	v_mov_b32_e32 v47, v38
	v_mov_b32_e32 v48, v38
	v_mov_b32_e32 v49, v38
	v_mov_b32_e32 v50, v38
	v_mov_b32_e32 v51, v38
	v_mov_b32_e32 v52, v38
	v_mov_b32_e32 v53, v38
	v_mov_b32_e32 v54, v38
	v_mov_b32_e32 v55, v38
	v_mov_b32_e32 v56, v38
	v_mov_b32_e32 v57, v38
	v_mov_b32_e32 v58, v38
	v_mov_b32_e32 v59, v38
	v_mov_b32_e32 v60, v38
	v_mov_b32_e32 v61, v38
	v_mov_b32_e32 v62, v38
	v_mov_b32_e32 v63, v38
	v_mov_b32_e32 v64, v38
	v_mov_b32_e32 v65, v38
	v_mov_b32_e32 v66, v38
	v_mov_b32_e32 v67, v38
	v_mov_b32_e32 v68, v38
	v_mov_b32_e32 v69, v38
	v_mov_b32_e32 v34, v38
	v_mov_b32_e32 v35, v38
	v_mov_b32_e32 v36, v38
	v_mov_b32_e32 v37, v38
	v_mov_b32_e32 v30, v38
	v_mov_b32_e32 v31, v38
	v_mov_b32_e32 v32, v38
	v_mov_b32_e32 v33, v38
	v_mov_b32_e32 v26, v38
	v_mov_b32_e32 v27, v38
	v_mov_b32_e32 v28, v38
	v_mov_b32_e32 v29, v38
	v_mov_b32_e32 v22, v38
	v_mov_b32_e32 v23, v38
	v_mov_b32_e32 v24, v38
	v_mov_b32_e32 v25, v38
	v_mov_b32_e32 v18, v38
	v_mov_b32_e32 v19, v38
	v_mov_b32_e32 v20, v38
	v_mov_b32_e32 v21, v38
	v_mov_b32_e32 v14, v38
	v_mov_b32_e32 v15, v38
	v_mov_b32_e32 v16, v38
	v_mov_b32_e32 v17, v38
	v_mov_b32_e32 v10, v38
	v_mov_b32_e32 v11, v38
	v_mov_b32_e32 v12, v38
	v_mov_b32_e32 v13, v38
	v_mov_b32_e32 v6, v38
	v_mov_b32_e32 v7, v38
	v_mov_b32_e32 v8, v38
	v_mov_b32_e32 v9, v38
	s_branch .LBB262_17
.LBB262_14:                             ;   in Loop: Header=BB262_17 Depth=2
	s_or_b64 exec, exec, s[12:13]
.LBB262_15:                             ;   in Loop: Header=BB262_17 Depth=2
	s_or_b64 exec, exec, s[10:11]
	s_waitcnt vmcnt(7) lgkmcnt(3)
	v_mfma_f32_4x4x4_16b_bf16 v[66:69], v[130:131], v[90:91], v[66:69]
	s_waitcnt vmcnt(6)
	v_mfma_f32_4x4x4_16b_bf16 v[62:65], v[130:131], v[86:87], v[62:65]
	s_waitcnt vmcnt(5)
	;; [unrolled: 2-line block ×3, first 2 shown]
	v_mfma_f32_4x4x4_16b_bf16 v[54:57], v[130:131], v[94:95], v[54:57]
	s_waitcnt lgkmcnt(2)
	v_mfma_f32_4x4x4_16b_bf16 v[50:53], v[126:127], v[90:91], v[50:53]
	v_mfma_f32_4x4x4_16b_bf16 v[46:49], v[126:127], v[86:87], v[46:49]
	v_mfma_f32_4x4x4_16b_bf16 v[42:45], v[126:127], v[98:99], v[42:45]
	v_mfma_f32_4x4x4_16b_bf16 v[38:41], v[126:127], v[94:95], v[38:41]
	s_waitcnt lgkmcnt(1)
	v_mfma_f32_4x4x4_16b_bf16 v[34:37], v[122:123], v[90:91], v[34:37]
	v_mfma_f32_4x4x4_16b_bf16 v[30:33], v[122:123], v[86:87], v[30:33]
	v_mfma_f32_4x4x4_16b_bf16 v[26:29], v[122:123], v[98:99], v[26:29]
	;; [unrolled: 5-line block ×3, first 2 shown]
	v_mfma_f32_4x4x4_16b_bf16 v[6:9], v[118:119], v[94:95], v[6:9]
	v_mfma_f32_4x4x4_16b_bf16 v[66:69], v[132:133], v[92:93], v[66:69]
	;; [unrolled: 1-line block ×17, first 2 shown]
	s_waitcnt vmcnt(3)
	v_mfma_f32_4x4x4_16b_bf16 v[66:69], v[114:115], v[74:75], v[66:69]
	s_waitcnt vmcnt(2)
	v_mfma_f32_4x4x4_16b_bf16 v[62:65], v[114:115], v[70:71], v[62:65]
	;; [unrolled: 2-line block ×4, first 2 shown]
	v_mfma_f32_4x4x4_16b_bf16 v[50:53], v[110:111], v[74:75], v[50:53]
	v_mfma_f32_4x4x4_16b_bf16 v[46:49], v[110:111], v[70:71], v[46:49]
	;; [unrolled: 1-line block ×28, first 2 shown]
.LBB262_16:                             ;   in Loop: Header=BB262_17 Depth=2
	s_or_b64 exec, exec, s[8:9]
	s_addk_i32 s37, 0x200
	s_cmp_ge_u32 s37, s24
	s_cbranch_scc1 .LBB262_29
.LBB262_17:                             ;   Parent Loop BB262_12 Depth=1
                                        ; =>  This Loop Header: Depth=2
                                        ;       Child Loop BB262_22 Depth 3
	s_cmp_eq_u32 s37, 0
	s_cselect_b64 s[8:9], -1, 0
	s_add_i32 s10, s36, s44
	s_cmp_eq_u32 s37, s10
	s_cselect_b64 s[12:13], -1, 0
	s_or_b64 s[12:13], s[8:9], s[12:13]
	s_andn2_b64 vcc, exec, s[12:13]
	s_cbranch_vccz .LBB262_19
; %bb.18:                               ;   in Loop: Header=BB262_17 Depth=2
	s_and_saveexec_b64 s[8:9], s[6:7]
	s_cbranch_execz .LBB262_16
	s_branch .LBB262_26
.LBB262_19:                             ;   in Loop: Header=BB262_17 Depth=2
	s_and_b64 s[8:9], s[8:9], exec
	s_cselect_b32 s36, s36, s10
	s_and_b64 vcc, exec, s[4:5]
	s_barrier
	s_cbranch_vccnz .LBB262_25
; %bb.20:                               ;   in Loop: Header=BB262_17 Depth=2
	v_add_u32_e32 v70, s36, v150
	v_add_u32_e32 v71, s36, v138
	;; [unrolled: 1-line block ×4, first 2 shown]
	s_mov_b32 s38, 0
	s_mov_b64 s[10:11], 0
	v_mov_b32_e32 v74, v149
                                        ; implicit-def: $sgpr12_sgpr13
	s_branch .LBB262_22
.LBB262_21:                             ;   in Loop: Header=BB262_22 Depth=3
	s_or_b64 exec, exec, s[8:9]
	s_and_b64 s[8:9], exec, s[12:13]
	s_or_b64 s[10:11], s[8:9], s[10:11]
	s_andn2_b64 exec, exec, s[10:11]
	s_cbranch_execz .LBB262_24
.LBB262_22:                             ;   Parent Loop BB262_12 Depth=1
                                        ;     Parent Loop BB262_17 Depth=2
                                        ; =>    This Inner Loop Header: Depth=3
	v_add_u32_e32 v75, s38, v136
	v_add_u32_e32 v0, s38, v73
	v_cmp_gt_u32_e32 vcc, s26, v0
	v_cmp_gt_u32_e64 s[8:9], s44, v75
	s_and_b64 s[40:41], s[8:9], vcc
	s_or_b64 s[12:13], s[12:13], exec
	s_and_saveexec_b64 s[8:9], s[40:41]
	s_cbranch_execz .LBB262_21
; %bb.23:                               ;   in Loop: Header=BB262_22 Depth=3
	v_lshl_add_u64 v[76:77], v[0:1], 1, s[20:21]
	v_add_u32_e32 v0, s38, v72
	v_lshl_add_u64 v[80:81], v[0:1], 1, s[20:21]
	v_add_u32_e32 v0, s38, v70
	global_load_dwordx4 v[76:79], v[76:77], off
	s_nop 0
	global_load_dwordx4 v[80:83], v[80:81], off
	v_lshl_add_u64 v[84:85], v[0:1], 1, s[20:21]
	v_add_u32_e32 v0, s38, v71
	global_load_dwordx4 v[84:87], v[84:85], off
	v_lshl_add_u64 v[88:89], v[0:1], 1, s[20:21]
	global_load_dwordx4 v[88:91], v[88:89], off
	s_add_i32 s38, s38, s45
	s_cmp_ge_u32 s38, s44
	s_cselect_b64 s[40:41], -1, 0
	s_andn2_b64 s[12:13], s[12:13], exec
	s_and_b64 s[40:41], s[40:41], exec
	v_add_u32_e32 v0, s55, v74
	v_add_u32_e32 v75, s54, v74
	;; [unrolled: 1-line block ×3, first 2 shown]
	s_or_b64 s[12:13], s[12:13], s[40:41]
	s_waitcnt vmcnt(3)
	ds_write_b128 v74, v[76:79]
	v_add_u32_e32 v74, s53, v74
	s_waitcnt vmcnt(2)
	ds_write2_b64 v0, v[80:81], v[82:83] offset1:1
	s_waitcnt vmcnt(1)
	ds_write2_b32 v75, v84, v85 offset1:1
	ds_write2_b32 v75, v86, v87 offset0:2 offset1:3
	s_waitcnt vmcnt(0)
	ds_write2_b64 v92, v[88:89], v[90:91] offset1:1
	s_branch .LBB262_21
.LBB262_24:                             ;   in Loop: Header=BB262_17 Depth=2
	s_or_b64 exec, exec, s[10:11]
.LBB262_25:                             ;   in Loop: Header=BB262_17 Depth=2
	s_waitcnt lgkmcnt(0)
	s_barrier
	s_and_saveexec_b64 s[8:9], s[6:7]
	s_cbranch_execz .LBB262_16
.LBB262_26:                             ;   in Loop: Header=BB262_17 Depth=2
	v_add_u32_e32 v135, s37, v137
	v_min_u32_e32 v0, s46, v135
	v_add_u32_e32 v151, 0x100, v135
	v_lshl_add_u64 v[70:71], v[0:1], 1, s[18:19]
	v_min_u32_e32 v0, s46, v151
	v_lshl_add_u64 v[72:73], v[70:71], 0, v[140:141]
	v_lshl_add_u64 v[78:79], v[0:1], 1, s[18:19]
	;; [unrolled: 1-line block ×3, first 2 shown]
	global_load_dwordx4 v[90:93], v[72:73], off nt
	global_load_dwordx4 v[86:89], v[74:75], off nt
	v_lshl_add_u64 v[72:73], v[70:71], 0, v[144:145]
	v_lshl_add_u64 v[70:71], v[70:71], 0, v[146:147]
	;; [unrolled: 1-line block ×5, first 2 shown]
	global_load_dwordx4 v[98:101], v[72:73], off nt
	global_load_dwordx4 v[94:97], v[70:71], off nt
	;; [unrolled: 1-line block ×3, first 2 shown]
	s_nop 0
	global_load_dwordx4 v[70:73], v[82:83], off nt
	v_lshl_add_u64 v[104:105], v[78:79], 0, v[146:147]
	global_load_dwordx4 v[82:85], v[102:103], off nt
	global_load_dwordx4 v[78:81], v[104:105], off nt
	v_cmp_gt_u32_e32 vcc, s24, v135
	v_mov_b32_e32 v104, 0
	v_mov_b32_e32 v105, 0
	;; [unrolled: 1-line block ×32, first 2 shown]
	s_and_saveexec_b64 s[10:11], vcc
	s_cbranch_execz .LBB262_15
; %bb.27:                               ;   in Loop: Header=BB262_17 Depth=2
	v_subrev_u32_e32 v0, s36, v135
	v_lshlrev_b32_e32 v153, 1, v0
	v_add_u32_e32 v152, s55, v153
	v_add_u32_e32 v135, s55, v152
	ds_read_b128 v[130:133], v153
	ds_read_b128 v[126:129], v152
	v_add_u32_e32 v0, s55, v135
	ds_read_b128 v[122:125], v135
	ds_read_b128 v[118:121], v0
	v_cmp_gt_u32_e32 vcc, s24, v151
	v_mov_b32_e32 v115, 0
	v_mov_b32_e32 v114, 0
	v_mov_b32_e32 v117, 0
	v_mov_b32_e32 v116, 0
	v_mov_b32_e32 v111, 0
	v_mov_b32_e32 v110, 0
	v_mov_b32_e32 v113, 0
	v_mov_b32_e32 v112, 0
	v_mov_b32_e32 v107, 0
	v_mov_b32_e32 v106, 0
	v_mov_b32_e32 v109, 0
	v_mov_b32_e32 v108, 0
	v_mov_b32_e32 v103, 0
	v_mov_b32_e32 v102, 0
	v_mov_b32_e32 v105, 0
	v_mov_b32_e32 v104, 0
	s_and_saveexec_b64 s[12:13], vcc
	s_cbranch_execz .LBB262_14
; %bb.28:                               ;   in Loop: Header=BB262_17 Depth=2
	ds_read_b128 v[114:117], v153 offset:512
	ds_read_b128 v[110:113], v152 offset:512
	;; [unrolled: 1-line block ×4, first 2 shown]
	s_branch .LBB262_14
.LBB262_29:                             ;   in Loop: Header=BB262_12 Depth=1
	v_cmp_le_u32_e32 vcc, s27, v134
	s_and_saveexec_b64 s[6:7], vcc
	s_xor_b64 s[6:7], exec, s[6:7]
; %bb.30:                               ;   in Loop: Header=BB262_12 Depth=1
	v_add_u32_e32 v134, s48, v134
                                        ; implicit-def: $vgpr9
                                        ; implicit-def: $vgpr13
                                        ; implicit-def: $vgpr17
                                        ; implicit-def: $vgpr21
                                        ; implicit-def: $vgpr25
                                        ; implicit-def: $vgpr29
                                        ; implicit-def: $vgpr33
                                        ; implicit-def: $vgpr37
                                        ; implicit-def: $vgpr69
                                        ; implicit-def: $vgpr65
                                        ; implicit-def: $vgpr61
                                        ; implicit-def: $vgpr57
                                        ; implicit-def: $vgpr53
                                        ; implicit-def: $vgpr49
                                        ; implicit-def: $vgpr45
                                        ; implicit-def: $vgpr41
; %bb.31:                               ;   in Loop: Header=BB262_12 Depth=1
	s_andn2_saveexec_b64 s[36:37], s[6:7]
	s_cbranch_execz .LBB262_11
; %bb.32:                               ;   in Loop: Header=BB262_12 Depth=1
	v_cvt_i32_f32_e32 v0, v67
	v_cvt_i32_f32_e32 v67, v68
	;; [unrolled: 1-line block ×4, first 2 shown]
	v_cvt_f32_i32_dpp v0, v0 row_shl:1 row_mask:0xf bank_mask:0xf bound_ctrl:1
	v_cvt_f32_i32_dpp v67, v67 row_shl:2 row_mask:0xf bank_mask:0xf bound_ctrl:1
	v_cvt_i32_f32_e32 v64, v64
	v_cvt_f32_i32_dpp v68, v68 row_shl:3 row_mask:0xf bank_mask:0xf bound_ctrl:1
	v_cvt_i32_f32_e32 v65, v65
	v_add_f32_e32 v0, v66, v0
	v_cvt_f32_i32_dpp v63, v63 row_shl:1 row_mask:0xf bank_mask:0xf bound_ctrl:1
	v_add_f32_e32 v0, v0, v67
	v_cvt_f32_i32_dpp v64, v64 row_shl:2 row_mask:0xf bank_mask:0xf bound_ctrl:1
	;; [unrolled: 2-line block ×3, first 2 shown]
	v_cvt_i32_f32_e32 v66, v0
	v_add_f32_e32 v62, v62, v63
	v_add_f32_e32 v62, v62, v64
	;; [unrolled: 1-line block ×3, first 2 shown]
	v_cvt_f32_i32_dpp v66, v66 row_shl:4 row_mask:0xf bank_mask:0xf bound_ctrl:1
	v_cvt_i32_f32_e32 v63, v62
	v_cvt_i32_f32_e32 v59, v59
	;; [unrolled: 1-line block ×3, first 2 shown]
	v_add_f32_e32 v0, v0, v66
	v_cvt_f32_i32_dpp v63, v63 row_shl:4 row_mask:0xf bank_mask:0xf bound_ctrl:1
	v_cvt_i32_f32_e32 v64, v0
	v_cvt_i32_f32_e32 v61, v61
	v_cvt_f32_i32_dpp v59, v59 row_shl:1 row_mask:0xf bank_mask:0xf bound_ctrl:1
	v_add_f32_e32 v62, v62, v63
	v_cvt_f32_i32_dpp v64, v64 row_shl:8 row_mask:0xf bank_mask:0xf bound_ctrl:1
	v_cvt_i32_f32_e32 v63, v62
	v_cvt_f32_i32_dpp v60, v60 row_shl:2 row_mask:0xf bank_mask:0xf bound_ctrl:1
	v_cvt_f32_i32_dpp v61, v61 row_shl:3 row_mask:0xf bank_mask:0xf bound_ctrl:1
	v_add_f32_e32 v0, v0, v64
	v_cvt_f32_i32_dpp v63, v63 row_shl:8 row_mask:0xf bank_mask:0xf bound_ctrl:1
	v_cvt_i32_f32_e32 v0, v0
	v_add_f32_e32 v58, v58, v59
	v_add_f32_e32 v58, v58, v60
	;; [unrolled: 1-line block ×3, first 2 shown]
	v_cvt_f32_i32_dpp v0, v0 row_shr:15 row_mask:0xf bank_mask:0xf bound_ctrl:1
	v_cvt_i32_f32_e32 v62, v62
	v_cvt_i32_f32_e32 v55, v55
	v_add_f32_e32 v58, v58, v61
	v_cvt_i32_f32_e32 v56, v56
	v_cvt_i32_f32_e32 v59, v58
	;; [unrolled: 1-line block ×4, first 2 shown]
	v_cvt_f32_i32_dpp v61, v62 row_shr:15 row_mask:0xf bank_mask:0xf bound_ctrl:1
	v_cvt_f32_i32_dpp v55, v55 row_shl:1 row_mask:0xf bank_mask:0xf bound_ctrl:1
	v_cvt_f32_i32_dpp v56, v56 row_shl:2 row_mask:0xf bank_mask:0xf bound_ctrl:1
	;; [unrolled: 1-line block ×4, first 2 shown]
	v_cvt_f32_i32_dpp v60, v60 row_bcast:15 row_mask:0xf bank_mask:0xf bound_ctrl:1
	v_cvt_i32_f32_e32 v62, v61
	v_add_f32_e32 v54, v54, v55
	v_cvt_i32_f32_e32 v51, v51
	v_add_f32_e32 v54, v54, v56
	;; [unrolled: 2-line block ×3, first 2 shown]
	v_add_f32_e32 v57, v54, v57
	v_cvt_i32_f32_e32 v53, v53
	v_cvt_i32_f32_e32 v63, v59
	v_add_f32_e32 v58, v0, v60
	v_cvt_f32_i32_dpp v60, v62 row_bcast:15 row_mask:0xf bank_mask:0xf bound_ctrl:1
	v_cvt_i32_f32_e32 v55, v57
	v_cvt_f32_i32_dpp v51, v51 row_shl:1 row_mask:0xf bank_mask:0xf bound_ctrl:1
	v_cvt_f32_i32_dpp v52, v52 row_shl:2 row_mask:0xf bank_mask:0xf bound_ctrl:1
	;; [unrolled: 1-line block ×4, first 2 shown]
	v_add_f32_e32 v54, v61, v60
	v_cvt_f32_i32_dpp v61, v55 row_shl:4 row_mask:0xf bank_mask:0xf bound_ctrl:1
	v_cvt_i32_f32_e32 v60, v54
	v_add_f32_e32 v50, v50, v51
	v_add_f32_e32 v50, v50, v52
	;; [unrolled: 1-line block ×5, first 2 shown]
	v_cvt_i32_f32_e32 v50, v51
	v_cvt_i32_f32_e32 v59, v59
	v_mov_b32_dpp v55, v60 row_bcast:31 row_mask:0xf bank_mask:0xf bound_ctrl:1
	v_cvt_i32_f32_e32 v60, v57
	v_cvt_i32_f32_e32 v47, v47
	v_cvt_f32_i32_dpp v53, v50 row_shl:4 row_mask:0xf bank_mask:0xf bound_ctrl:1
	v_cvt_i32_f32_e32 v48, v48
	v_cvt_i32_f32_e32 v0, v58
	v_cvt_f32_i32_dpp v59, v59 row_shr:15 row_mask:0xf bank_mask:0xf bound_ctrl:1
	v_cvt_f32_i32_dpp v60, v60 row_shl:8 row_mask:0xf bank_mask:0xf bound_ctrl:1
	v_cvt_i32_f32_e32 v49, v49
	v_cvt_f32_i32_dpp v47, v47 row_shl:1 row_mask:0xf bank_mask:0xf bound_ctrl:1
	v_add_f32_e32 v51, v51, v53
	v_cvt_f32_i32_dpp v48, v48 row_shl:2 row_mask:0xf bank_mask:0xf bound_ctrl:1
	v_mov_b32_dpp v56, v0 row_bcast:31 row_mask:0xf bank_mask:0xf bound_ctrl:1
	v_cvt_i32_f32_e32 v0, v59
	v_add_f32_e32 v52, v57, v60
	v_cvt_i32_f32_e32 v53, v51
	v_cvt_f32_i32_dpp v49, v49 row_shl:3 row_mask:0xf bank_mask:0xf bound_ctrl:1
	v_cvt_i32_f32_e32 v52, v52
	v_add_f32_e32 v46, v46, v47
	v_add_f32_e32 v46, v46, v48
	v_cvt_f32_i32_dpp v0, v0 row_bcast:15 row_mask:0xf bank_mask:0xf bound_ctrl:1
	v_cvt_f32_i32_dpp v53, v53 row_shl:8 row_mask:0xf bank_mask:0xf bound_ctrl:1
	v_add_f32_e32 v46, v46, v49
	v_cvt_f32_i32_dpp v52, v52 row_shr:15 row_mask:0xf bank_mask:0xf bound_ctrl:1
	v_cvt_i32_f32_e32 v47, v46
	v_add_f32_e32 v50, v59, v0
	v_add_f32_e32 v49, v51, v53
	v_cvt_i32_f32_e32 v0, v50
	v_cvt_i32_f32_e32 v48, v52
	;; [unrolled: 1-line block ×3, first 2 shown]
	v_cvt_f32_i32_dpp v51, v47 row_shl:4 row_mask:0xf bank_mask:0xf bound_ctrl:1
	v_cvt_i32_f32_e32 v43, v43
	v_mov_b32_dpp v47, v0 row_bcast:31 row_mask:0xf bank_mask:0xf bound_ctrl:1
	v_cvt_f32_i32_dpp v0, v48 row_bcast:15 row_mask:0xf bank_mask:0xf bound_ctrl:1
	v_cvt_f32_i32_dpp v48, v49 row_shr:15 row_mask:0xf bank_mask:0xf bound_ctrl:1
	v_add_f32_e32 v49, v46, v51
	v_cvt_i32_f32_e32 v44, v44
	v_cvt_i32_f32_e32 v51, v49
	;; [unrolled: 1-line block ×3, first 2 shown]
	v_cvt_f32_i32_dpp v43, v43 row_shl:1 row_mask:0xf bank_mask:0xf bound_ctrl:1
	v_cvt_f32_i32_dpp v44, v44 row_shl:2 row_mask:0xf bank_mask:0xf bound_ctrl:1
	;; [unrolled: 1-line block ×4, first 2 shown]
	v_add_f32_e32 v42, v42, v43
	v_add_f32_e32 v42, v42, v44
	v_cvt_i32_f32_e32 v39, v39
	v_add_f32_e32 v46, v52, v0
	v_add_f32_e32 v49, v49, v51
	;; [unrolled: 1-line block ×3, first 2 shown]
	v_cvt_i32_f32_e32 v40, v40
	v_cvt_i32_f32_e32 v0, v46
	;; [unrolled: 1-line block ×6, first 2 shown]
	v_cvt_f32_i32_dpp v39, v39 row_shl:1 row_mask:0xf bank_mask:0xf bound_ctrl:1
	v_cvt_f32_i32_dpp v40, v40 row_shl:2 row_mask:0xf bank_mask:0xf bound_ctrl:1
	v_mov_b32_dpp v43, v0 row_bcast:31 row_mask:0xf bank_mask:0xf bound_ctrl:1
	v_cvt_f32_i32_dpp v0, v49 row_shr:15 row_mask:0xf bank_mask:0xf bound_ctrl:1
	v_cvt_f32_i32_dpp v49, v42 row_shl:4 row_mask:0xf bank_mask:0xf bound_ctrl:1
	v_cvt_f32_i32_dpp v41, v41 row_shl:3 row_mask:0xf bank_mask:0xf bound_ctrl:1
	v_cvt_f32_i32_dpp v45, v52 row_bcast:15 row_mask:0xf bank_mask:0xf bound_ctrl:1
	v_add_f32_e32 v38, v38, v39
	v_add_f32_e32 v38, v38, v40
	v_add_f32_e32 v44, v44, v49
	v_add_f32_e32 v40, v38, v41
	v_cvt_i32_f32_e32 v35, v35
	v_add_f32_e32 v42, v48, v45
	v_cvt_i32_f32_e32 v48, v0
	v_cvt_i32_f32_e32 v49, v44
	;; [unrolled: 1-line block ×5, first 2 shown]
	v_cvt_f32_i32_dpp v35, v35 row_shl:1 row_mask:0xf bank_mask:0xf bound_ctrl:1
	v_cvt_f32_i32_dpp v49, v49 row_shl:8 row_mask:0xf bank_mask:0xf bound_ctrl:1
	v_cvt_f32_i32_dpp v41, v48 row_bcast:15 row_mask:0xf bank_mask:0xf bound_ctrl:1
	v_cvt_f32_i32_dpp v48, v38 row_shl:4 row_mask:0xf bank_mask:0xf bound_ctrl:1
	v_cvt_f32_i32_dpp v36, v36 row_shl:2 row_mask:0xf bank_mask:0xf bound_ctrl:1
	;; [unrolled: 1-line block ×3, first 2 shown]
	v_add_f32_e32 v34, v34, v35
	v_add_f32_e32 v39, v44, v49
	;; [unrolled: 1-line block ×4, first 2 shown]
	v_cvt_i32_f32_e32 v44, v39
	v_add_f32_e32 v38, v0, v41
	v_cvt_i32_f32_e32 v41, v40
	v_add_f32_e32 v34, v34, v37
	v_cvt_i32_f32_e32 v35, v34
	v_cvt_f32_i32_dpp v0, v44 row_shr:15 row_mask:0xf bank_mask:0xf bound_ctrl:1
	v_cvt_f32_i32_dpp v41, v41 row_shl:8 row_mask:0xf bank_mask:0xf bound_ctrl:1
	v_cvt_i32_f32_e32 v31, v31
	v_cvt_f32_i32_dpp v35, v35 row_shl:4 row_mask:0xf bank_mask:0xf bound_ctrl:1
	v_cvt_i32_f32_e32 v36, v0
	v_add_f32_e32 v37, v40, v41
	v_cvt_i32_f32_e32 v32, v32
	v_cvt_i32_f32_e32 v37, v37
	v_add_f32_e32 v41, v34, v35
	v_cvt_i32_f32_e32 v33, v33
	v_cvt_i32_f32_e32 v45, v42
	;; [unrolled: 1-line block ×3, first 2 shown]
	v_cvt_f32_i32_dpp v31, v31 row_shl:1 row_mask:0xf bank_mask:0xf bound_ctrl:1
	v_cvt_f32_i32_dpp v36, v36 row_bcast:15 row_mask:0xf bank_mask:0xf bound_ctrl:1
	v_cvt_f32_i32_dpp v32, v32 row_shl:2 row_mask:0xf bank_mask:0xf bound_ctrl:1
	v_cvt_f32_i32_dpp v37, v37 row_shr:15 row_mask:0xf bank_mask:0xf bound_ctrl:1
	v_cvt_f32_i32_dpp v33, v33 row_shl:3 row_mask:0xf bank_mask:0xf bound_ctrl:1
	v_mov_b32_dpp v39, v45 row_bcast:31 row_mask:0xf bank_mask:0xf bound_ctrl:1
	v_cvt_i32_f32_e32 v40, v38
	v_cvt_f32_i32_dpp v45, v35 row_shl:8 row_mask:0xf bank_mask:0xf bound_ctrl:1
	v_add_f32_e32 v30, v30, v31
	v_cvt_i32_f32_e32 v27, v27
	v_add_f32_e32 v34, v0, v36
	v_add_f32_e32 v30, v30, v32
	v_cvt_i32_f32_e32 v28, v28
	v_cvt_i32_f32_e32 v0, v34
	;; [unrolled: 1-line block ×3, first 2 shown]
	v_add_f32_e32 v31, v30, v33
	v_cvt_i32_f32_e32 v29, v29
	v_mov_b32_dpp v36, v40 row_bcast:31 row_mask:0xf bank_mask:0xf bound_ctrl:1
	v_add_f32_e32 v40, v41, v45
	v_cvt_i32_f32_e32 v32, v31
	v_cvt_i32_f32_e32 v40, v40
	v_cvt_f32_i32_dpp v27, v27 row_shl:1 row_mask:0xf bank_mask:0xf bound_ctrl:1
	v_cvt_f32_i32_dpp v28, v28 row_shl:2 row_mask:0xf bank_mask:0xf bound_ctrl:1
	v_mov_b32_dpp v35, v0 row_bcast:31 row_mask:0xf bank_mask:0xf bound_ctrl:1
	v_cvt_f32_i32_dpp v0, v44 row_bcast:15 row_mask:0xf bank_mask:0xf bound_ctrl:1
	v_cvt_f32_i32_dpp v29, v29 row_shl:3 row_mask:0xf bank_mask:0xf bound_ctrl:1
	v_cvt_f32_i32_dpp v32, v32 row_shl:4 row_mask:0xf bank_mask:0xf bound_ctrl:1
	v_cvt_f32_i32_dpp v40, v40 row_shr:15 row_mask:0xf bank_mask:0xf bound_ctrl:1
	v_add_f32_e32 v26, v26, v27
	v_add_f32_e32 v26, v26, v28
	v_cvt_i32_f32_e32 v23, v23
	v_add_f32_e32 v30, v37, v0
	v_add_f32_e32 v28, v26, v29
	v_cvt_i32_f32_e32 v24, v24
	v_cvt_i32_f32_e32 v0, v30
	v_add_f32_e32 v31, v31, v32
	v_cvt_i32_f32_e32 v26, v28
	v_cvt_i32_f32_e32 v25, v25
	;; [unrolled: 1-line block ×4, first 2 shown]
	v_cvt_f32_i32_dpp v23, v23 row_shl:1 row_mask:0xf bank_mask:0xf bound_ctrl:1
	v_cvt_f32_i32_dpp v24, v24 row_shl:2 row_mask:0xf bank_mask:0xf bound_ctrl:1
	v_mov_b32_dpp v27, v0 row_bcast:31 row_mask:0xf bank_mask:0xf bound_ctrl:1
	v_cvt_f32_i32_dpp v0, v26 row_shl:4 row_mask:0xf bank_mask:0xf bound_ctrl:1
	v_cvt_f32_i32_dpp v25, v25 row_shl:3 row_mask:0xf bank_mask:0xf bound_ctrl:1
	v_cvt_f32_i32_dpp v29, v33 row_bcast:15 row_mask:0xf bank_mask:0xf bound_ctrl:1
	v_cvt_f32_i32_dpp v32, v32 row_shl:8 row_mask:0xf bank_mask:0xf bound_ctrl:1
	v_add_f32_e32 v22, v22, v23
	v_add_f32_e32 v22, v22, v24
	;; [unrolled: 1-line block ×6, first 2 shown]
	v_cvt_i32_f32_e32 v28, v0
	v_cvt_i32_f32_e32 v23, v22
	v_cvt_i32_f32_e32 v29, v29
	v_cvt_i32_f32_e32 v19, v19
	v_cvt_f32_i32_dpp v28, v28 row_shl:8 row_mask:0xf bank_mask:0xf bound_ctrl:1
	v_cvt_f32_i32_dpp v23, v23 row_shl:4 row_mask:0xf bank_mask:0xf bound_ctrl:1
	v_cvt_f32_i32_dpp v24, v29 row_shr:15 row_mask:0xf bank_mask:0xf bound_ctrl:1
	v_cvt_i32_f32_e32 v20, v20
	v_add_f32_e32 v0, v0, v28
	v_add_f32_e32 v29, v22, v23
	v_cvt_i32_f32_e32 v0, v0
	v_cvt_i32_f32_e32 v28, v24
	;; [unrolled: 1-line block ×5, first 2 shown]
	v_cvt_f32_i32_dpp v0, v0 row_shr:15 row_mask:0xf bank_mask:0xf bound_ctrl:1
	v_cvt_f32_i32_dpp v28, v28 row_bcast:15 row_mask:0xf bank_mask:0xf bound_ctrl:1
	v_cvt_f32_i32_dpp v31, v22 row_shl:8 row_mask:0xf bank_mask:0xf bound_ctrl:1
	v_cvt_f32_i32_dpp v19, v19 row_shl:1 row_mask:0xf bank_mask:0xf bound_ctrl:1
	v_cvt_i32_f32_e32 v15, v15
	v_cvt_f32_i32_dpp v20, v20 row_shl:2 row_mask:0xf bank_mask:0xf bound_ctrl:1
	v_cvt_i32_f32_e32 v16, v16
	;; [unrolled: 2-line block ×3, first 2 shown]
	v_cvt_i32_f32_e32 v11, v11
	v_mov_b32_dpp v23, v25 row_bcast:31 row_mask:0xf bank_mask:0xf bound_ctrl:1
	v_cvt_i32_f32_e32 v25, v0
	v_add_f32_e32 v22, v24, v28
	v_add_f32_e32 v28, v29, v31
	v_cvt_i32_f32_e32 v28, v28
	v_add_f32_e32 v18, v18, v19
	v_cvt_f32_i32_dpp v15, v15 row_shl:1 row_mask:0xf bank_mask:0xf bound_ctrl:1
	v_cvt_i32_f32_e32 v7, v7
	v_add_f32_e32 v18, v18, v20
	v_cvt_f32_i32_dpp v16, v16 row_shl:2 row_mask:0xf bank_mask:0xf bound_ctrl:1
	v_cvt_i32_f32_e32 v12, v12
	v_cvt_i32_f32_e32 v8, v8
	v_add_f32_e32 v20, v18, v21
	v_cvt_f32_i32_dpp v17, v17 row_shl:3 row_mask:0xf bank_mask:0xf bound_ctrl:1
	v_cvt_f32_i32_dpp v11, v11 row_shl:1 row_mask:0xf bank_mask:0xf bound_ctrl:1
	v_cvt_i32_f32_e32 v13, v13
	v_cvt_i32_f32_e32 v9, v9
	v_cvt_f32_i32_dpp v25, v25 row_bcast:15 row_mask:0xf bank_mask:0xf bound_ctrl:1
	v_cvt_i32_f32_e32 v18, v20
	v_cvt_f32_i32_dpp v28, v28 row_shr:15 row_mask:0xf bank_mask:0xf bound_ctrl:1
	v_add_f32_e32 v14, v14, v15
	v_cvt_f32_i32_dpp v7, v7 row_shl:1 row_mask:0xf bank_mask:0xf bound_ctrl:1
	v_add_f32_e32 v14, v14, v16
	v_cvt_f32_i32_dpp v12, v12 row_shl:2 row_mask:0xf bank_mask:0xf bound_ctrl:1
	v_cvt_f32_i32_dpp v8, v8 row_shl:2 row_mask:0xf bank_mask:0xf bound_ctrl:1
	v_add_f32_e32 v15, v14, v17
	v_add_f32_e32 v10, v10, v11
	v_cvt_f32_i32_dpp v11, v13 row_shl:3 row_mask:0xf bank_mask:0xf bound_ctrl:1
	v_cvt_f32_i32_dpp v9, v9 row_shl:3 row_mask:0xf bank_mask:0xf bound_ctrl:1
	v_add_f32_e32 v19, v0, v25
	v_cvt_f32_i32_dpp v0, v18 row_shl:4 row_mask:0xf bank_mask:0xf bound_ctrl:1
	v_cvt_i32_f32_e32 v16, v15
	v_cvt_i32_f32_e32 v24, v22
	;; [unrolled: 1-line block ×3, first 2 shown]
	v_add_f32_e32 v6, v6, v7
	v_add_f32_e32 v10, v10, v12
	;; [unrolled: 1-line block ×6, first 2 shown]
	v_cvt_f32_i32_dpp v16, v16 row_shl:4 row_mask:0xf bank_mask:0xf bound_ctrl:1
	v_cvt_i32_f32_e32 v11, v10
	v_cvt_i32_f32_e32 v7, v6
	v_mov_b32_dpp v21, v24 row_bcast:31 row_mask:0xf bank_mask:0xf bound_ctrl:1
	v_cvt_f32_i32_dpp v24, v29 row_bcast:15 row_mask:0xf bank_mask:0xf bound_ctrl:1
	v_cvt_i32_f32_e32 v20, v0
	v_add_f32_e32 v15, v15, v16
	v_cvt_f32_i32_dpp v9, v11 row_shl:4 row_mask:0xf bank_mask:0xf bound_ctrl:1
	v_cvt_f32_i32_dpp v7, v7 row_shl:4 row_mask:0xf bank_mask:0xf bound_ctrl:1
	v_add_f32_e32 v18, v28, v24
	v_cvt_f32_i32_dpp v28, v20 row_shl:8 row_mask:0xf bank_mask:0xf bound_ctrl:1
	v_cvt_i32_f32_e32 v16, v15
	v_add_f32_e32 v9, v10, v9
	v_add_f32_e32 v6, v6, v7
	;; [unrolled: 1-line block ×3, first 2 shown]
	v_cvt_f32_i32_dpp v8, v16 row_shl:8 row_mask:0xf bank_mask:0xf bound_ctrl:1
	v_cvt_i32_f32_e32 v10, v9
	v_cvt_i32_f32_e32 v7, v6
	;; [unrolled: 1-line block ×3, first 2 shown]
	v_add_f32_e32 v8, v15, v8
	v_cvt_f32_i32_dpp v10, v10 row_shl:8 row_mask:0xf bank_mask:0xf bound_ctrl:1
	v_cvt_f32_i32_dpp v7, v7 row_shl:8 row_mask:0xf bank_mask:0xf bound_ctrl:1
	v_cvt_f32_i32_dpp v0, v0 row_shr:15 row_mask:0xf bank_mask:0xf bound_ctrl:1
	v_cvt_i32_f32_e32 v8, v8
	v_add_f32_e32 v9, v9, v10
	v_add_f32_e32 v6, v6, v7
	v_cvt_i32_f32_e32 v11, v0
	v_cvt_f32_i32_dpp v8, v8 row_shr:15 row_mask:0xf bank_mask:0xf bound_ctrl:1
	v_cvt_i32_f32_e32 v9, v9
	v_cvt_i32_f32_e32 v6, v6
	v_cvt_f32_i32_dpp v7, v11 row_bcast:15 row_mask:0xf bank_mask:0xf bound_ctrl:1
	v_cvt_i32_f32_e32 v10, v8
	v_cvt_f32_i32_dpp v9, v9 row_shr:15 row_mask:0xf bank_mask:0xf bound_ctrl:1
	v_cvt_f32_i32_dpp v6, v6 row_shr:15 row_mask:0xf bank_mask:0xf bound_ctrl:1
	v_add_f32_e32 v15, v0, v7
	v_cvt_f32_i32_dpp v7, v10 row_bcast:15 row_mask:0xf bank_mask:0xf bound_ctrl:1
	v_cvt_i32_f32_e32 v0, v9
	v_cvt_i32_f32_e32 v10, v6
	v_cvt_i32_f32_e32 v25, v19
	v_add_f32_e32 v12, v8, v7
	v_cvt_f32_i32_dpp v0, v0 row_bcast:15 row_mask:0xf bank_mask:0xf bound_ctrl:1
	v_cvt_f32_i32_dpp v7, v10 row_bcast:15 row_mask:0xf bank_mask:0xf bound_ctrl:1
	v_cvt_i32_f32_e32 v24, v18
	v_cvt_i32_f32_e32 v11, v15
	v_add_f32_e32 v10, v9, v0
	v_add_f32_e32 v8, v6, v7
	v_cvt_i32_f32_e32 v13, v12
	v_cvt_i32_f32_e32 v0, v10
	;; [unrolled: 1-line block ×3, first 2 shown]
	v_mov_b32_dpp v20, v25 row_bcast:31 row_mask:0xf bank_mask:0xf bound_ctrl:1
	v_mov_b32_dpp v14, v24 row_bcast:31 row_mask:0xf bank_mask:0xf bound_ctrl:1
	;; [unrolled: 1-line block ×6, first 2 shown]
	s_and_saveexec_b64 s[38:39], s[0:1]
	s_cbranch_execz .LBB262_131
; %bb.33:                               ;   in Loop: Header=BB262_12 Depth=1
	s_andn2_b64 vcc, exec, s[30:31]
	v_mov_b32_e32 v49, 0
	v_add_u32_e32 v0, 2, v134
	v_add_u32_e32 v6, 3, v134
	v_mov_b32_e32 v48, 0
	v_mov_b32_e32 v45, 0
	;; [unrolled: 1-line block ×15, first 2 shown]
	s_cbranch_vccnz .LBB262_35
; %bb.34:                               ;   in Loop: Header=BB262_12 Depth=1
	v_mul_hi_u32 v7, v134, v148
	v_mul_lo_u32 v7, v7, s16
	v_sub_u32_e32 v7, v134, v7
	v_subrev_u32_e32 v17, s16, v7
	v_cmp_le_u32_e32 vcc, s16, v7
	v_mov_b32_e32 v41, v1
	v_mov_b32_e32 v25, v1
	v_cndmask_b32_e32 v7, v7, v17, vcc
	v_subrev_u32_e32 v17, s16, v7
	v_cmp_le_u32_e32 vcc, s16, v7
	v_mov_b32_e32 v33, v1
	v_mov_b32_e32 v61, v1
	v_cndmask_b32_e32 v24, v7, v17, vcc
	v_add_u32_e32 v7, 1, v134
	v_mul_hi_u32 v17, v7, v148
	v_mul_lo_u32 v17, v17, s16
	v_sub_u32_e32 v7, v7, v17
	v_subrev_u32_e32 v17, s16, v7
	v_cmp_le_u32_e32 vcc, s16, v7
	v_add_u32_e32 v40, s49, v24
	v_lshl_add_u64 v[68:69], v[40:41], 1, s[22:23]
	v_cndmask_b32_e32 v7, v7, v17, vcc
	v_subrev_u32_e32 v17, s16, v7
	v_cmp_le_u32_e32 vcc, s16, v7
	v_lshl_add_u64 v[28:29], v[24:25], 1, s[22:23]
	v_mov_b32_e32 v65, v1
	v_cndmask_b32_e32 v32, v7, v17, vcc
	v_mul_hi_u32 v7, v0, v148
	v_mul_lo_u32 v7, v7, s16
	v_sub_u32_e32 v7, v0, v7
	v_subrev_u32_e32 v17, s16, v7
	v_cmp_le_u32_e32 vcc, s16, v7
	v_add_u32_e32 v40, s49, v32
	v_lshl_add_u64 v[70:71], v[40:41], 1, s[22:23]
	v_cndmask_b32_e32 v7, v7, v17, vcc
	v_subrev_u32_e32 v17, s16, v7
	v_cmp_le_u32_e32 vcc, s16, v7
	v_lshl_add_u64 v[52:53], v[32:33], 1, s[22:23]
	s_nop 0
	v_cndmask_b32_e32 v60, v7, v17, vcc
	v_mul_hi_u32 v7, v6, v148
	v_mul_lo_u32 v7, v7, s16
	v_sub_u32_e32 v7, v6, v7
	v_subrev_u32_e32 v17, s16, v7
	v_cmp_le_u32_e32 vcc, s16, v7
	v_add_u32_e32 v40, s49, v60
	v_lshl_add_u64 v[72:73], v[40:41], 1, s[22:23]
	v_cndmask_b32_e32 v7, v7, v17, vcc
	v_subrev_u32_e32 v17, s16, v7
	v_cmp_le_u32_e32 vcc, s16, v7
	v_lshl_add_u64 v[62:63], v[60:61], 1, s[22:23]
	s_nop 0
	v_cndmask_b32_e32 v64, v7, v17, vcc
	v_add_u32_e32 v40, s49, v64
	v_lshl_add_u64 v[66:67], v[64:65], 1, s[22:23]
	v_lshl_add_u64 v[74:75], v[40:41], 1, s[22:23]
	global_load_ushort v49, v[28:29], off
	global_load_ushort v48, v[52:53], off
	;; [unrolled: 1-line block ×8, first 2 shown]
	v_add_u32_e32 v28, s50, v24
	v_mov_b32_e32 v29, v1
	v_add_u32_e32 v24, s51, v24
	v_lshl_add_u64 v[52:53], v[28:29], 1, s[22:23]
	v_add_u32_e32 v28, s50, v32
	v_lshl_add_u64 v[70:71], v[24:25], 1, s[22:23]
	v_add_u32_e32 v24, s51, v32
	v_lshl_add_u64 v[62:63], v[28:29], 1, s[22:23]
	v_add_u32_e32 v28, s50, v60
	v_lshl_add_u64 v[72:73], v[24:25], 1, s[22:23]
	v_add_u32_e32 v24, s51, v60
	v_lshl_add_u64 v[66:67], v[28:29], 1, s[22:23]
	v_add_u32_e32 v28, s50, v64
	v_lshl_add_u64 v[60:61], v[24:25], 1, s[22:23]
	v_add_u32_e32 v24, s51, v64
	v_lshl_add_u64 v[68:69], v[28:29], 1, s[22:23]
	v_lshl_add_u64 v[64:65], v[24:25], 1, s[22:23]
	global_load_ushort v33, v[52:53], off
	global_load_ushort v32, v[62:63], off
	;; [unrolled: 1-line block ×8, first 2 shown]
.LBB262_35:                             ;   in Loop: Header=BB262_12 Depth=1
	v_cmp_ne_u32_e32 vcc, 0, v2
	s_and_saveexec_b64 s[8:9], vcc
	s_cbranch_execnz .LBB262_51
; %bb.36:                               ;   in Loop: Header=BB262_12 Depth=1
	s_or_b64 exec, exec, s[8:9]
	v_cmp_ne_u32_e64 s[6:7], 0, v3
	s_and_saveexec_b64 s[10:11], s[6:7]
	s_cbranch_execnz .LBB262_56
.LBB262_37:                             ;   in Loop: Header=BB262_12 Depth=1
	s_or_b64 exec, exec, s[10:11]
	v_cmp_ne_u32_e64 s[8:9], 0, v4
	s_and_saveexec_b64 s[12:13], s[8:9]
	s_cbranch_execnz .LBB262_61
.LBB262_38:                             ;   in Loop: Header=BB262_12 Depth=1
	s_or_b64 exec, exec, s[12:13]
	v_cmp_ne_u32_e64 s[10:11], 0, v5
	s_and_saveexec_b64 s[40:41], s[10:11]
	s_cbranch_execnz .LBB262_66
.LBB262_39:                             ;   in Loop: Header=BB262_12 Depth=1
	s_or_b64 exec, exec, s[40:41]
	v_add_u32_e32 v0, s27, v134
	s_and_saveexec_b64 s[40:41], vcc
	s_cbranch_execnz .LBB262_71
.LBB262_40:                             ;   in Loop: Header=BB262_12 Depth=1
	s_or_b64 exec, exec, s[40:41]
	s_and_saveexec_b64 s[40:41], s[6:7]
	s_cbranch_execnz .LBB262_76
.LBB262_41:                             ;   in Loop: Header=BB262_12 Depth=1
	s_or_b64 exec, exec, s[40:41]
	s_and_saveexec_b64 s[40:41], s[8:9]
	s_cbranch_execnz .LBB262_81
.LBB262_42:                             ;   in Loop: Header=BB262_12 Depth=1
	s_or_b64 exec, exec, s[40:41]
	s_and_saveexec_b64 s[40:41], s[10:11]
	s_cbranch_execnz .LBB262_86
.LBB262_43:                             ;   in Loop: Header=BB262_12 Depth=1
	s_or_b64 exec, exec, s[40:41]
	v_add_u32_e32 v0, s27, v0
	s_and_saveexec_b64 s[40:41], vcc
	s_cbranch_execnz .LBB262_91
.LBB262_44:                             ;   in Loop: Header=BB262_12 Depth=1
	s_or_b64 exec, exec, s[40:41]
	s_and_saveexec_b64 s[40:41], s[6:7]
	s_cbranch_execnz .LBB262_96
.LBB262_45:                             ;   in Loop: Header=BB262_12 Depth=1
	s_or_b64 exec, exec, s[40:41]
	s_and_saveexec_b64 s[40:41], s[8:9]
	s_cbranch_execnz .LBB262_101
.LBB262_46:                             ;   in Loop: Header=BB262_12 Depth=1
	s_or_b64 exec, exec, s[40:41]
	s_and_saveexec_b64 s[40:41], s[10:11]
	s_cbranch_execnz .LBB262_106
.LBB262_47:                             ;   in Loop: Header=BB262_12 Depth=1
	s_or_b64 exec, exec, s[40:41]
	v_add_u32_e32 v0, s27, v0
	s_and_saveexec_b64 s[12:13], vcc
	s_cbranch_execnz .LBB262_111
.LBB262_48:                             ;   in Loop: Header=BB262_12 Depth=1
	s_or_b64 exec, exec, s[12:13]
	s_and_saveexec_b64 s[12:13], s[6:7]
	s_cbranch_execnz .LBB262_116
.LBB262_49:                             ;   in Loop: Header=BB262_12 Depth=1
	s_or_b64 exec, exec, s[12:13]
	s_and_saveexec_b64 s[6:7], s[8:9]
	s_cbranch_execnz .LBB262_121
.LBB262_50:                             ;   in Loop: Header=BB262_12 Depth=1
	s_or_b64 exec, exec, s[6:7]
	s_and_b64 exec, exec, s[10:11]
	s_cbranch_execnz .LBB262_126
	s_branch .LBB262_131
.LBB262_51:                             ;   in Loop: Header=BB262_12 Depth=1
	v_cvt_f32_i32_e32 v51, v56
	s_waitcnt vmcnt(15)
	v_lshlrev_b32_e32 v49, 16, v49
	v_add_f32_e32 v51, v58, v51
	v_add_f32_e32 v51, v51, v49
	v_and_b32_e32 v49, 0x7f800000, v51
	v_cmp_ne_u32_e64 s[6:7], s56, v49
                                        ; implicit-def: $vgpr49
	s_and_saveexec_b64 s[10:11], s[6:7]
	s_xor_b64 s[6:7], exec, s[10:11]
; %bb.52:                               ;   in Loop: Header=BB262_12 Depth=1
	v_bfe_u32 v49, v51, 16, 1
	v_add3_u32 v49, v51, v49, s57
                                        ; implicit-def: $vgpr51
; %bb.53:                               ;   in Loop: Header=BB262_12 Depth=1
	s_andn2_saveexec_b64 s[10:11], s[6:7]
; %bb.54:                               ;   in Loop: Header=BB262_12 Depth=1
	v_or_b32_e32 v49, 0x10000, v51
	v_cmp_eq_u32_sdwa s[6:7], v51, v1 src0_sel:WORD_0 src1_sel:DWORD
	s_nop 1
	v_cndmask_b32_e64 v49, v49, v51, s[6:7]
; %bb.55:                               ;   in Loop: Header=BB262_12 Depth=1
	s_or_b64 exec, exec, s[10:11]
	v_mov_b32_e32 v135, v1
	v_lshl_add_u64 v[52:53], v[134:135], 1, s[14:15]
	global_store_short_d16_hi v[52:53], v49, off
	s_or_b64 exec, exec, s[8:9]
	v_cmp_ne_u32_e64 s[6:7], 0, v3
	s_and_saveexec_b64 s[10:11], s[6:7]
	s_cbranch_execz .LBB262_37
.LBB262_56:                             ;   in Loop: Header=BB262_12 Depth=1
	s_waitcnt vmcnt(15)
	v_cvt_f32_i32_e32 v49, v55
	s_waitcnt vmcnt(14)
	v_lshlrev_b32_e32 v48, 16, v48
	v_add_f32_e32 v49, v54, v49
	v_add_f32_e32 v49, v49, v48
	v_and_b32_e32 v48, 0x7f800000, v49
	v_cmp_ne_u32_e64 s[8:9], s56, v48
                                        ; implicit-def: $vgpr48
	s_and_saveexec_b64 s[12:13], s[8:9]
	s_xor_b64 s[8:9], exec, s[12:13]
; %bb.57:                               ;   in Loop: Header=BB262_12 Depth=1
	v_bfe_u32 v48, v49, 16, 1
	v_add3_u32 v48, v49, v48, s57
                                        ; implicit-def: $vgpr49
; %bb.58:                               ;   in Loop: Header=BB262_12 Depth=1
	s_andn2_saveexec_b64 s[12:13], s[8:9]
; %bb.59:                               ;   in Loop: Header=BB262_12 Depth=1
	v_or_b32_e32 v48, 0x10000, v49
	v_cmp_eq_u32_sdwa s[8:9], v49, v1 src0_sel:WORD_0 src1_sel:DWORD
	s_nop 1
	v_cndmask_b32_e64 v48, v48, v49, s[8:9]
; %bb.60:                               ;   in Loop: Header=BB262_12 Depth=1
	s_or_b64 exec, exec, s[12:13]
	v_mov_b32_e32 v135, v1
	v_lshl_add_u64 v[52:53], v[134:135], 1, s[34:35]
	global_store_short_d16_hi v[52:53], v48, off
	s_or_b64 exec, exec, s[10:11]
	v_cmp_ne_u32_e64 s[8:9], 0, v4
	s_and_saveexec_b64 s[12:13], s[8:9]
	s_cbranch_execz .LBB262_38
.LBB262_61:                             ;   in Loop: Header=BB262_12 Depth=1
	v_cvt_f32_i32_e32 v47, v47
	s_waitcnt vmcnt(13)
	v_lshlrev_b32_e32 v45, 16, v45
	v_add_f32_e32 v47, v50, v47
	v_add_f32_e32 v47, v47, v45
	v_and_b32_e32 v45, 0x7f800000, v47
	v_cmp_ne_u32_e64 s[10:11], s56, v45
                                        ; implicit-def: $vgpr45
	s_and_saveexec_b64 s[40:41], s[10:11]
	s_xor_b64 s[10:11], exec, s[40:41]
; %bb.62:                               ;   in Loop: Header=BB262_12 Depth=1
	v_bfe_u32 v45, v47, 16, 1
	v_add3_u32 v45, v47, v45, s57
                                        ; implicit-def: $vgpr47
; %bb.63:                               ;   in Loop: Header=BB262_12 Depth=1
	s_andn2_saveexec_b64 s[40:41], s[10:11]
; %bb.64:                               ;   in Loop: Header=BB262_12 Depth=1
	v_or_b32_e32 v45, 0x10000, v47
	v_cmp_eq_u32_sdwa s[10:11], v47, v1 src0_sel:WORD_0 src1_sel:DWORD
	s_nop 1
	v_cndmask_b32_e64 v45, v45, v47, s[10:11]
; %bb.65:                               ;   in Loop: Header=BB262_12 Depth=1
	s_or_b64 exec, exec, s[40:41]
	v_lshl_add_u64 v[48:49], v[0:1], 1, s[14:15]
	global_store_short_d16_hi v[48:49], v45, off
	s_or_b64 exec, exec, s[12:13]
	v_cmp_ne_u32_e64 s[10:11], 0, v5
	s_and_saveexec_b64 s[40:41], s[10:11]
	s_cbranch_execz .LBB262_39
.LBB262_66:                             ;   in Loop: Header=BB262_12 Depth=1
	v_cvt_f32_i32_e32 v0, v43
	s_waitcnt vmcnt(12)
	v_lshlrev_b32_e32 v7, 16, v7
	v_add_f32_e32 v0, v46, v0
	v_add_f32_e32 v7, v0, v7
	v_and_b32_e32 v0, 0x7f800000, v7
	v_cmp_ne_u32_e64 s[12:13], s56, v0
                                        ; implicit-def: $vgpr0
	s_and_saveexec_b64 s[42:43], s[12:13]
	s_xor_b64 s[12:13], exec, s[42:43]
; %bb.67:                               ;   in Loop: Header=BB262_12 Depth=1
	v_bfe_u32 v0, v7, 16, 1
	v_add3_u32 v0, v7, v0, s57
                                        ; implicit-def: $vgpr7
; %bb.68:                               ;   in Loop: Header=BB262_12 Depth=1
	s_andn2_saveexec_b64 s[42:43], s[12:13]
; %bb.69:                               ;   in Loop: Header=BB262_12 Depth=1
	v_or_b32_e32 v0, 0x10000, v7
	v_cmp_eq_u32_sdwa s[12:13], v7, v1 src0_sel:WORD_0 src1_sel:DWORD
	s_nop 1
	v_cndmask_b32_e64 v0, v0, v7, s[12:13]
; %bb.70:                               ;   in Loop: Header=BB262_12 Depth=1
	s_or_b64 exec, exec, s[42:43]
	v_mov_b32_e32 v7, v1
	v_lshl_add_u64 v[6:7], v[6:7], 1, s[14:15]
	global_store_short_d16_hi v[6:7], v0, off
	s_or_b64 exec, exec, s[40:41]
	v_add_u32_e32 v0, s27, v134
	s_and_saveexec_b64 s[40:41], vcc
	s_cbranch_execz .LBB262_40
.LBB262_71:                             ;   in Loop: Header=BB262_12 Depth=1
	v_cvt_f32_i32_e32 v6, v39
	s_waitcnt vmcnt(11)
	v_lshlrev_b32_e32 v7, 16, v44
	v_add_f32_e32 v6, v42, v6
	v_add_f32_e32 v7, v6, v7
	v_and_b32_e32 v6, 0x7f800000, v7
	v_cmp_ne_u32_e64 s[12:13], s56, v6
                                        ; implicit-def: $vgpr6
	s_and_saveexec_b64 s[42:43], s[12:13]
	s_xor_b64 s[12:13], exec, s[42:43]
; %bb.72:                               ;   in Loop: Header=BB262_12 Depth=1
	v_bfe_u32 v6, v7, 16, 1
	v_add3_u32 v6, v7, v6, s57
                                        ; implicit-def: $vgpr7
; %bb.73:                               ;   in Loop: Header=BB262_12 Depth=1
	s_andn2_saveexec_b64 s[42:43], s[12:13]
; %bb.74:                               ;   in Loop: Header=BB262_12 Depth=1
	v_or_b32_e32 v6, 0x10000, v7
	v_cmp_eq_u32_sdwa s[12:13], v7, v1 src0_sel:WORD_0 src1_sel:DWORD
	s_nop 1
	v_cndmask_b32_e64 v6, v6, v7, s[12:13]
; %bb.75:                               ;   in Loop: Header=BB262_12 Depth=1
	s_or_b64 exec, exec, s[42:43]
	v_lshl_add_u64 v[42:43], v[0:1], 1, s[14:15]
	global_store_short_d16_hi v[42:43], v6, off
	s_or_b64 exec, exec, s[40:41]
	s_and_saveexec_b64 s[40:41], s[6:7]
	s_cbranch_execz .LBB262_41
.LBB262_76:                             ;   in Loop: Header=BB262_12 Depth=1
	v_cvt_f32_i32_e32 v6, v36
	s_waitcnt vmcnt(10)
	v_lshlrev_b32_e32 v7, 16, v41
	v_add_f32_e32 v6, v38, v6
	v_add_f32_e32 v7, v6, v7
	v_and_b32_e32 v6, 0x7f800000, v7
	v_cmp_ne_u32_e64 s[12:13], s56, v6
                                        ; implicit-def: $vgpr6
	s_and_saveexec_b64 s[42:43], s[12:13]
	s_xor_b64 s[12:13], exec, s[42:43]
; %bb.77:                               ;   in Loop: Header=BB262_12 Depth=1
	v_bfe_u32 v6, v7, 16, 1
	v_add3_u32 v6, v7, v6, s57
                                        ; implicit-def: $vgpr7
; %bb.78:                               ;   in Loop: Header=BB262_12 Depth=1
	s_andn2_saveexec_b64 s[42:43], s[12:13]
; %bb.79:                               ;   in Loop: Header=BB262_12 Depth=1
	v_or_b32_e32 v6, 0x10000, v7
	v_cmp_eq_u32_sdwa s[12:13], v7, v1 src0_sel:WORD_0 src1_sel:DWORD
	s_nop 1
	v_cndmask_b32_e64 v6, v6, v7, s[12:13]
; %bb.80:                               ;   in Loop: Header=BB262_12 Depth=1
	s_or_b64 exec, exec, s[42:43]
	v_add_u32_e32 v38, 1, v0
	v_mov_b32_e32 v39, v1
	v_lshl_add_u64 v[38:39], v[38:39], 1, s[14:15]
	global_store_short_d16_hi v[38:39], v6, off
	s_or_b64 exec, exec, s[40:41]
	s_and_saveexec_b64 s[40:41], s[8:9]
	s_cbranch_execz .LBB262_42
.LBB262_81:                             ;   in Loop: Header=BB262_12 Depth=1
	v_cvt_f32_i32_e32 v6, v35
	s_waitcnt vmcnt(9)
	v_lshlrev_b32_e32 v7, 16, v40
	v_add_f32_e32 v6, v34, v6
	v_add_f32_e32 v7, v6, v7
	v_and_b32_e32 v6, 0x7f800000, v7
	v_cmp_ne_u32_e64 s[12:13], s56, v6
                                        ; implicit-def: $vgpr6
	s_and_saveexec_b64 s[42:43], s[12:13]
	s_xor_b64 s[12:13], exec, s[42:43]
; %bb.82:                               ;   in Loop: Header=BB262_12 Depth=1
	v_bfe_u32 v6, v7, 16, 1
	v_add3_u32 v6, v7, v6, s57
                                        ; implicit-def: $vgpr7
; %bb.83:                               ;   in Loop: Header=BB262_12 Depth=1
	s_andn2_saveexec_b64 s[42:43], s[12:13]
; %bb.84:                               ;   in Loop: Header=BB262_12 Depth=1
	v_or_b32_e32 v6, 0x10000, v7
	v_cmp_eq_u32_sdwa s[12:13], v7, v1 src0_sel:WORD_0 src1_sel:DWORD
	s_nop 1
	v_cndmask_b32_e64 v6, v6, v7, s[12:13]
; %bb.85:                               ;   in Loop: Header=BB262_12 Depth=1
	s_or_b64 exec, exec, s[42:43]
	v_add_u32_e32 v34, 2, v0
	v_mov_b32_e32 v35, v1
	v_lshl_add_u64 v[34:35], v[34:35], 1, s[14:15]
	global_store_short_d16_hi v[34:35], v6, off
	s_or_b64 exec, exec, s[40:41]
	s_and_saveexec_b64 s[40:41], s[10:11]
	s_cbranch_execz .LBB262_43
.LBB262_86:                             ;   in Loop: Header=BB262_12 Depth=1
	v_cvt_f32_i32_e32 v6, v27
	s_waitcnt vmcnt(8)
	v_lshlrev_b32_e32 v7, 16, v37
	v_add_f32_e32 v6, v30, v6
	v_add_f32_e32 v7, v6, v7
	v_and_b32_e32 v6, 0x7f800000, v7
	v_cmp_ne_u32_e64 s[12:13], s56, v6
                                        ; implicit-def: $vgpr6
	s_and_saveexec_b64 s[42:43], s[12:13]
	s_xor_b64 s[12:13], exec, s[42:43]
; %bb.87:                               ;   in Loop: Header=BB262_12 Depth=1
	v_bfe_u32 v6, v7, 16, 1
	v_add3_u32 v6, v7, v6, s57
                                        ; implicit-def: $vgpr7
; %bb.88:                               ;   in Loop: Header=BB262_12 Depth=1
	s_andn2_saveexec_b64 s[42:43], s[12:13]
; %bb.89:                               ;   in Loop: Header=BB262_12 Depth=1
	v_or_b32_e32 v6, 0x10000, v7
	v_cmp_eq_u32_sdwa s[12:13], v7, v1 src0_sel:WORD_0 src1_sel:DWORD
	s_nop 1
	v_cndmask_b32_e64 v6, v6, v7, s[12:13]
; %bb.90:                               ;   in Loop: Header=BB262_12 Depth=1
	s_or_b64 exec, exec, s[42:43]
	v_add_u32_e32 v34, 3, v0
	v_mov_b32_e32 v35, v1
	v_lshl_add_u64 v[34:35], v[34:35], 1, s[14:15]
	global_store_short_d16_hi v[34:35], v6, off
	s_or_b64 exec, exec, s[40:41]
	v_add_u32_e32 v0, s27, v0
	s_and_saveexec_b64 s[40:41], vcc
	s_cbranch_execz .LBB262_44
.LBB262_91:                             ;   in Loop: Header=BB262_12 Depth=1
	v_cvt_f32_i32_e32 v6, v23
	s_waitcnt vmcnt(7)
	v_lshlrev_b32_e32 v7, 16, v33
	v_add_f32_e32 v6, v26, v6
	v_add_f32_e32 v7, v6, v7
	v_and_b32_e32 v6, 0x7f800000, v7
	v_cmp_ne_u32_e64 s[12:13], s56, v6
                                        ; implicit-def: $vgpr6
	s_and_saveexec_b64 s[42:43], s[12:13]
	s_xor_b64 s[12:13], exec, s[42:43]
; %bb.92:                               ;   in Loop: Header=BB262_12 Depth=1
	v_bfe_u32 v6, v7, 16, 1
	v_add3_u32 v6, v7, v6, s57
                                        ; implicit-def: $vgpr7
; %bb.93:                               ;   in Loop: Header=BB262_12 Depth=1
	s_andn2_saveexec_b64 s[42:43], s[12:13]
; %bb.94:                               ;   in Loop: Header=BB262_12 Depth=1
	v_or_b32_e32 v6, 0x10000, v7
	v_cmp_eq_u32_sdwa s[12:13], v7, v1 src0_sel:WORD_0 src1_sel:DWORD
	s_nop 1
	v_cndmask_b32_e64 v6, v6, v7, s[12:13]
; %bb.95:                               ;   in Loop: Header=BB262_12 Depth=1
	s_or_b64 exec, exec, s[42:43]
	v_lshl_add_u64 v[26:27], v[0:1], 1, s[14:15]
	global_store_short_d16_hi v[26:27], v6, off
	s_or_b64 exec, exec, s[40:41]
	s_and_saveexec_b64 s[40:41], s[6:7]
	s_cbranch_execz .LBB262_45
.LBB262_96:                             ;   in Loop: Header=BB262_12 Depth=1
	v_cvt_f32_i32_e32 v6, v21
	s_waitcnt vmcnt(6)
	v_lshlrev_b32_e32 v7, 16, v32
	v_add_f32_e32 v6, v22, v6
	v_add_f32_e32 v7, v6, v7
	v_and_b32_e32 v6, 0x7f800000, v7
	v_cmp_ne_u32_e64 s[12:13], s56, v6
                                        ; implicit-def: $vgpr6
	s_and_saveexec_b64 s[42:43], s[12:13]
	s_xor_b64 s[12:13], exec, s[42:43]
; %bb.97:                               ;   in Loop: Header=BB262_12 Depth=1
	v_bfe_u32 v6, v7, 16, 1
	v_add3_u32 v6, v7, v6, s57
                                        ; implicit-def: $vgpr7
; %bb.98:                               ;   in Loop: Header=BB262_12 Depth=1
	s_andn2_saveexec_b64 s[42:43], s[12:13]
; %bb.99:                               ;   in Loop: Header=BB262_12 Depth=1
	v_or_b32_e32 v6, 0x10000, v7
	v_cmp_eq_u32_sdwa s[12:13], v7, v1 src0_sel:WORD_0 src1_sel:DWORD
	s_nop 1
	v_cndmask_b32_e64 v6, v6, v7, s[12:13]
; %bb.100:                              ;   in Loop: Header=BB262_12 Depth=1
	s_or_b64 exec, exec, s[42:43]
	v_add_u32_e32 v22, 1, v0
	v_mov_b32_e32 v23, v1
	v_lshl_add_u64 v[22:23], v[22:23], 1, s[14:15]
	global_store_short_d16_hi v[22:23], v6, off
	s_or_b64 exec, exec, s[40:41]
	s_and_saveexec_b64 s[40:41], s[8:9]
	s_cbranch_execz .LBB262_46
.LBB262_101:                            ;   in Loop: Header=BB262_12 Depth=1
	v_cvt_f32_i32_e32 v6, v20
	s_waitcnt vmcnt(5)
	v_lshlrev_b32_e32 v7, 16, v31
	v_add_f32_e32 v6, v19, v6
	v_add_f32_e32 v7, v6, v7
	v_and_b32_e32 v6, 0x7f800000, v7
	v_cmp_ne_u32_e64 s[12:13], s56, v6
                                        ; implicit-def: $vgpr6
	s_and_saveexec_b64 s[42:43], s[12:13]
	s_xor_b64 s[12:13], exec, s[42:43]
; %bb.102:                              ;   in Loop: Header=BB262_12 Depth=1
	v_bfe_u32 v6, v7, 16, 1
	v_add3_u32 v6, v7, v6, s57
                                        ; implicit-def: $vgpr7
; %bb.103:                              ;   in Loop: Header=BB262_12 Depth=1
	s_andn2_saveexec_b64 s[42:43], s[12:13]
; %bb.104:                              ;   in Loop: Header=BB262_12 Depth=1
	v_or_b32_e32 v6, 0x10000, v7
	v_cmp_eq_u32_sdwa s[12:13], v7, v1 src0_sel:WORD_0 src1_sel:DWORD
	s_nop 1
	v_cndmask_b32_e64 v6, v6, v7, s[12:13]
; %bb.105:                              ;   in Loop: Header=BB262_12 Depth=1
	s_or_b64 exec, exec, s[42:43]
	v_add_u32_e32 v20, 2, v0
	v_mov_b32_e32 v21, v1
	v_lshl_add_u64 v[20:21], v[20:21], 1, s[14:15]
	global_store_short_d16_hi v[20:21], v6, off
	s_or_b64 exec, exec, s[40:41]
	s_and_saveexec_b64 s[40:41], s[10:11]
	s_cbranch_execz .LBB262_47
.LBB262_106:                            ;   in Loop: Header=BB262_12 Depth=1
	v_cvt_f32_i32_e32 v6, v14
	s_waitcnt vmcnt(4)
	v_lshlrev_b32_e32 v7, 16, v29
	v_add_f32_e32 v6, v18, v6
	v_add_f32_e32 v7, v6, v7
	v_and_b32_e32 v6, 0x7f800000, v7
	v_cmp_ne_u32_e64 s[12:13], s56, v6
                                        ; implicit-def: $vgpr6
	s_and_saveexec_b64 s[42:43], s[12:13]
	s_xor_b64 s[12:13], exec, s[42:43]
; %bb.107:                              ;   in Loop: Header=BB262_12 Depth=1
	v_bfe_u32 v6, v7, 16, 1
	v_add3_u32 v6, v7, v6, s57
                                        ; implicit-def: $vgpr7
; %bb.108:                              ;   in Loop: Header=BB262_12 Depth=1
	s_andn2_saveexec_b64 s[42:43], s[12:13]
; %bb.109:                              ;   in Loop: Header=BB262_12 Depth=1
	v_or_b32_e32 v6, 0x10000, v7
	v_cmp_eq_u32_sdwa s[12:13], v7, v1 src0_sel:WORD_0 src1_sel:DWORD
	s_nop 1
	v_cndmask_b32_e64 v6, v6, v7, s[12:13]
; %bb.110:                              ;   in Loop: Header=BB262_12 Depth=1
	s_or_b64 exec, exec, s[42:43]
	v_add_u32_e32 v18, 3, v0
	v_mov_b32_e32 v19, v1
	v_lshl_add_u64 v[18:19], v[18:19], 1, s[14:15]
	global_store_short_d16_hi v[18:19], v6, off
	s_or_b64 exec, exec, s[40:41]
	v_add_u32_e32 v0, s27, v0
	s_and_saveexec_b64 s[12:13], vcc
	s_cbranch_execz .LBB262_48
.LBB262_111:                            ;   in Loop: Header=BB262_12 Depth=1
	v_cvt_f32_i32_e32 v6, v16
	s_waitcnt vmcnt(3)
	v_lshlrev_b32_e32 v7, 16, v28
	v_add_f32_e32 v6, v15, v6
	v_add_f32_e32 v7, v6, v7
	v_and_b32_e32 v6, 0x7f800000, v7
	v_cmp_ne_u32_e32 vcc, s56, v6
                                        ; implicit-def: $vgpr6
	s_and_saveexec_b64 s[40:41], vcc
	s_xor_b64 s[40:41], exec, s[40:41]
; %bb.112:                              ;   in Loop: Header=BB262_12 Depth=1
	v_bfe_u32 v6, v7, 16, 1
	v_add3_u32 v6, v7, v6, s57
                                        ; implicit-def: $vgpr7
; %bb.113:                              ;   in Loop: Header=BB262_12 Depth=1
	s_andn2_saveexec_b64 s[40:41], s[40:41]
; %bb.114:                              ;   in Loop: Header=BB262_12 Depth=1
	v_or_b32_e32 v6, 0x10000, v7
	v_cmp_eq_u32_sdwa vcc, v7, v1 src0_sel:WORD_0 src1_sel:DWORD
	s_nop 1
	v_cndmask_b32_e32 v6, v6, v7, vcc
; %bb.115:                              ;   in Loop: Header=BB262_12 Depth=1
	s_or_b64 exec, exec, s[40:41]
	v_lshl_add_u64 v[14:15], v[0:1], 1, s[14:15]
	global_store_short_d16_hi v[14:15], v6, off
	s_or_b64 exec, exec, s[12:13]
	s_and_saveexec_b64 s[12:13], s[6:7]
	s_cbranch_execz .LBB262_49
.LBB262_116:                            ;   in Loop: Header=BB262_12 Depth=1
	v_cvt_f32_i32_e32 v6, v13
	s_waitcnt vmcnt(2)
	v_lshlrev_b32_e32 v7, 16, v25
	v_add_f32_e32 v6, v12, v6
	v_add_f32_e32 v7, v6, v7
	v_and_b32_e32 v6, 0x7f800000, v7
	v_cmp_ne_u32_e32 vcc, s56, v6
                                        ; implicit-def: $vgpr6
	s_and_saveexec_b64 s[6:7], vcc
	s_xor_b64 s[6:7], exec, s[6:7]
; %bb.117:                              ;   in Loop: Header=BB262_12 Depth=1
	v_bfe_u32 v6, v7, 16, 1
	v_add3_u32 v6, v7, v6, s57
                                        ; implicit-def: $vgpr7
; %bb.118:                              ;   in Loop: Header=BB262_12 Depth=1
	s_andn2_saveexec_b64 s[6:7], s[6:7]
; %bb.119:                              ;   in Loop: Header=BB262_12 Depth=1
	v_or_b32_e32 v6, 0x10000, v7
	v_cmp_eq_u32_sdwa vcc, v7, v1 src0_sel:WORD_0 src1_sel:DWORD
	s_nop 1
	v_cndmask_b32_e32 v6, v6, v7, vcc
; %bb.120:                              ;   in Loop: Header=BB262_12 Depth=1
	s_or_b64 exec, exec, s[6:7]
	v_add_u32_e32 v12, 1, v0
	v_mov_b32_e32 v13, v1
	v_lshl_add_u64 v[12:13], v[12:13], 1, s[14:15]
	global_store_short_d16_hi v[12:13], v6, off
	s_or_b64 exec, exec, s[12:13]
	s_and_saveexec_b64 s[6:7], s[8:9]
	s_cbranch_execz .LBB262_50
.LBB262_121:                            ;   in Loop: Header=BB262_12 Depth=1
	v_cvt_f32_i32_e32 v6, v11
	s_waitcnt vmcnt(1)
	v_lshlrev_b32_e32 v7, 16, v24
	v_add_f32_e32 v6, v10, v6
	v_add_f32_e32 v7, v6, v7
	v_and_b32_e32 v6, 0x7f800000, v7
	v_cmp_ne_u32_e32 vcc, s56, v6
                                        ; implicit-def: $vgpr6
	s_and_saveexec_b64 s[8:9], vcc
	s_xor_b64 s[8:9], exec, s[8:9]
; %bb.122:                              ;   in Loop: Header=BB262_12 Depth=1
	v_bfe_u32 v6, v7, 16, 1
	v_add3_u32 v6, v7, v6, s57
                                        ; implicit-def: $vgpr7
; %bb.123:                              ;   in Loop: Header=BB262_12 Depth=1
	s_andn2_saveexec_b64 s[8:9], s[8:9]
; %bb.124:                              ;   in Loop: Header=BB262_12 Depth=1
	v_or_b32_e32 v6, 0x10000, v7
	v_cmp_eq_u32_sdwa vcc, v7, v1 src0_sel:WORD_0 src1_sel:DWORD
	s_nop 1
	v_cndmask_b32_e32 v6, v6, v7, vcc
; %bb.125:                              ;   in Loop: Header=BB262_12 Depth=1
	s_or_b64 exec, exec, s[8:9]
	v_add_u32_e32 v10, 2, v0
	v_mov_b32_e32 v11, v1
	v_lshl_add_u64 v[10:11], v[10:11], 1, s[14:15]
	global_store_short_d16_hi v[10:11], v6, off
	s_or_b64 exec, exec, s[6:7]
	s_and_b64 exec, exec, s[10:11]
	s_cbranch_execz .LBB262_131
.LBB262_126:                            ;   in Loop: Header=BB262_12 Depth=1
	v_cvt_f32_i32_e32 v6, v9
	s_waitcnt vmcnt(0)
	v_lshlrev_b32_e32 v7, 16, v17
	v_add_f32_e32 v6, v8, v6
	v_add_f32_e32 v7, v6, v7
	v_and_b32_e32 v6, 0x7f800000, v7
	v_cmp_ne_u32_e32 vcc, s56, v6
                                        ; implicit-def: $vgpr6
	s_and_saveexec_b64 s[6:7], vcc
	s_xor_b64 s[6:7], exec, s[6:7]
; %bb.127:                              ;   in Loop: Header=BB262_12 Depth=1
	v_bfe_u32 v6, v7, 16, 1
	v_add3_u32 v6, v7, v6, s57
                                        ; implicit-def: $vgpr7
; %bb.128:                              ;   in Loop: Header=BB262_12 Depth=1
	s_andn2_saveexec_b64 s[6:7], s[6:7]
; %bb.129:                              ;   in Loop: Header=BB262_12 Depth=1
	v_or_b32_e32 v6, 0x10000, v7
	v_cmp_eq_u32_sdwa vcc, v7, v1 src0_sel:WORD_0 src1_sel:DWORD
	s_nop 1
	v_cndmask_b32_e32 v6, v6, v7, vcc
; %bb.130:                              ;   in Loop: Header=BB262_12 Depth=1
	s_or_b64 exec, exec, s[6:7]
	v_add_u32_e32 v0, 3, v0
	v_lshl_add_u64 v[8:9], v[0:1], 1, s[14:15]
	global_store_short_d16_hi v[8:9], v6, off
.LBB262_131:                            ;   in Loop: Header=BB262_12 Depth=1
	s_or_b64 exec, exec, s[38:39]
	v_add_u32_e32 v134, s48, v134
	v_add_u32_e32 v0, 4, v134
	v_cmp_gt_u32_e32 vcc, s27, v134
	v_cmp_le_u32_e64 s[6:7], s27, v0
	s_and_b64 s[6:7], vcc, s[6:7]
	s_and_saveexec_b64 s[8:9], s[6:7]
	s_cbranch_execz .LBB262_10
; %bb.132:                              ;   in Loop: Header=BB262_12 Depth=1
	v_cmp_ne_u32_e32 vcc, s17, v134
	s_and_saveexec_b64 s[10:11], vcc
	s_cbranch_execz .LBB262_9
; %bb.133:                              ;   in Loop: Header=BB262_12 Depth=1
	v_subrev_u32_e32 v0, s17, v134
	v_cmp_lt_u32_e32 vcc, 1, v0
	s_mov_b64 s[12:13], 0
	s_mov_b64 s[38:39], 0
	v_cndmask_b32_e32 v0, 1, v0, vcc
.LBB262_134:                            ;   Parent Loop BB262_12 Depth=1
                                        ; =>  This Inner Loop Header: Depth=2
	s_cmp_lg_u32 s38, 3
	s_cselect_b64 vcc, -1, 0
	s_cmp_lg_u32 s38, 2
	v_cndmask_b32_e32 v5, 0, v5, vcc
	s_cselect_b64 vcc, -1, 0
	s_cmp_lg_u32 s38, 1
	v_cndmask_b32_e32 v4, 0, v4, vcc
	;; [unrolled: 3-line block ×3, first 2 shown]
	s_cselect_b64 vcc, -1, 0
	s_add_u32 s38, s38, 1
	s_addc_u32 s39, s39, 0
	v_cmp_eq_u32_e64 s[6:7], s38, v0
	s_or_b64 s[12:13], s[6:7], s[12:13]
	v_cndmask_b32_e32 v2, 0, v2, vcc
	s_andn2_b64 exec, exec, s[12:13]
	s_cbranch_execnz .LBB262_134
; %bb.135:                              ;   in Loop: Header=BB262_12 Depth=1
	s_or_b64 exec, exec, s[12:13]
	s_branch .LBB262_9
.LBB262_136:
	s_endpgm
	.section	.rodata,"a",@progbits
	.p2align	6, 0x0
	.amdhsa_kernel _Z16wvSplitK_hf_big_I14__hip_bfloat16Li32ELi4ELi16ELi8ELi2ELi4EEviiiiiiPKT_S3_S3_PS1_ii
		.amdhsa_group_segment_fixed_size 65536
		.amdhsa_private_segment_fixed_size 0
		.amdhsa_kernarg_size 64
		.amdhsa_user_sgpr_count 2
		.amdhsa_user_sgpr_dispatch_ptr 0
		.amdhsa_user_sgpr_queue_ptr 0
		.amdhsa_user_sgpr_kernarg_segment_ptr 1
		.amdhsa_user_sgpr_dispatch_id 0
		.amdhsa_user_sgpr_kernarg_preload_length 0
		.amdhsa_user_sgpr_kernarg_preload_offset 0
		.amdhsa_user_sgpr_private_segment_size 0
		.amdhsa_uses_dynamic_stack 0
		.amdhsa_enable_private_segment 0
		.amdhsa_system_sgpr_workgroup_id_x 1
		.amdhsa_system_sgpr_workgroup_id_y 0
		.amdhsa_system_sgpr_workgroup_id_z 0
		.amdhsa_system_sgpr_workgroup_info 0
		.amdhsa_system_vgpr_workitem_id 1
		.amdhsa_next_free_vgpr 154
		.amdhsa_next_free_sgpr 58
		.amdhsa_accum_offset 156
		.amdhsa_reserve_vcc 1
		.amdhsa_float_round_mode_32 0
		.amdhsa_float_round_mode_16_64 0
		.amdhsa_float_denorm_mode_32 3
		.amdhsa_float_denorm_mode_16_64 3
		.amdhsa_dx10_clamp 1
		.amdhsa_ieee_mode 1
		.amdhsa_fp16_overflow 0
		.amdhsa_tg_split 0
		.amdhsa_exception_fp_ieee_invalid_op 0
		.amdhsa_exception_fp_denorm_src 0
		.amdhsa_exception_fp_ieee_div_zero 0
		.amdhsa_exception_fp_ieee_overflow 0
		.amdhsa_exception_fp_ieee_underflow 0
		.amdhsa_exception_fp_ieee_inexact 0
		.amdhsa_exception_int_div_zero 0
	.end_amdhsa_kernel
	.section	.text._Z16wvSplitK_hf_big_I14__hip_bfloat16Li32ELi4ELi16ELi8ELi2ELi4EEviiiiiiPKT_S3_S3_PS1_ii,"axG",@progbits,_Z16wvSplitK_hf_big_I14__hip_bfloat16Li32ELi4ELi16ELi8ELi2ELi4EEviiiiiiPKT_S3_S3_PS1_ii,comdat
.Lfunc_end262:
	.size	_Z16wvSplitK_hf_big_I14__hip_bfloat16Li32ELi4ELi16ELi8ELi2ELi4EEviiiiiiPKT_S3_S3_PS1_ii, .Lfunc_end262-_Z16wvSplitK_hf_big_I14__hip_bfloat16Li32ELi4ELi16ELi8ELi2ELi4EEviiiiiiPKT_S3_S3_PS1_ii
                                        ; -- End function
	.section	.AMDGPU.csdata,"",@progbits
; Kernel info:
; codeLenInByte = 7876
; NumSgprs: 64
; NumVgprs: 154
; NumAgprs: 0
; TotalNumVgprs: 154
; ScratchSize: 0
; MemoryBound: 0
; FloatMode: 240
; IeeeMode: 1
; LDSByteSize: 65536 bytes/workgroup (compile time only)
; SGPRBlocks: 7
; VGPRBlocks: 19
; NumSGPRsForWavesPerEU: 64
; NumVGPRsForWavesPerEU: 154
; AccumOffset: 156
; Occupancy: 2
; WaveLimiterHint : 0
; COMPUTE_PGM_RSRC2:SCRATCH_EN: 0
; COMPUTE_PGM_RSRC2:USER_SGPR: 2
; COMPUTE_PGM_RSRC2:TRAP_HANDLER: 0
; COMPUTE_PGM_RSRC2:TGID_X_EN: 1
; COMPUTE_PGM_RSRC2:TGID_Y_EN: 0
; COMPUTE_PGM_RSRC2:TGID_Z_EN: 0
; COMPUTE_PGM_RSRC2:TIDIG_COMP_CNT: 1
; COMPUTE_PGM_RSRC3_GFX90A:ACCUM_OFFSET: 38
; COMPUTE_PGM_RSRC3_GFX90A:TG_SPLIT: 0
	.section	.text._Z16wvSplitK_hf_sml_I14__hip_bfloat16Li64ELi1ELi16ELi8ELi4ELi4EEviiiiiiPKT_S3_S3_PS1_ii,"axG",@progbits,_Z16wvSplitK_hf_sml_I14__hip_bfloat16Li64ELi1ELi16ELi8ELi4ELi4EEviiiiiiPKT_S3_S3_PS1_ii,comdat
	.protected	_Z16wvSplitK_hf_sml_I14__hip_bfloat16Li64ELi1ELi16ELi8ELi4ELi4EEviiiiiiPKT_S3_S3_PS1_ii ; -- Begin function _Z16wvSplitK_hf_sml_I14__hip_bfloat16Li64ELi1ELi16ELi8ELi4ELi4EEviiiiiiPKT_S3_S3_PS1_ii
	.globl	_Z16wvSplitK_hf_sml_I14__hip_bfloat16Li64ELi1ELi16ELi8ELi4ELi4EEviiiiiiPKT_S3_S3_PS1_ii
	.p2align	8
	.type	_Z16wvSplitK_hf_sml_I14__hip_bfloat16Li64ELi1ELi16ELi8ELi4ELi4EEviiiiiiPKT_S3_S3_PS1_ii,@function
_Z16wvSplitK_hf_sml_I14__hip_bfloat16Li64ELi1ELi16ELi8ELi4ELi4EEviiiiiiPKT_S3_S3_PS1_ii: ; @_Z16wvSplitK_hf_sml_I14__hip_bfloat16Li64ELi1ELi16ELi8ELi4ELi4EEviiiiiiPKT_S3_S3_PS1_ii
; %bb.0:
	s_load_dwordx4 s[4:7], s[0:1], 0x0
	s_load_dwordx2 s[8:9], s[0:1], 0x10
	s_load_dwordx2 s[10:11], s[0:1], 0x28
	v_and_b32_e32 v2, 0x3ff, v0
	v_bfe_u32 v3, v0, 10, 10
	v_lshlrev_b32_e32 v102, 3, v2
	s_waitcnt lgkmcnt(0)
	s_lshl_b32 s28, s6, 2
	v_lshl_add_u32 v4, v3, 9, v102
	s_min_u32 s3, s28, 0x8000
	v_cmp_gt_u32_e32 vcc, s3, v4
	s_and_saveexec_b64 s[12:13], vcc
	s_cbranch_execz .LBB263_3
; %bb.1:
	s_load_dwordx2 s[14:15], s[0:1], 0x20
	v_mov_b32_e32 v7, 0
	v_lshlrev_b32_e32 v6, 10, v3
	v_lshlrev_b32_e32 v8, 4, v2
	v_mov_b32_e32 v9, v7
	v_lshl_add_u64 v[0:1], v[6:7], 0, v[8:9]
	s_waitcnt lgkmcnt(0)
	v_lshl_add_u64 v[0:1], s[14:15], 0, v[0:1]
	v_add_u32_e32 v5, v6, v8
	s_mov_b64 s[14:15], 0
	s_mov_b64 s[16:17], 0x4000
.LBB263_2:                              ; =>This Inner Loop Header: Depth=1
	global_load_dwordx4 v[6:9], v[0:1], off
	v_add_u32_e32 v4, 0x2000, v4
	v_cmp_le_u32_e32 vcc, s3, v4
	v_lshl_add_u64 v[0:1], v[0:1], 0, s[16:17]
	s_or_b64 s[14:15], vcc, s[14:15]
	s_waitcnt vmcnt(0)
	ds_write_b128 v5, v[6:9]
	v_add_u32_e32 v5, 0x4000, v5
	s_andn2_b64 exec, exec, s[14:15]
	s_cbranch_execnz .LBB263_2
.LBB263_3:
	s_or_b64 exec, exec, s[12:13]
	s_load_dwordx2 s[20:21], s[0:1], 0x38
	s_waitcnt lgkmcnt(0)
	s_barrier
	v_cmp_gt_u32_e32 vcc, s20, v3
	s_and_saveexec_b64 s[12:13], vcc
	s_cbranch_execz .LBB263_38
; %bb.4:
	s_mul_i32 s2, s2, s20
	v_add_u32_e32 v80, s2, v3
	v_cmp_gt_u32_e32 vcc, s7, v80
	s_and_b64 exec, exec, vcc
	s_cbranch_execz .LBB263_38
; %bb.5:
	s_cmp_lg_u32 s4, 0
	s_cselect_b64 s[2:3], -1, 0
	s_add_i32 s29, s4, -8
	s_add_i32 s30, s7, -1
	s_cmp_lg_u64 s[10:11], 0
	s_cselect_b64 s[18:19], -1, 0
	s_abs_i32 s22, s9
	v_cvt_f32_u32_e32 v0, s8
	v_cvt_f32_u32_e32 v1, s22
	s_mul_i32 s9, s21, s20
	s_sub_i32 s20, 0, s8
	v_rcp_iflag_f32_e32 v0, v0
	v_rcp_iflag_f32_e32 v1, v1
	s_load_dwordx2 s[12:13], s[0:1], 0x18
	s_load_dwordx2 s[14:15], s[0:1], 0x30
	v_cmp_eq_u32_e64 s[0:1], 63, v2
	v_mul_f32_e32 v0, 0x4f7ffffe, v0
	v_mul_f32_e32 v1, 0x4f7ffffe, v1
	v_cvt_u32_f32_e32 v0, v0
	v_cvt_u32_f32_e32 v1, v1
	s_mov_b64 s[16:17], 0
	v_mov_b32_e32 v83, 0
	v_mul_lo_u32 v3, s20, v0
	s_sub_i32 s20, 0, s22
	v_readfirstlane_b32 s21, v1
	s_mul_i32 s20, s20, s21
	s_mul_hi_u32 s20, s21, s20
	s_add_i32 s21, s21, s20
	s_sub_i32 s20, 1, s22
	s_cmp_lt_u32 s22, 2
	s_cselect_b32 s20, s20, 1
	s_sub_i32 s23, s20, s22
	s_cmp_ge_u32 s20, s22
	s_cselect_b32 s31, s23, s20
	s_lshr_b32 s20, s21, 31
	s_mul_i32 s20, s20, s22
	s_sub_i32 s20, 2, s20
	s_sub_i32 s23, s20, s22
	s_cmp_ge_u32 s20, s22
	s_cselect_b32 s20, s23, s20
	s_sub_i32 s23, s20, s22
	s_cmp_ge_u32 s20, s22
	s_cselect_b32 s33, s23, s20
	s_mul_hi_u32 s20, s21, 3
	s_mul_i32 s20, s20, s22
	s_sub_i32 s20, 3, s20
	s_sub_i32 s21, s20, s22
	s_cmp_ge_u32 s20, s22
	s_cselect_b32 s20, s21, s20
	s_sub_i32 s21, s20, s22
	v_mul_hi_u32 v3, v0, v3
	s_cmp_ge_u32 s20, s22
	v_add_u32_e32 v103, v0, v3
	s_cselect_b32 s34, s21, s20
	v_cndmask_b32_e64 v0, 0, 1, s[2:3]
	s_mul_i32 s31, s31, s8
	s_mul_i32 s33, s33, s8
	;; [unrolled: 1-line block ×4, first 2 shown]
	v_lshlrev_b32_e32 v104, 4, v2
	s_lshl_b32 s6, s6, 1
	v_cmp_ne_u32_e64 s[2:3], 1, v0
	s_mov_b32 s36, 0x7f800000
	s_movk_i32 s37, 0x7fff
	s_branch .LBB263_8
.LBB263_6:                              ;   in Loop: Header=BB263_8 Depth=1
	s_or_b64 exec, exec, s[22:23]
	v_add_u32_e32 v82, s7, v82
	v_lshl_add_u64 v[2:3], v[82:83], 1, s[14:15]
	global_store_short_d16_hi v[2:3], v0, off
.LBB263_7:                              ;   in Loop: Header=BB263_8 Depth=1
	s_or_b64 exec, exec, s[20:21]
	v_add_u32_e32 v80, s9, v80
	v_cmp_le_u32_e32 vcc, s7, v80
	s_or_b64 s[16:17], vcc, s[16:17]
	s_andn2_b64 exec, exec, s[16:17]
	s_cbranch_execz .LBB263_38
.LBB263_8:                              ; =>This Loop Header: Depth=1
                                        ;     Child Loop BB263_14 Depth 2
	s_and_b64 vcc, exec, s[2:3]
	v_mov_b32_e32 v3, v83
	v_mov_b32_e32 v2, v83
	;; [unrolled: 1-line block ×16, first 2 shown]
	s_cbranch_vccnz .LBB263_19
; %bb.9:                                ;   in Loop: Header=BB263_8 Depth=1
	v_min_u32_e32 v0, s30, v80
	v_mul_lo_u32 v82, v0, s5
	v_mov_b32_e32 v12, 0
	s_waitcnt lgkmcnt(0)
	v_lshl_add_u64 v[84:85], v[82:83], 1, s[12:13]
	s_mov_b32 s38, 0
	v_mov_b32_e32 v81, v104
	v_mov_b32_e32 v13, v12
	;; [unrolled: 1-line block ×16, first 2 shown]
	s_branch .LBB263_14
.LBB263_10:                             ;   in Loop: Header=BB263_14 Depth=2
	s_or_b64 exec, exec, s[26:27]
.LBB263_11:                             ;   in Loop: Header=BB263_14 Depth=2
	s_or_b64 exec, exec, s[24:25]
.LBB263_12:                             ;   in Loop: Header=BB263_14 Depth=2
	s_or_b64 exec, exec, s[22:23]
.LBB263_13:                             ;   in Loop: Header=BB263_14 Depth=2
	s_or_b64 exec, exec, s[20:21]
	s_waitcnt vmcnt(3) lgkmcnt(4)
	v_mfma_f32_4x4x4_16b_bf16 v[12:15], v[64:65], v[28:29], v[12:15]
	s_addk_i32 s38, 0x800
	s_waitcnt lgkmcnt(3)
	v_mfma_f32_4x4x4_16b_bf16 v[8:11], v[40:41], v[28:29], v[8:11]
	v_add_u32_e32 v81, 0x1000, v81
	s_waitcnt lgkmcnt(2)
	v_mfma_f32_4x4x4_16b_bf16 v[4:7], v[88:89], v[28:29], v[4:7]
	s_cmp_ge_u32 s38, s4
	s_waitcnt lgkmcnt(0)
	v_mfma_f32_4x4x4_16b_bf16 v[0:3], v[32:33], v[28:29], v[0:3]
	v_mfma_f32_4x4x4_16b_bf16 v[12:15], v[66:67], v[30:31], v[12:15]
	v_mfma_f32_4x4x4_16b_bf16 v[8:11], v[42:43], v[30:31], v[8:11]
	v_mfma_f32_4x4x4_16b_bf16 v[4:7], v[86:87], v[30:31], v[4:7]
	v_mfma_f32_4x4x4_16b_bf16 v[0:3], v[34:35], v[30:31], v[0:3]
	s_waitcnt vmcnt(2)
	v_mfma_f32_4x4x4_16b_bf16 v[12:15], v[52:53], v[24:25], v[12:15]
	v_mfma_f32_4x4x4_16b_bf16 v[8:11], v[56:57], v[24:25], v[8:11]
	v_mfma_f32_4x4x4_16b_bf16 v[4:7], v[92:93], v[24:25], v[4:7]
	v_mfma_f32_4x4x4_16b_bf16 v[0:3], v[36:37], v[24:25], v[0:3]
	v_mfma_f32_4x4x4_16b_bf16 v[12:15], v[54:55], v[26:27], v[12:15]
	v_mfma_f32_4x4x4_16b_bf16 v[8:11], v[58:59], v[26:27], v[8:11]
	v_mfma_f32_4x4x4_16b_bf16 v[4:7], v[90:91], v[26:27], v[4:7]
	v_mfma_f32_4x4x4_16b_bf16 v[0:3], v[38:39], v[26:27], v[0:3]
	s_waitcnt vmcnt(1)
	v_mfma_f32_4x4x4_16b_bf16 v[12:15], v[44:45], v[20:21], v[12:15]
	v_mfma_f32_4x4x4_16b_bf16 v[8:11], v[60:61], v[20:21], v[8:11]
	v_mfma_f32_4x4x4_16b_bf16 v[4:7], v[94:95], v[20:21], v[4:7]
	;; [unrolled: 9-line block ×3, first 2 shown]
	v_mfma_f32_4x4x4_16b_bf16 v[0:3], v[68:69], v[16:17], v[0:3]
	v_mfma_f32_4x4x4_16b_bf16 v[12:15], v[50:51], v[18:19], v[12:15]
	;; [unrolled: 1-line block ×5, first 2 shown]
	s_cbranch_scc1 .LBB263_19
.LBB263_14:                             ;   Parent Loop BB263_8 Depth=1
                                        ; =>  This Inner Loop Header: Depth=2
	v_add_u32_e32 v36, s38, v102
	v_min_u32_e32 v82, s29, v36
	v_add_u32_e32 v109, 0x200, v36
	v_lshl_add_u64 v[16:17], v[82:83], 1, v[84:85]
	v_min_u32_e32 v82, s29, v109
	v_add_u32_e32 v106, 0x400, v36
	v_lshl_add_u64 v[18:19], v[82:83], 1, v[84:85]
	;; [unrolled: 3-line block ×3, first 2 shown]
	v_min_u32_e32 v82, s29, v105
	global_load_dwordx4 v[28:31], v[16:17], off nt
	global_load_dwordx4 v[24:27], v[18:19], off nt
	v_lshl_add_u64 v[34:35], v[82:83], 1, v[84:85]
	global_load_dwordx4 v[20:23], v[32:33], off nt
	global_load_dwordx4 v[16:19], v[34:35], off nt
	v_cmp_gt_u32_e32 vcc, s4, v36
	v_mov_b32_e32 v70, 0
	v_mov_b32_e32 v71, 0
	;; [unrolled: 1-line block ×64, first 2 shown]
	s_and_saveexec_b64 s[20:21], vcc
	s_cbranch_execz .LBB263_13
; %bb.15:                               ;   in Loop: Header=BB263_14 Depth=2
	v_add_u32_e32 v82, s6, v81
	v_add_u32_e32 v107, s28, v81
	ds_read_b128 v[64:67], v81
	ds_read_b128 v[40:43], v82
	ds_read2_b32 v[88:89], v107 offset1:1
	v_add_u32_e32 v108, s35, v81
	ds_read2_b32 v[86:87], v107 offset0:2 offset1:3
	ds_read_b128 v[32:35], v108
	v_cmp_gt_u32_e32 vcc, s4, v109
	v_mov_b32_e32 v53, 0
	v_mov_b32_e32 v52, 0
	;; [unrolled: 1-line block ×48, first 2 shown]
	s_and_saveexec_b64 s[22:23], vcc
	s_cbranch_execz .LBB263_12
; %bb.16:                               ;   in Loop: Header=BB263_14 Depth=2
	v_add_u32_e32 v36, 0x400, v107
	v_add_u32_e32 v37, 0x408, v107
	ds_read_b128 v[52:55], v81 offset:1024
	ds_read2_b32 v[92:93], v36 offset1:1
	ds_read2_b32 v[90:91], v37 offset1:1
	ds_read_b128 v[56:59], v82 offset:1024
	ds_read_b128 v[36:39], v108 offset:1024
	v_cmp_gt_u32_e32 vcc, s4, v106
	v_mov_b32_e32 v45, 0
	v_mov_b32_e32 v44, 0
	v_mov_b32_e32 v47, 0
	v_mov_b32_e32 v46, 0
	v_mov_b32_e32 v49, 0
	v_mov_b32_e32 v48, 0
	v_mov_b32_e32 v51, 0
	v_mov_b32_e32 v50, 0
	v_mov_b32_e32 v61, 0
	v_mov_b32_e32 v60, 0
	v_mov_b32_e32 v63, 0
	v_mov_b32_e32 v62, 0
	v_mov_b32_e32 v77, 0
	v_mov_b32_e32 v76, 0
	v_mov_b32_e32 v79, 0
	v_mov_b32_e32 v78, 0
	v_mov_b32_e32 v95, 0
	v_mov_b32_e32 v94, 0
	v_mov_b32_e32 v97, 0
	v_mov_b32_e32 v96, 0
	v_mov_b32_e32 v99, 0
	v_mov_b32_e32 v98, 0
	v_mov_b32_e32 v101, 0
	v_mov_b32_e32 v100, 0
	v_mov_b32_e32 v73, 0
	v_mov_b32_e32 v72, 0
	v_mov_b32_e32 v75, 0
	v_mov_b32_e32 v74, 0
	v_mov_b32_e32 v69, 0
	v_mov_b32_e32 v68, 0
	v_mov_b32_e32 v71, 0
	v_mov_b32_e32 v70, 0
	s_and_saveexec_b64 s[24:25], vcc
	s_cbranch_execz .LBB263_11
; %bb.17:                               ;   in Loop: Header=BB263_14 Depth=2
	v_add_u32_e32 v48, 0x800, v107
	ds_read_b128 v[44:47], v81 offset:2048
	v_add_u32_e32 v49, 0x808, v107
	ds_read2_b32 v[94:95], v48 offset1:1
	ds_read2_b32 v[96:97], v49 offset1:1
	ds_read_b128 v[60:63], v82 offset:2048
	ds_read_b128 v[72:75], v108 offset:2048
	v_cmp_gt_u32_e32 vcc, s4, v105
	v_mov_b32_e32 v49, 0
	v_mov_b32_e32 v48, 0
	;; [unrolled: 1-line block ×16, first 2 shown]
	s_and_saveexec_b64 s[26:27], vcc
	s_cbranch_execz .LBB263_10
; %bb.18:                               ;   in Loop: Header=BB263_14 Depth=2
	v_add_u32_e32 v68, 0xc00, v107
	v_add_u32_e32 v69, 0xc08, v107
	ds_read_b128 v[48:51], v81 offset:3072
	ds_read2_b32 v[98:99], v68 offset1:1
	ds_read2_b32 v[100:101], v69 offset1:1
	ds_read_b128 v[76:79], v82 offset:3072
	ds_read_b128 v[68:71], v108 offset:3072
	s_branch .LBB263_10
.LBB263_19:                             ;   in Loop: Header=BB263_8 Depth=1
	; sched_barrier mask(0x00000000)
	s_nop 0
	v_cvt_i32_f32_e32 v13, v13
	v_cvt_i32_f32_e32 v14, v14
	;; [unrolled: 1-line block ×4, first 2 shown]
	v_cvt_f32_i32_dpp v13, v13 row_shl:1 row_mask:0xf bank_mask:0xf bound_ctrl:1
	v_cvt_f32_i32_dpp v14, v14 row_shl:2 row_mask:0xf bank_mask:0xf bound_ctrl:1
	v_cvt_i32_f32_e32 v10, v10
	v_cvt_f32_i32_dpp v15, v15 row_shl:3 row_mask:0xf bank_mask:0xf bound_ctrl:1
	v_cvt_i32_f32_e32 v11, v11
	v_cvt_i32_f32_e32 v5, v5
	v_add_f32_e32 v12, v12, v13
	v_cvt_f32_i32_dpp v9, v9 row_shl:1 row_mask:0xf bank_mask:0xf bound_ctrl:1
	v_cvt_i32_f32_e32 v1, v1
	v_add_f32_e32 v12, v12, v14
	v_cvt_f32_i32_dpp v10, v10 row_shl:2 row_mask:0xf bank_mask:0xf bound_ctrl:1
	v_cvt_i32_f32_e32 v6, v6
	v_cvt_i32_f32_e32 v2, v2
	v_add_f32_e32 v12, v12, v15
	v_cvt_f32_i32_dpp v11, v11 row_shl:3 row_mask:0xf bank_mask:0xf bound_ctrl:1
	v_cvt_f32_i32_dpp v5, v5 row_shl:1 row_mask:0xf bank_mask:0xf bound_ctrl:1
	v_cvt_i32_f32_e32 v7, v7
	v_cvt_i32_f32_e32 v3, v3
	;; [unrolled: 1-line block ×3, first 2 shown]
	v_add_f32_e32 v8, v8, v9
	v_cvt_f32_i32_dpp v1, v1 row_shl:1 row_mask:0xf bank_mask:0xf bound_ctrl:1
	v_add_f32_e32 v8, v8, v10
	v_cvt_f32_i32_dpp v6, v6 row_shl:2 row_mask:0xf bank_mask:0xf bound_ctrl:1
	v_cvt_f32_i32_dpp v2, v2 row_shl:2 row_mask:0xf bank_mask:0xf bound_ctrl:1
	v_add_f32_e32 v8, v8, v11
	v_add_f32_e32 v4, v4, v5
	v_cvt_f32_i32_dpp v5, v7 row_shl:3 row_mask:0xf bank_mask:0xf bound_ctrl:1
	v_cvt_f32_i32_dpp v3, v3 row_shl:3 row_mask:0xf bank_mask:0xf bound_ctrl:1
	;; [unrolled: 1-line block ×3, first 2 shown]
	v_cvt_i32_f32_e32 v10, v8
	v_add_f32_e32 v0, v0, v1
	v_add_f32_e32 v4, v4, v6
	;; [unrolled: 1-line block ×6, first 2 shown]
	v_cvt_f32_i32_dpp v10, v10 row_shl:4 row_mask:0xf bank_mask:0xf bound_ctrl:1
	v_cvt_i32_f32_e32 v5, v4
	v_cvt_i32_f32_e32 v1, v0
	;; [unrolled: 1-line block ×3, first 2 shown]
	v_add_f32_e32 v8, v8, v10
	v_cvt_f32_i32_dpp v3, v5 row_shl:4 row_mask:0xf bank_mask:0xf bound_ctrl:1
	v_cvt_f32_i32_dpp v1, v1 row_shl:4 row_mask:0xf bank_mask:0xf bound_ctrl:1
	;; [unrolled: 1-line block ×3, first 2 shown]
	v_cvt_i32_f32_e32 v10, v8
	v_add_f32_e32 v3, v4, v3
	v_add_f32_e32 v0, v0, v1
	;; [unrolled: 1-line block ×3, first 2 shown]
	v_cvt_f32_i32_dpp v2, v10 row_shl:8 row_mask:0xf bank_mask:0xf bound_ctrl:1
	v_cvt_i32_f32_e32 v4, v3
	v_cvt_i32_f32_e32 v1, v0
	;; [unrolled: 1-line block ×3, first 2 shown]
	v_add_f32_e32 v2, v8, v2
	v_cvt_f32_i32_dpp v4, v4 row_shl:8 row_mask:0xf bank_mask:0xf bound_ctrl:1
	v_cvt_f32_i32_dpp v1, v1 row_shl:8 row_mask:0xf bank_mask:0xf bound_ctrl:1
	v_cvt_f32_i32_dpp v5, v9 row_shr:15 row_mask:0xf bank_mask:0xf bound_ctrl:1
	v_cvt_i32_f32_e32 v2, v2
	v_add_f32_e32 v3, v3, v4
	v_add_f32_e32 v0, v0, v1
	v_cvt_i32_f32_e32 v6, v5
	v_cvt_f32_i32_dpp v2, v2 row_shr:15 row_mask:0xf bank_mask:0xf bound_ctrl:1
	v_cvt_i32_f32_e32 v3, v3
	v_cvt_i32_f32_e32 v0, v0
	v_cvt_f32_i32_dpp v1, v6 row_bcast:15 row_mask:0xf bank_mask:0xf bound_ctrl:1
	v_cvt_i32_f32_e32 v4, v2
	v_cvt_f32_i32_dpp v3, v3 row_shr:15 row_mask:0xf bank_mask:0xf bound_ctrl:1
	v_cvt_f32_i32_dpp v0, v0 row_shr:15 row_mask:0xf bank_mask:0xf bound_ctrl:1
	v_add_f32_e32 v8, v5, v1
	v_cvt_f32_i32_dpp v4, v4 row_bcast:15 row_mask:0xf bank_mask:0xf bound_ctrl:1
	v_cvt_i32_f32_e32 v1, v3
	v_cvt_i32_f32_e32 v6, v0
	v_cvt_i32_f32_e32 v7, v8
	v_add_f32_e32 v5, v2, v4
	v_cvt_f32_i32_dpp v1, v1 row_bcast:15 row_mask:0xf bank_mask:0xf bound_ctrl:1
	v_cvt_f32_i32_dpp v4, v6 row_bcast:15 row_mask:0xf bank_mask:0xf bound_ctrl:1
	v_cvt_i32_f32_e32 v6, v5
	v_mov_b32_dpp v9, v7 row_bcast:31 row_mask:0xf bank_mask:0xf bound_ctrl:1
	v_add_f32_e32 v2, v3, v1
	v_add_f32_e32 v0, v0, v4
	v_cvt_i32_f32_e32 v1, v2
	v_cvt_i32_f32_e32 v3, v0
	v_mov_b32_dpp v7, v6 row_bcast:31 row_mask:0xf bank_mask:0xf bound_ctrl:1
	v_mov_b32_dpp v4, v1 row_bcast:31 row_mask:0xf bank_mask:0xf bound_ctrl:1
	v_mov_b32_dpp v1, v3 row_bcast:31 row_mask:0xf bank_mask:0xf bound_ctrl:1
	s_and_saveexec_b64 s[20:21], s[0:1]
	s_cbranch_execz .LBB263_7
; %bb.20:                               ;   in Loop: Header=BB263_8 Depth=1
	s_andn2_b64 vcc, exec, s[18:19]
	v_mov_b32_e32 v3, 0
	v_mov_b32_e32 v6, 0
	;; [unrolled: 1-line block ×4, first 2 shown]
	s_cbranch_vccnz .LBB263_22
; %bb.21:                               ;   in Loop: Header=BB263_8 Depth=1
	v_mul_hi_u32 v3, v80, v103
	v_mul_lo_u32 v3, v3, s8
	v_sub_u32_e32 v3, v80, v3
	v_subrev_u32_e32 v6, s8, v3
	v_cmp_le_u32_e32 vcc, s8, v3
	v_mov_b32_e32 v11, v83
	s_nop 0
	v_cndmask_b32_e32 v3, v3, v6, vcc
	v_subrev_u32_e32 v6, s8, v3
	v_cmp_le_u32_e32 vcc, s8, v3
	s_nop 1
	v_cndmask_b32_e32 v82, v3, v6, vcc
	v_add_u32_e32 v10, s31, v82
	v_lshl_add_u64 v[12:13], v[82:83], 1, s[10:11]
	v_lshl_add_u64 v[14:15], v[10:11], 1, s[10:11]
	v_add_u32_e32 v10, s33, v82
	v_add_u32_e32 v82, s34, v82
	v_lshl_add_u64 v[16:17], v[10:11], 1, s[10:11]
	v_lshl_add_u64 v[18:19], v[82:83], 1, s[10:11]
	global_load_ushort v11, v[12:13], off
	global_load_ushort v10, v[14:15], off
	;; [unrolled: 1-line block ×4, first 2 shown]
.LBB263_22:                             ;   in Loop: Header=BB263_8 Depth=1
	v_cvt_f32_i32_e32 v9, v9
	v_add_f32_e32 v8, v8, v9
	s_waitcnt vmcnt(3)
	v_lshlrev_b32_e32 v9, 16, v11
	v_add_f32_e32 v9, v8, v9
	v_and_b32_e32 v8, 0x7f800000, v9
	v_cmp_ne_u32_e32 vcc, s36, v8
                                        ; implicit-def: $vgpr8
	s_and_saveexec_b64 s[22:23], vcc
	s_xor_b64 s[22:23], exec, s[22:23]
; %bb.23:                               ;   in Loop: Header=BB263_8 Depth=1
	v_bfe_u32 v8, v9, 16, 1
	v_add3_u32 v8, v9, v8, s37
                                        ; implicit-def: $vgpr9
; %bb.24:                               ;   in Loop: Header=BB263_8 Depth=1
	s_andn2_saveexec_b64 s[22:23], s[22:23]
; %bb.25:                               ;   in Loop: Header=BB263_8 Depth=1
	v_or_b32_e32 v8, 0x10000, v9
	v_cmp_eq_u32_sdwa vcc, v9, v83 src0_sel:WORD_0 src1_sel:DWORD
	s_nop 1
	v_cndmask_b32_e32 v8, v8, v9, vcc
; %bb.26:                               ;   in Loop: Header=BB263_8 Depth=1
	s_or_b64 exec, exec, s[22:23]
	v_cvt_f32_i32_e32 v7, v7
	v_mov_b32_e32 v81, v83
	s_waitcnt lgkmcnt(0)
	v_lshl_add_u64 v[12:13], v[80:81], 1, s[14:15]
	global_store_short_d16_hi v[12:13], v8, off
	v_add_f32_e32 v5, v5, v7
	s_waitcnt vmcnt(3)
	v_lshlrev_b32_e32 v7, 16, v10
	v_add_f32_e32 v7, v5, v7
	v_and_b32_e32 v5, 0x7f800000, v7
	v_cmp_ne_u32_e32 vcc, s36, v5
                                        ; implicit-def: $vgpr5
	s_and_saveexec_b64 s[22:23], vcc
	s_xor_b64 s[22:23], exec, s[22:23]
; %bb.27:                               ;   in Loop: Header=BB263_8 Depth=1
	v_bfe_u32 v5, v7, 16, 1
	v_add3_u32 v5, v7, v5, s37
                                        ; implicit-def: $vgpr7
; %bb.28:                               ;   in Loop: Header=BB263_8 Depth=1
	s_andn2_saveexec_b64 s[22:23], s[22:23]
; %bb.29:                               ;   in Loop: Header=BB263_8 Depth=1
	v_or_b32_e32 v5, 0x10000, v7
	v_cmp_eq_u32_sdwa vcc, v7, v83 src0_sel:WORD_0 src1_sel:DWORD
	s_nop 1
	v_cndmask_b32_e32 v5, v5, v7, vcc
; %bb.30:                               ;   in Loop: Header=BB263_8 Depth=1
	s_or_b64 exec, exec, s[22:23]
	v_cvt_f32_i32_e32 v4, v4
	v_add_u32_e32 v82, s7, v80
	v_lshl_add_u64 v[8:9], v[82:83], 1, s[14:15]
	global_store_short_d16_hi v[8:9], v5, off
	v_add_f32_e32 v2, v2, v4
	s_waitcnt vmcnt(3)
	v_lshlrev_b32_e32 v4, 16, v6
	v_add_f32_e32 v4, v2, v4
	v_and_b32_e32 v2, 0x7f800000, v4
	v_cmp_ne_u32_e32 vcc, s36, v2
                                        ; implicit-def: $vgpr2
	s_and_saveexec_b64 s[22:23], vcc
	s_xor_b64 s[22:23], exec, s[22:23]
; %bb.31:                               ;   in Loop: Header=BB263_8 Depth=1
	v_bfe_u32 v2, v4, 16, 1
	v_add3_u32 v2, v4, v2, s37
                                        ; implicit-def: $vgpr4
; %bb.32:                               ;   in Loop: Header=BB263_8 Depth=1
	s_andn2_saveexec_b64 s[22:23], s[22:23]
; %bb.33:                               ;   in Loop: Header=BB263_8 Depth=1
	v_or_b32_e32 v2, 0x10000, v4
	v_cmp_eq_u32_sdwa vcc, v4, v83 src0_sel:WORD_0 src1_sel:DWORD
	s_nop 1
	v_cndmask_b32_e32 v2, v2, v4, vcc
; %bb.34:                               ;   in Loop: Header=BB263_8 Depth=1
	s_or_b64 exec, exec, s[22:23]
	v_cvt_f32_i32_e32 v1, v1
	v_add_u32_e32 v82, s7, v82
	v_lshl_add_u64 v[4:5], v[82:83], 1, s[14:15]
	global_store_short_d16_hi v[4:5], v2, off
	v_add_f32_e32 v0, v0, v1
	s_waitcnt vmcnt(3)
	v_lshlrev_b32_e32 v1, 16, v3
	v_add_f32_e32 v1, v0, v1
	v_and_b32_e32 v0, 0x7f800000, v1
	v_cmp_ne_u32_e32 vcc, s36, v0
                                        ; implicit-def: $vgpr0
	s_and_saveexec_b64 s[22:23], vcc
	s_xor_b64 s[22:23], exec, s[22:23]
; %bb.35:                               ;   in Loop: Header=BB263_8 Depth=1
	v_bfe_u32 v0, v1, 16, 1
	v_add3_u32 v0, v1, v0, s37
                                        ; implicit-def: $vgpr1
; %bb.36:                               ;   in Loop: Header=BB263_8 Depth=1
	s_andn2_saveexec_b64 s[22:23], s[22:23]
	s_cbranch_execz .LBB263_6
; %bb.37:                               ;   in Loop: Header=BB263_8 Depth=1
	v_or_b32_e32 v0, 0x10000, v1
	v_cmp_eq_u32_sdwa vcc, v1, v83 src0_sel:WORD_0 src1_sel:DWORD
	s_nop 1
	v_cndmask_b32_e32 v0, v0, v1, vcc
	s_branch .LBB263_6
.LBB263_38:
	s_endpgm
	.section	.rodata,"a",@progbits
	.p2align	6, 0x0
	.amdhsa_kernel _Z16wvSplitK_hf_sml_I14__hip_bfloat16Li64ELi1ELi16ELi8ELi4ELi4EEviiiiiiPKT_S3_S3_PS1_ii
		.amdhsa_group_segment_fixed_size 65536
		.amdhsa_private_segment_fixed_size 0
		.amdhsa_kernarg_size 64
		.amdhsa_user_sgpr_count 2
		.amdhsa_user_sgpr_dispatch_ptr 0
		.amdhsa_user_sgpr_queue_ptr 0
		.amdhsa_user_sgpr_kernarg_segment_ptr 1
		.amdhsa_user_sgpr_dispatch_id 0
		.amdhsa_user_sgpr_kernarg_preload_length 0
		.amdhsa_user_sgpr_kernarg_preload_offset 0
		.amdhsa_user_sgpr_private_segment_size 0
		.amdhsa_uses_dynamic_stack 0
		.amdhsa_enable_private_segment 0
		.amdhsa_system_sgpr_workgroup_id_x 1
		.amdhsa_system_sgpr_workgroup_id_y 0
		.amdhsa_system_sgpr_workgroup_id_z 0
		.amdhsa_system_sgpr_workgroup_info 0
		.amdhsa_system_vgpr_workitem_id 1
		.amdhsa_next_free_vgpr 110
		.amdhsa_next_free_sgpr 39
		.amdhsa_accum_offset 112
		.amdhsa_reserve_vcc 1
		.amdhsa_float_round_mode_32 0
		.amdhsa_float_round_mode_16_64 0
		.amdhsa_float_denorm_mode_32 3
		.amdhsa_float_denorm_mode_16_64 3
		.amdhsa_dx10_clamp 1
		.amdhsa_ieee_mode 1
		.amdhsa_fp16_overflow 0
		.amdhsa_tg_split 0
		.amdhsa_exception_fp_ieee_invalid_op 0
		.amdhsa_exception_fp_denorm_src 0
		.amdhsa_exception_fp_ieee_div_zero 0
		.amdhsa_exception_fp_ieee_overflow 0
		.amdhsa_exception_fp_ieee_underflow 0
		.amdhsa_exception_fp_ieee_inexact 0
		.amdhsa_exception_int_div_zero 0
	.end_amdhsa_kernel
	.section	.text._Z16wvSplitK_hf_sml_I14__hip_bfloat16Li64ELi1ELi16ELi8ELi4ELi4EEviiiiiiPKT_S3_S3_PS1_ii,"axG",@progbits,_Z16wvSplitK_hf_sml_I14__hip_bfloat16Li64ELi1ELi16ELi8ELi4ELi4EEviiiiiiPKT_S3_S3_PS1_ii,comdat
.Lfunc_end263:
	.size	_Z16wvSplitK_hf_sml_I14__hip_bfloat16Li64ELi1ELi16ELi8ELi4ELi4EEviiiiiiPKT_S3_S3_PS1_ii, .Lfunc_end263-_Z16wvSplitK_hf_sml_I14__hip_bfloat16Li64ELi1ELi16ELi8ELi4ELi4EEviiiiiiPKT_S3_S3_PS1_ii
                                        ; -- End function
	.section	.AMDGPU.csdata,"",@progbits
; Kernel info:
; codeLenInByte = 3184
; NumSgprs: 45
; NumVgprs: 110
; NumAgprs: 0
; TotalNumVgprs: 110
; ScratchSize: 0
; MemoryBound: 0
; FloatMode: 240
; IeeeMode: 1
; LDSByteSize: 65536 bytes/workgroup (compile time only)
; SGPRBlocks: 5
; VGPRBlocks: 13
; NumSGPRsForWavesPerEU: 45
; NumVGPRsForWavesPerEU: 110
; AccumOffset: 112
; Occupancy: 4
; WaveLimiterHint : 0
; COMPUTE_PGM_RSRC2:SCRATCH_EN: 0
; COMPUTE_PGM_RSRC2:USER_SGPR: 2
; COMPUTE_PGM_RSRC2:TRAP_HANDLER: 0
; COMPUTE_PGM_RSRC2:TGID_X_EN: 1
; COMPUTE_PGM_RSRC2:TGID_Y_EN: 0
; COMPUTE_PGM_RSRC2:TGID_Z_EN: 0
; COMPUTE_PGM_RSRC2:TIDIG_COMP_CNT: 1
; COMPUTE_PGM_RSRC3_GFX90A:ACCUM_OFFSET: 27
; COMPUTE_PGM_RSRC3_GFX90A:TG_SPLIT: 0
	.section	.text._Z12wvSplitK_hf_I14__hip_bfloat16Li64ELi1ELi16ELi8ELi4ELi4EEviiiiiiPKT_S3_S3_PS1_ii,"axG",@progbits,_Z12wvSplitK_hf_I14__hip_bfloat16Li64ELi1ELi16ELi8ELi4ELi4EEviiiiiiPKT_S3_S3_PS1_ii,comdat
	.protected	_Z12wvSplitK_hf_I14__hip_bfloat16Li64ELi1ELi16ELi8ELi4ELi4EEviiiiiiPKT_S3_S3_PS1_ii ; -- Begin function _Z12wvSplitK_hf_I14__hip_bfloat16Li64ELi1ELi16ELi8ELi4ELi4EEviiiiiiPKT_S3_S3_PS1_ii
	.globl	_Z12wvSplitK_hf_I14__hip_bfloat16Li64ELi1ELi16ELi8ELi4ELi4EEviiiiiiPKT_S3_S3_PS1_ii
	.p2align	8
	.type	_Z12wvSplitK_hf_I14__hip_bfloat16Li64ELi1ELi16ELi8ELi4ELi4EEviiiiiiPKT_S3_S3_PS1_ii,@function
_Z12wvSplitK_hf_I14__hip_bfloat16Li64ELi1ELi16ELi8ELi4ELi4EEviiiiiiPKT_S3_S3_PS1_ii: ; @_Z12wvSplitK_hf_I14__hip_bfloat16Li64ELi1ELi16ELi8ELi4ELi4EEviiiiiiPKT_S3_S3_PS1_ii
; %bb.0:
	s_load_dwordx2 s[4:5], s[0:1], 0x38
	s_load_dwordx4 s[8:11], s[0:1], 0x0
	s_load_dwordx2 s[16:17], s[0:1], 0x10
	v_bfe_u32 v3, v0, 10, 10
	v_mov_b32_e32 v99, 1
	s_waitcnt lgkmcnt(0)
	s_mul_i32 s2, s2, s4
	v_add_u32_e32 v96, s2, v3
	v_add_u32_e32 v1, 1, v96
	v_cmp_gt_u32_e32 vcc, s11, v96
	v_cmp_le_u32_e64 s[2:3], s11, v1
	s_and_b64 s[6:7], vcc, s[2:3]
	s_and_saveexec_b64 s[2:3], s[6:7]
; %bb.1:
	v_subrev_u32_e32 v1, s11, v96
	v_cmp_eq_u32_e32 vcc, -1, v1
	s_add_i32 s6, s11, -1
	v_mov_b32_e32 v96, s6
	v_cndmask_b32_e64 v99, 0, 1, vcc
; %bb.2:
	s_or_b64 exec, exec, s[2:3]
	s_load_dwordx4 s[12:15], s[0:1], 0x20
	v_and_b32_e32 v2, 0x3ff, v0
	v_lshlrev_b32_e32 v98, 3, v2
	s_lshl_b32 s33, s10, 2
	v_lshl_add_u32 v4, v3, 9, v98
	s_min_u32 s20, s33, 0x8000
	v_cmp_gt_u32_e32 vcc, s20, v4
	s_and_saveexec_b64 s[2:3], vcc
	s_cbranch_execz .LBB264_5
; %bb.3:
	v_mov_b32_e32 v7, 0
	v_lshlrev_b32_e32 v6, 10, v3
	v_lshlrev_b32_e32 v8, 4, v2
	v_mov_b32_e32 v9, v7
	v_lshl_add_u64 v[0:1], v[6:7], 0, v[8:9]
	s_waitcnt lgkmcnt(0)
	v_lshl_add_u64 v[0:1], s[12:13], 0, v[0:1]
	v_add_u32_e32 v5, v6, v8
	s_mov_b64 s[6:7], 0
	s_mov_b64 s[18:19], 0x4000
.LBB264_4:                              ; =>This Inner Loop Header: Depth=1
	global_load_dwordx4 v[6:9], v[0:1], off
	v_add_u32_e32 v4, 0x2000, v4
	v_cmp_le_u32_e32 vcc, s20, v4
	v_lshl_add_u64 v[0:1], v[0:1], 0, s[18:19]
	s_or_b64 s[6:7], vcc, s[6:7]
	s_waitcnt vmcnt(0)
	ds_write_b128 v5, v[6:9]
	v_add_u32_e32 v5, 0x4000, v5
	s_andn2_b64 exec, exec, s[6:7]
	s_cbranch_execnz .LBB264_4
.LBB264_5:
	s_or_b64 exec, exec, s[2:3]
	v_cmp_gt_u32_e32 vcc, s4, v3
	v_cmp_gt_u32_e64 s[2:3], s11, v96
	s_and_b64 s[2:3], vcc, s[2:3]
	s_waitcnt lgkmcnt(0)
	s_barrier
	s_and_saveexec_b64 s[6:7], s[2:3]
	s_cbranch_execz .LBB264_104
; %bb.6:
	s_cmp_lg_u32 s8, 0
	s_cselect_b64 s[2:3], -1, 0
	s_add_i32 s38, s8, -8
	s_add_i32 s39, s11, -1
	s_cmp_lg_u64 s[14:15], 0
	s_cselect_b64 s[24:25], -1, 0
	s_mul_i32 s40, s5, s4
	s_abs_i32 s4, s17
	v_cvt_f32_u32_e32 v0, s16
	v_cvt_f32_u32_e32 v1, s4
	s_sub_i32 s5, 0, s16
	s_sub_i32 s41, s40, s11
	v_rcp_iflag_f32_e32 v0, v0
	v_rcp_iflag_f32_e32 v1, v1
	s_add_i32 s41, s41, 2
	s_lshl_b32 s17, s10, 1
	v_mul_f32_e32 v0, 0x4f7ffffe, v0
	v_mul_f32_e32 v1, 0x4f7ffffe, v1
	v_cvt_u32_f32_e32 v0, v0
	v_cvt_u32_f32_e32 v1, v1
	s_load_dwordx2 s[18:19], s[0:1], 0x18
	s_load_dwordx2 s[20:21], s[0:1], 0x30
	v_cmp_eq_u32_e64 s[0:1], 63, v2
	v_mul_lo_u32 v3, s5, v0
	s_sub_i32 s5, 0, s4
	v_readfirstlane_b32 s6, v1
	s_mul_i32 s5, s5, s6
	s_mul_hi_u32 s5, s6, s5
	s_add_i32 s6, s6, s5
	s_sub_i32 s5, 1, s4
	s_cmp_lt_u32 s4, 2
	s_cselect_b32 s5, s5, 1
	s_sub_i32 s7, s5, s4
	s_cmp_ge_u32 s5, s4
	s_cselect_b32 s42, s7, s5
	s_lshr_b32 s5, s6, 31
	s_mul_i32 s5, s5, s4
	s_sub_i32 s5, 2, s5
	s_sub_i32 s7, s5, s4
	s_cmp_ge_u32 s5, s4
	s_cselect_b32 s5, s7, s5
	s_sub_i32 s7, s5, s4
	s_cmp_ge_u32 s5, s4
	s_cselect_b32 s43, s7, s5
	s_mul_hi_u32 s5, s6, 3
	s_mul_i32 s5, s5, s4
	s_sub_i32 s5, 3, s5
	s_sub_i32 s6, s5, s4
	s_cmp_ge_u32 s5, s4
	s_cselect_b32 s5, s6, s5
	s_sub_i32 s6, s5, s4
	v_mul_hi_u32 v3, v0, v3
	s_cmp_ge_u32 s5, s4
	v_add_u32_e32 v116, v0, v3
	s_cselect_b32 s44, s6, s5
	v_mad_u64_u32 v[102:103], s[4:5], s10, 3, v[98:99]
	v_cndmask_b32_e64 v0, 0, 1, s[2:3]
	s_mov_b64 s[22:23], 0
	v_mov_b32_e32 v101, 0
	s_mul_i32 s42, s42, s16
	s_mul_i32 s43, s43, s16
	;; [unrolled: 1-line block ×3, first 2 shown]
	v_lshlrev_b32_e32 v117, 4, v2
	s_mul_i32 s45, s10, 6
	v_add_u32_e32 v118, s17, v98
	v_add_u32_e32 v103, s10, v98
	v_cmp_ne_u32_e64 s[2:3], 1, v0
	s_movk_i32 s10, 0x7fff
	s_mov_b32 s46, 0x7f800000
	s_mov_b32 s26, 0
	s_branch .LBB264_9
.LBB264_7:                              ;   in Loop: Header=BB264_9 Depth=1
	s_or_b64 exec, exec, s[6:7]
	v_add_u32_e32 v100, s11, v100
	v_lshl_add_u64 v[2:3], v[100:101], 1, s[20:21]
	global_store_short_d16_hi v[2:3], v0, off
.LBB264_8:                              ;   in Loop: Header=BB264_9 Depth=1
	s_or_b64 exec, exec, s[4:5]
	v_add_u32_e32 v0, s40, v96
	v_add_u32_e32 v1, 1, v0
	v_cmp_le_u32_e32 vcc, s11, v0
	v_cmp_gt_u32_e64 s[4:5], s11, v1
	v_add_u32_e32 v1, s41, v96
	v_cmp_eq_u32_e64 s[6:7], 1, v1
	v_mov_b32_e32 v1, s39
	s_or_b64 vcc, vcc, s[4:5]
	v_cndmask_b32_e32 v96, v1, v0, vcc
	v_cmp_le_u32_e64 s[4:5], s11, v96
	s_or_b64 vcc, vcc, s[6:7]
	s_or_b64 s[22:23], s[4:5], s[22:23]
	v_cndmask_b32_e32 v99, 0, v99, vcc
	s_andn2_b64 exec, exec, s[22:23]
	s_cbranch_execz .LBB264_104
.LBB264_9:                              ; =>This Loop Header: Depth=1
                                        ;     Child Loop BB264_16 Depth 2
	s_and_b64 vcc, exec, s[2:3]
	s_waitcnt vmcnt(0)
	v_mov_b32_e32 v3, v101
	v_mov_b32_e32 v2, v101
	;; [unrolled: 1-line block ×16, first 2 shown]
	s_cbranch_vccnz .LBB264_84
; %bb.10:                               ;   in Loop: Header=BB264_9 Depth=1
	v_min_u32_e32 v0, s39, v96
	v_mul_lo_u32 v100, v0, s9
	v_mov_b32_e32 v12, 0
	s_waitcnt lgkmcnt(0)
	v_lshl_add_u64 v[104:105], v[100:101], 1, s[18:19]
	s_mov_b32 s4, 0
	v_mov_b32_e32 v97, v117
	s_mov_b32 s47, 0
	v_mov_b32_e32 v13, v12
	v_mov_b32_e32 v14, v12
	;; [unrolled: 1-line block ×15, first 2 shown]
	s_branch .LBB264_16
.LBB264_11:                             ;   in Loop: Header=BB264_16 Depth=2
	s_or_b64 exec, exec, s[36:37]
.LBB264_12:                             ;   in Loop: Header=BB264_16 Depth=2
	s_or_b64 exec, exec, s[34:35]
.LBB264_13:                             ;   in Loop: Header=BB264_16 Depth=2
	s_or_b64 exec, exec, s[30:31]
.LBB264_14:                             ;   in Loop: Header=BB264_16 Depth=2
	s_or_b64 exec, exec, s[28:29]
.LBB264_15:                             ;   in Loop: Header=BB264_16 Depth=2
	s_or_b64 exec, exec, s[6:7]
	s_waitcnt vmcnt(0) lgkmcnt(0)
	v_mfma_f32_4x4x4_16b_bf16 v[12:15], v[32:33], v[24:25], v[12:15]
	s_addk_i32 s47, 0x800
	v_mfma_f32_4x4x4_16b_bf16 v[8:11], v[36:37], v[24:25], v[8:11]
	v_add_u32_e32 v97, 0x1000, v97
	v_mfma_f32_4x4x4_16b_bf16 v[4:7], v[40:41], v[24:25], v[4:7]
	s_cmp_ge_u32 s47, s8
	v_mfma_f32_4x4x4_16b_bf16 v[0:3], v[44:45], v[24:25], v[0:3]
	v_mfma_f32_4x4x4_16b_bf16 v[12:15], v[34:35], v[26:27], v[12:15]
	;; [unrolled: 1-line block ×29, first 2 shown]
	s_cbranch_scc1 .LBB264_84
.LBB264_16:                             ;   Parent Loop BB264_9 Depth=1
                                        ; =>  This Inner Loop Header: Depth=2
	v_add_u32_e32 v108, s47, v98
	v_min_u32_e32 v100, s38, v108
	v_add_u32_e32 v114, 0x200, v108
	v_lshl_add_u64 v[16:17], v[100:101], 1, v[104:105]
	v_min_u32_e32 v100, s38, v114
	v_add_u32_e32 v112, 0x400, v108
	v_lshl_add_u64 v[18:19], v[100:101], 1, v[104:105]
	;; [unrolled: 3-line block ×3, first 2 shown]
	v_min_u32_e32 v100, s38, v106
	global_load_dwordx4 v[24:27], v[16:17], off nt
	global_load_dwordx4 v[20:23], v[18:19], off nt
	v_lshl_add_u64 v[34:35], v[100:101], 1, v[104:105]
	global_load_dwordx4 v[28:31], v[32:33], off nt
	global_load_dwordx4 v[16:19], v[34:35], off nt
	s_mov_b32 s5, s4
	v_cmp_gt_u32_e32 vcc, s8, v108
	v_mov_b64_e32 v[32:33], s[4:5]
	v_mov_b32_e32 v85, 0
	v_mov_b32_e32 v84, 0
	;; [unrolled: 1-line block ×4, first 2 shown]
	v_mov_b64_e32 v[34:35], s[4:5]
	v_mov_b64_e32 v[48:49], s[4:5]
	;; [unrolled: 1-line block ×29, first 2 shown]
	s_and_saveexec_b64 s[6:7], vcc
	s_cbranch_execz .LBB264_15
; %bb.17:                               ;   in Loop: Header=BB264_16 Depth=2
	v_cmp_lt_u32_e32 vcc, s10, v108
                                        ; implicit-def: $vgpr32_vgpr33
	s_and_saveexec_b64 s[28:29], vcc
	s_xor_b64 s[28:29], exec, s[28:29]
	s_cbranch_execz .LBB264_19
; %bb.18:                               ;   in Loop: Header=BB264_16 Depth=2
	v_mov_b32_e32 v109, v101
	v_lshl_add_u64 v[32:33], v[108:109], 1, s[12:13]
	global_load_dwordx4 v[32:35], v[32:33], off
.LBB264_19:                             ;   in Loop: Header=BB264_16 Depth=2
	s_andn2_saveexec_b64 s[28:29], s[28:29]
	s_cbranch_execz .LBB264_21
; %bb.20:                               ;   in Loop: Header=BB264_16 Depth=2
	s_waitcnt vmcnt(0)
	ds_read_b128 v[32:35], v97
.LBB264_21:                             ;   in Loop: Header=BB264_16 Depth=2
	s_or_b64 exec, exec, s[28:29]
	v_add_u32_e32 v100, s47, v103
	v_cmp_lt_u32_e32 vcc, s10, v100
                                        ; implicit-def: $vgpr36_vgpr37
	s_and_saveexec_b64 s[28:29], vcc
	s_xor_b64 s[28:29], exec, s[28:29]
	s_cbranch_execz .LBB264_23
; %bb.22:                               ;   in Loop: Header=BB264_16 Depth=2
	v_lshl_add_u64 v[36:37], v[100:101], 1, s[12:13]
	global_load_dwordx4 v[36:39], v[36:37], off
.LBB264_23:                             ;   in Loop: Header=BB264_16 Depth=2
	s_andn2_saveexec_b64 s[28:29], s[28:29]
	s_cbranch_execz .LBB264_25
; %bb.24:                               ;   in Loop: Header=BB264_16 Depth=2
	s_waitcnt vmcnt(0)
	v_add_u32_e32 v36, s17, v97
	ds_read_b128 v[36:39], v36
.LBB264_25:                             ;   in Loop: Header=BB264_16 Depth=2
	s_or_b64 exec, exec, s[28:29]
	v_add_u32_e32 v110, s47, v118
	v_cmp_lt_u32_e32 vcc, s10, v110
                                        ; implicit-def: $vgpr40_vgpr41
	s_and_saveexec_b64 s[28:29], vcc
	s_xor_b64 s[28:29], exec, s[28:29]
	s_cbranch_execz .LBB264_27
; %bb.26:                               ;   in Loop: Header=BB264_16 Depth=2
	v_mov_b32_e32 v111, v101
	v_lshl_add_u64 v[40:41], v[110:111], 1, s[12:13]
	global_load_dwordx4 v[40:43], v[40:41], off
.LBB264_27:                             ;   in Loop: Header=BB264_16 Depth=2
	s_andn2_saveexec_b64 s[28:29], s[28:29]
	s_cbranch_execz .LBB264_29
; %bb.28:                               ;   in Loop: Header=BB264_16 Depth=2
	s_waitcnt vmcnt(0)
	v_add_u32_e32 v42, s33, v97
	ds_read2_b32 v[40:41], v42 offset1:1
	ds_read2_b32 v[42:43], v42 offset0:2 offset1:3
.LBB264_29:                             ;   in Loop: Header=BB264_16 Depth=2
	s_or_b64 exec, exec, s[28:29]
	v_add_u32_e32 v108, s47, v102
	v_cmp_lt_u32_e32 vcc, s10, v108
                                        ; implicit-def: $vgpr44_vgpr45
	s_and_saveexec_b64 s[28:29], vcc
	s_xor_b64 s[28:29], exec, s[28:29]
	s_cbranch_execz .LBB264_31
; %bb.30:                               ;   in Loop: Header=BB264_16 Depth=2
	v_mov_b32_e32 v109, v101
	v_lshl_add_u64 v[44:45], v[108:109], 1, s[12:13]
	global_load_dwordx4 v[44:47], v[44:45], off
.LBB264_31:                             ;   in Loop: Header=BB264_16 Depth=2
	s_andn2_saveexec_b64 s[28:29], s[28:29]
	s_cbranch_execz .LBB264_33
; %bb.32:                               ;   in Loop: Header=BB264_16 Depth=2
	s_waitcnt vmcnt(0)
	v_add_u32_e32 v44, s45, v97
	ds_read_b128 v[44:47], v44
.LBB264_33:                             ;   in Loop: Header=BB264_16 Depth=2
	s_or_b64 exec, exec, s[28:29]
	s_mov_b32 s27, s26
	v_cmp_gt_u32_e32 vcc, s8, v114
	v_mov_b32_e32 v85, 0
	v_mov_b64_e32 v[48:49], s[26:27]
	v_mov_b32_e32 v84, 0
	v_mov_b32_e32 v87, 0
	;; [unrolled: 1-line block ×3, first 2 shown]
	v_mov_b64_e32 v[50:51], s[26:27]
	v_mov_b64_e32 v[64:65], s[26:27]
	;; [unrolled: 1-line block ×21, first 2 shown]
	s_and_saveexec_b64 s[28:29], vcc
	s_cbranch_execz .LBB264_14
; %bb.34:                               ;   in Loop: Header=BB264_16 Depth=2
	v_cmp_lt_u32_e32 vcc, s10, v114
                                        ; implicit-def: $vgpr48_vgpr49
	s_and_saveexec_b64 s[30:31], vcc
	s_xor_b64 s[30:31], exec, s[30:31]
	s_cbranch_execz .LBB264_36
; %bb.35:                               ;   in Loop: Header=BB264_16 Depth=2
	v_mov_b32_e32 v115, v101
	v_lshl_add_u64 v[48:49], v[114:115], 1, s[12:13]
	global_load_dwordx4 v[48:51], v[48:49], off
.LBB264_36:                             ;   in Loop: Header=BB264_16 Depth=2
	s_andn2_saveexec_b64 s[30:31], s[30:31]
	s_cbranch_execz .LBB264_38
; %bb.37:                               ;   in Loop: Header=BB264_16 Depth=2
	s_waitcnt vmcnt(0)
	ds_read_b128 v[48:51], v97 offset:1024
.LBB264_38:                             ;   in Loop: Header=BB264_16 Depth=2
	s_or_b64 exec, exec, s[30:31]
	v_add_u32_e32 v54, 0x200, v100
	v_cmp_lt_u32_e32 vcc, s10, v54
                                        ; implicit-def: $vgpr52_vgpr53
	s_and_saveexec_b64 s[30:31], vcc
	s_xor_b64 s[30:31], exec, s[30:31]
	s_cbranch_execz .LBB264_40
; %bb.39:                               ;   in Loop: Header=BB264_16 Depth=2
	v_mov_b32_e32 v55, v101
	v_lshl_add_u64 v[52:53], v[54:55], 1, s[12:13]
	global_load_dwordx4 v[52:55], v[52:53], off
.LBB264_40:                             ;   in Loop: Header=BB264_16 Depth=2
	s_andn2_saveexec_b64 s[30:31], s[30:31]
	s_cbranch_execz .LBB264_42
; %bb.41:                               ;   in Loop: Header=BB264_16 Depth=2
	s_waitcnt vmcnt(0)
	v_add_u32_e32 v52, s17, v97
	ds_read_b128 v[52:55], v52 offset:1024
.LBB264_42:                             ;   in Loop: Header=BB264_16 Depth=2
	s_or_b64 exec, exec, s[30:31]
	v_add_u32_e32 v58, 0x200, v110
	v_cmp_lt_u32_e32 vcc, s10, v58
                                        ; implicit-def: $vgpr56_vgpr57
	s_and_saveexec_b64 s[30:31], vcc
	s_xor_b64 s[30:31], exec, s[30:31]
	s_cbranch_execz .LBB264_44
; %bb.43:                               ;   in Loop: Header=BB264_16 Depth=2
	v_mov_b32_e32 v59, v101
	v_lshl_add_u64 v[56:57], v[58:59], 1, s[12:13]
	global_load_dwordx4 v[56:59], v[56:57], off
.LBB264_44:                             ;   in Loop: Header=BB264_16 Depth=2
	s_andn2_saveexec_b64 s[30:31], s[30:31]
	s_cbranch_execz .LBB264_46
; %bb.45:                               ;   in Loop: Header=BB264_16 Depth=2
	s_waitcnt vmcnt(0)
	v_add_u32_e32 v56, s33, v97
	v_add_u32_e32 v57, 0x400, v56
	;; [unrolled: 1-line block ×3, first 2 shown]
	ds_read2_b32 v[56:57], v57 offset1:1
	ds_read2_b32 v[58:59], v58 offset1:1
.LBB264_46:                             ;   in Loop: Header=BB264_16 Depth=2
	s_or_b64 exec, exec, s[30:31]
	v_add_u32_e32 v62, 0x200, v108
	v_cmp_lt_u32_e32 vcc, s10, v62
                                        ; implicit-def: $vgpr60_vgpr61
	s_and_saveexec_b64 s[30:31], vcc
	s_xor_b64 s[30:31], exec, s[30:31]
	s_cbranch_execz .LBB264_48
; %bb.47:                               ;   in Loop: Header=BB264_16 Depth=2
	v_mov_b32_e32 v63, v101
	v_lshl_add_u64 v[60:61], v[62:63], 1, s[12:13]
	global_load_dwordx4 v[60:63], v[60:61], off
.LBB264_48:                             ;   in Loop: Header=BB264_16 Depth=2
	s_andn2_saveexec_b64 s[30:31], s[30:31]
	s_cbranch_execz .LBB264_50
; %bb.49:                               ;   in Loop: Header=BB264_16 Depth=2
	s_waitcnt vmcnt(0)
	v_add_u32_e32 v60, s45, v97
	ds_read_b128 v[60:63], v60 offset:1024
.LBB264_50:                             ;   in Loop: Header=BB264_16 Depth=2
	s_or_b64 exec, exec, s[30:31]
	s_mov_b32 s27, s26
	v_cmp_gt_u32_e32 vcc, s8, v112
	v_mov_b32_e32 v85, 0
	v_mov_b64_e32 v[64:65], s[26:27]
	v_mov_b32_e32 v84, 0
	v_mov_b32_e32 v87, 0
	;; [unrolled: 1-line block ×3, first 2 shown]
	v_mov_b64_e32 v[66:67], s[26:27]
	v_mov_b64_e32 v[80:81], s[26:27]
	;; [unrolled: 1-line block ×13, first 2 shown]
	s_and_saveexec_b64 s[30:31], vcc
	s_cbranch_execz .LBB264_13
; %bb.51:                               ;   in Loop: Header=BB264_16 Depth=2
	v_cmp_lt_u32_e32 vcc, s10, v112
                                        ; implicit-def: $vgpr64_vgpr65
	s_and_saveexec_b64 s[34:35], vcc
	s_xor_b64 s[34:35], exec, s[34:35]
	s_cbranch_execz .LBB264_53
; %bb.52:                               ;   in Loop: Header=BB264_16 Depth=2
	v_mov_b32_e32 v113, v101
	v_lshl_add_u64 v[64:65], v[112:113], 1, s[12:13]
	global_load_dwordx4 v[64:67], v[64:65], off
.LBB264_53:                             ;   in Loop: Header=BB264_16 Depth=2
	s_andn2_saveexec_b64 s[34:35], s[34:35]
	s_cbranch_execz .LBB264_55
; %bb.54:                               ;   in Loop: Header=BB264_16 Depth=2
	s_waitcnt vmcnt(0)
	ds_read_b128 v[64:67], v97 offset:2048
.LBB264_55:                             ;   in Loop: Header=BB264_16 Depth=2
	s_or_b64 exec, exec, s[34:35]
	v_add_u32_e32 v70, 0x400, v100
	v_cmp_lt_u32_e32 vcc, s10, v70
                                        ; implicit-def: $vgpr68_vgpr69
	s_and_saveexec_b64 s[34:35], vcc
	s_xor_b64 s[34:35], exec, s[34:35]
	s_cbranch_execz .LBB264_57
; %bb.56:                               ;   in Loop: Header=BB264_16 Depth=2
	v_mov_b32_e32 v71, v101
	v_lshl_add_u64 v[68:69], v[70:71], 1, s[12:13]
	global_load_dwordx4 v[68:71], v[68:69], off
.LBB264_57:                             ;   in Loop: Header=BB264_16 Depth=2
	s_andn2_saveexec_b64 s[34:35], s[34:35]
	s_cbranch_execz .LBB264_59
; %bb.58:                               ;   in Loop: Header=BB264_16 Depth=2
	s_waitcnt vmcnt(0)
	v_add_u32_e32 v68, s17, v97
	ds_read_b128 v[68:71], v68 offset:2048
.LBB264_59:                             ;   in Loop: Header=BB264_16 Depth=2
	s_or_b64 exec, exec, s[34:35]
	v_add_u32_e32 v74, 0x400, v110
	v_cmp_lt_u32_e32 vcc, s10, v74
                                        ; implicit-def: $vgpr72_vgpr73
	s_and_saveexec_b64 s[34:35], vcc
	s_xor_b64 s[34:35], exec, s[34:35]
	s_cbranch_execz .LBB264_61
; %bb.60:                               ;   in Loop: Header=BB264_16 Depth=2
	v_mov_b32_e32 v75, v101
	v_lshl_add_u64 v[72:73], v[74:75], 1, s[12:13]
	global_load_dwordx4 v[72:75], v[72:73], off
.LBB264_61:                             ;   in Loop: Header=BB264_16 Depth=2
	s_andn2_saveexec_b64 s[34:35], s[34:35]
	s_cbranch_execz .LBB264_63
; %bb.62:                               ;   in Loop: Header=BB264_16 Depth=2
	s_waitcnt vmcnt(0)
	v_add_u32_e32 v72, s33, v97
	v_add_u32_e32 v73, 0x800, v72
	;; [unrolled: 1-line block ×3, first 2 shown]
	ds_read2_b32 v[72:73], v73 offset1:1
	ds_read2_b32 v[74:75], v74 offset1:1
.LBB264_63:                             ;   in Loop: Header=BB264_16 Depth=2
	s_or_b64 exec, exec, s[34:35]
	v_add_u32_e32 v78, 0x400, v108
	v_cmp_lt_u32_e32 vcc, s10, v78
                                        ; implicit-def: $vgpr76_vgpr77
	s_and_saveexec_b64 s[34:35], vcc
	s_xor_b64 s[34:35], exec, s[34:35]
	s_cbranch_execz .LBB264_65
; %bb.64:                               ;   in Loop: Header=BB264_16 Depth=2
	v_mov_b32_e32 v79, v101
	v_lshl_add_u64 v[76:77], v[78:79], 1, s[12:13]
	global_load_dwordx4 v[76:79], v[76:77], off
.LBB264_65:                             ;   in Loop: Header=BB264_16 Depth=2
	s_andn2_saveexec_b64 s[34:35], s[34:35]
	s_cbranch_execz .LBB264_67
; %bb.66:                               ;   in Loop: Header=BB264_16 Depth=2
	s_waitcnt vmcnt(0)
	v_add_u32_e32 v76, s45, v97
	ds_read_b128 v[76:79], v76 offset:2048
.LBB264_67:                             ;   in Loop: Header=BB264_16 Depth=2
	s_or_b64 exec, exec, s[34:35]
	s_mov_b32 s27, s26
	v_cmp_gt_u32_e32 vcc, s8, v106
	v_mov_b32_e32 v85, 0
	v_mov_b64_e32 v[80:81], s[26:27]
	v_mov_b32_e32 v84, 0
	v_mov_b32_e32 v87, 0
	;; [unrolled: 1-line block ×3, first 2 shown]
	v_mov_b64_e32 v[82:83], s[26:27]
	v_mov_b64_e32 v[88:89], s[26:27]
	v_mov_b64_e32 v[90:91], s[26:27]
	v_mov_b64_e32 v[92:93], s[26:27]
	v_mov_b64_e32 v[94:95], s[26:27]
	s_and_saveexec_b64 s[34:35], vcc
	s_cbranch_execz .LBB264_12
; %bb.68:                               ;   in Loop: Header=BB264_16 Depth=2
	v_cmp_lt_u32_e32 vcc, s10, v106
                                        ; implicit-def: $vgpr80_vgpr81
	s_and_saveexec_b64 s[36:37], vcc
	s_xor_b64 s[36:37], exec, s[36:37]
	s_cbranch_execz .LBB264_70
; %bb.69:                               ;   in Loop: Header=BB264_16 Depth=2
	v_mov_b32_e32 v107, v101
	v_lshl_add_u64 v[80:81], v[106:107], 1, s[12:13]
	global_load_dwordx4 v[80:83], v[80:81], off
.LBB264_70:                             ;   in Loop: Header=BB264_16 Depth=2
	s_andn2_saveexec_b64 s[36:37], s[36:37]
	s_cbranch_execz .LBB264_72
; %bb.71:                               ;   in Loop: Header=BB264_16 Depth=2
	s_waitcnt vmcnt(0)
	ds_read_b128 v[80:83], v97 offset:3072
.LBB264_72:                             ;   in Loop: Header=BB264_16 Depth=2
	s_or_b64 exec, exec, s[36:37]
	v_add_u32_e32 v100, 0x600, v100
	v_cmp_lt_u32_e32 vcc, s10, v100
                                        ; implicit-def: $vgpr88_vgpr89
	s_and_saveexec_b64 s[36:37], vcc
	s_xor_b64 s[36:37], exec, s[36:37]
	s_cbranch_execz .LBB264_74
; %bb.73:                               ;   in Loop: Header=BB264_16 Depth=2
	v_lshl_add_u64 v[84:85], v[100:101], 1, s[12:13]
	global_load_dwordx4 v[88:91], v[84:85], off
.LBB264_74:                             ;   in Loop: Header=BB264_16 Depth=2
	s_andn2_saveexec_b64 s[36:37], s[36:37]
	s_cbranch_execz .LBB264_76
; %bb.75:                               ;   in Loop: Header=BB264_16 Depth=2
	v_add_u32_e32 v84, s17, v97
	s_waitcnt vmcnt(0)
	ds_read_b128 v[88:91], v84 offset:3072
.LBB264_76:                             ;   in Loop: Header=BB264_16 Depth=2
	s_or_b64 exec, exec, s[36:37]
	v_add_u32_e32 v100, 0x600, v110
	v_cmp_lt_u32_e32 vcc, s10, v100
                                        ; implicit-def: $vgpr92_vgpr93
	s_and_saveexec_b64 s[36:37], vcc
	s_xor_b64 s[36:37], exec, s[36:37]
	s_cbranch_execz .LBB264_78
; %bb.77:                               ;   in Loop: Header=BB264_16 Depth=2
	v_lshl_add_u64 v[84:85], v[100:101], 1, s[12:13]
	global_load_dwordx4 v[92:95], v[84:85], off
.LBB264_78:                             ;   in Loop: Header=BB264_16 Depth=2
	s_andn2_saveexec_b64 s[36:37], s[36:37]
	s_cbranch_execz .LBB264_80
; %bb.79:                               ;   in Loop: Header=BB264_16 Depth=2
	v_add_u32_e32 v84, s33, v97
	v_add_u32_e32 v85, 0xc00, v84
	;; [unrolled: 1-line block ×3, first 2 shown]
	s_waitcnt vmcnt(0)
	ds_read2_b32 v[92:93], v85 offset1:1
	ds_read2_b32 v[94:95], v84 offset1:1
.LBB264_80:                             ;   in Loop: Header=BB264_16 Depth=2
	s_or_b64 exec, exec, s[36:37]
	v_add_u32_e32 v100, 0x600, v108
	v_cmp_lt_u32_e32 vcc, s10, v100
                                        ; implicit-def: $vgpr85
	s_and_saveexec_b64 s[36:37], vcc
	s_xor_b64 s[36:37], exec, s[36:37]
	s_cbranch_execz .LBB264_82
; %bb.81:                               ;   in Loop: Header=BB264_16 Depth=2
	v_lshl_add_u64 v[84:85], v[100:101], 1, s[12:13]
	global_load_dwordx4 v[84:87], v[84:85], off
.LBB264_82:                             ;   in Loop: Header=BB264_16 Depth=2
	s_andn2_saveexec_b64 s[36:37], s[36:37]
	s_cbranch_execz .LBB264_11
; %bb.83:                               ;   in Loop: Header=BB264_16 Depth=2
	s_waitcnt vmcnt(0)
	v_add_u32_e32 v84, s45, v97
	ds_read_b128 v[84:87], v84 offset:3072
	s_branch .LBB264_11
.LBB264_84:                             ;   in Loop: Header=BB264_9 Depth=1
	s_nop 0
	v_cvt_i32_f32_e32 v13, v13
	v_cvt_i32_f32_e32 v14, v14
	;; [unrolled: 1-line block ×4, first 2 shown]
	v_cvt_f32_i32_dpp v13, v13 row_shl:1 row_mask:0xf bank_mask:0xf bound_ctrl:1
	v_cvt_f32_i32_dpp v14, v14 row_shl:2 row_mask:0xf bank_mask:0xf bound_ctrl:1
	v_cvt_i32_f32_e32 v10, v10
	v_cvt_f32_i32_dpp v15, v15 row_shl:3 row_mask:0xf bank_mask:0xf bound_ctrl:1
	v_cvt_i32_f32_e32 v11, v11
	v_cvt_i32_f32_e32 v5, v5
	v_add_f32_e32 v12, v12, v13
	v_cvt_f32_i32_dpp v9, v9 row_shl:1 row_mask:0xf bank_mask:0xf bound_ctrl:1
	v_cvt_i32_f32_e32 v1, v1
	v_add_f32_e32 v12, v12, v14
	v_cvt_f32_i32_dpp v10, v10 row_shl:2 row_mask:0xf bank_mask:0xf bound_ctrl:1
	v_cvt_i32_f32_e32 v6, v6
	v_cvt_i32_f32_e32 v2, v2
	v_add_f32_e32 v12, v12, v15
	v_cvt_f32_i32_dpp v11, v11 row_shl:3 row_mask:0xf bank_mask:0xf bound_ctrl:1
	v_cvt_f32_i32_dpp v5, v5 row_shl:1 row_mask:0xf bank_mask:0xf bound_ctrl:1
	v_cvt_i32_f32_e32 v7, v7
	v_cvt_i32_f32_e32 v3, v3
	;; [unrolled: 1-line block ×3, first 2 shown]
	v_add_f32_e32 v8, v8, v9
	v_cvt_f32_i32_dpp v1, v1 row_shl:1 row_mask:0xf bank_mask:0xf bound_ctrl:1
	v_add_f32_e32 v8, v8, v10
	v_cvt_f32_i32_dpp v6, v6 row_shl:2 row_mask:0xf bank_mask:0xf bound_ctrl:1
	v_cvt_f32_i32_dpp v2, v2 row_shl:2 row_mask:0xf bank_mask:0xf bound_ctrl:1
	v_add_f32_e32 v8, v8, v11
	v_add_f32_e32 v4, v4, v5
	v_cvt_f32_i32_dpp v5, v7 row_shl:3 row_mask:0xf bank_mask:0xf bound_ctrl:1
	v_cvt_f32_i32_dpp v3, v3 row_shl:3 row_mask:0xf bank_mask:0xf bound_ctrl:1
	;; [unrolled: 1-line block ×3, first 2 shown]
	v_cvt_i32_f32_e32 v10, v8
	v_add_f32_e32 v0, v0, v1
	v_add_f32_e32 v4, v4, v6
	;; [unrolled: 1-line block ×6, first 2 shown]
	v_cvt_f32_i32_dpp v10, v10 row_shl:4 row_mask:0xf bank_mask:0xf bound_ctrl:1
	v_cvt_i32_f32_e32 v5, v4
	v_cvt_i32_f32_e32 v1, v0
	;; [unrolled: 1-line block ×3, first 2 shown]
	v_add_f32_e32 v8, v8, v10
	v_cvt_f32_i32_dpp v3, v5 row_shl:4 row_mask:0xf bank_mask:0xf bound_ctrl:1
	v_cvt_f32_i32_dpp v1, v1 row_shl:4 row_mask:0xf bank_mask:0xf bound_ctrl:1
	;; [unrolled: 1-line block ×3, first 2 shown]
	v_cvt_i32_f32_e32 v10, v8
	v_add_f32_e32 v3, v4, v3
	v_add_f32_e32 v0, v0, v1
	;; [unrolled: 1-line block ×3, first 2 shown]
	v_cvt_f32_i32_dpp v2, v10 row_shl:8 row_mask:0xf bank_mask:0xf bound_ctrl:1
	v_cvt_i32_f32_e32 v4, v3
	v_cvt_i32_f32_e32 v1, v0
	;; [unrolled: 1-line block ×3, first 2 shown]
	v_add_f32_e32 v2, v8, v2
	v_cvt_f32_i32_dpp v4, v4 row_shl:8 row_mask:0xf bank_mask:0xf bound_ctrl:1
	v_cvt_f32_i32_dpp v1, v1 row_shl:8 row_mask:0xf bank_mask:0xf bound_ctrl:1
	v_cvt_f32_i32_dpp v5, v9 row_shr:15 row_mask:0xf bank_mask:0xf bound_ctrl:1
	v_cvt_i32_f32_e32 v2, v2
	v_add_f32_e32 v3, v3, v4
	v_add_f32_e32 v0, v0, v1
	v_cvt_i32_f32_e32 v6, v5
	v_cvt_f32_i32_dpp v2, v2 row_shr:15 row_mask:0xf bank_mask:0xf bound_ctrl:1
	v_cvt_i32_f32_e32 v3, v3
	v_cvt_i32_f32_e32 v0, v0
	v_cvt_f32_i32_dpp v1, v6 row_bcast:15 row_mask:0xf bank_mask:0xf bound_ctrl:1
	v_cvt_i32_f32_e32 v4, v2
	v_cvt_f32_i32_dpp v3, v3 row_shr:15 row_mask:0xf bank_mask:0xf bound_ctrl:1
	v_cvt_f32_i32_dpp v0, v0 row_shr:15 row_mask:0xf bank_mask:0xf bound_ctrl:1
	v_add_f32_e32 v8, v5, v1
	v_cvt_f32_i32_dpp v4, v4 row_bcast:15 row_mask:0xf bank_mask:0xf bound_ctrl:1
	v_cvt_i32_f32_e32 v1, v3
	v_cvt_i32_f32_e32 v6, v0
	;; [unrolled: 1-line block ×3, first 2 shown]
	v_add_f32_e32 v5, v2, v4
	v_cvt_f32_i32_dpp v1, v1 row_bcast:15 row_mask:0xf bank_mask:0xf bound_ctrl:1
	v_cvt_f32_i32_dpp v4, v6 row_bcast:15 row_mask:0xf bank_mask:0xf bound_ctrl:1
	v_cvt_i32_f32_e32 v6, v5
	v_mov_b32_dpp v9, v7 row_bcast:31 row_mask:0xf bank_mask:0xf bound_ctrl:1
	v_add_f32_e32 v2, v3, v1
	v_add_f32_e32 v0, v0, v4
	v_cvt_i32_f32_e32 v1, v2
	v_cvt_i32_f32_e32 v3, v0
	v_mov_b32_dpp v7, v6 row_bcast:31 row_mask:0xf bank_mask:0xf bound_ctrl:1
	v_mov_b32_dpp v4, v1 row_bcast:31 row_mask:0xf bank_mask:0xf bound_ctrl:1
	;; [unrolled: 1-line block ×3, first 2 shown]
	s_and_saveexec_b64 s[4:5], s[0:1]
	s_cbranch_execz .LBB264_8
; %bb.85:                               ;   in Loop: Header=BB264_9 Depth=1
	s_andn2_b64 vcc, exec, s[24:25]
	v_mov_b32_e32 v3, 0
	v_mov_b32_e32 v6, 0
	;; [unrolled: 1-line block ×4, first 2 shown]
	s_cbranch_vccnz .LBB264_87
; %bb.86:                               ;   in Loop: Header=BB264_9 Depth=1
	v_mul_hi_u32 v3, v96, v116
	v_mul_lo_u32 v3, v3, s16
	v_sub_u32_e32 v3, v96, v3
	v_subrev_u32_e32 v6, s16, v3
	v_cmp_le_u32_e32 vcc, s16, v3
	v_mov_b32_e32 v11, v101
	s_nop 0
	v_cndmask_b32_e32 v3, v3, v6, vcc
	v_subrev_u32_e32 v6, s16, v3
	v_cmp_le_u32_e32 vcc, s16, v3
	s_nop 1
	v_cndmask_b32_e32 v100, v3, v6, vcc
	v_add_u32_e32 v10, s42, v100
	v_lshl_add_u64 v[12:13], v[100:101], 1, s[14:15]
	v_lshl_add_u64 v[14:15], v[10:11], 1, s[14:15]
	v_add_u32_e32 v10, s43, v100
	v_add_u32_e32 v100, s44, v100
	v_lshl_add_u64 v[16:17], v[10:11], 1, s[14:15]
	v_lshl_add_u64 v[18:19], v[100:101], 1, s[14:15]
	global_load_ushort v11, v[12:13], off
	global_load_ushort v10, v[14:15], off
	;; [unrolled: 1-line block ×4, first 2 shown]
.LBB264_87:                             ;   in Loop: Header=BB264_9 Depth=1
	v_cmp_ne_u32_e32 vcc, 0, v99
	s_and_b64 exec, exec, vcc
	s_cbranch_execz .LBB264_8
; %bb.88:                               ;   in Loop: Header=BB264_9 Depth=1
	v_cvt_f32_i32_e32 v9, v9
	v_add_f32_e32 v8, v8, v9
	s_waitcnt vmcnt(3)
	v_lshlrev_b32_e32 v9, 16, v11
	v_add_f32_e32 v9, v8, v9
	v_and_b32_e32 v8, 0x7f800000, v9
	v_cmp_ne_u32_e32 vcc, s46, v8
                                        ; implicit-def: $vgpr8
	s_and_saveexec_b64 s[6:7], vcc
	s_xor_b64 s[6:7], exec, s[6:7]
; %bb.89:                               ;   in Loop: Header=BB264_9 Depth=1
	v_bfe_u32 v8, v9, 16, 1
	v_add3_u32 v8, v9, v8, s10
                                        ; implicit-def: $vgpr9
; %bb.90:                               ;   in Loop: Header=BB264_9 Depth=1
	s_andn2_saveexec_b64 s[6:7], s[6:7]
; %bb.91:                               ;   in Loop: Header=BB264_9 Depth=1
	v_or_b32_e32 v8, 0x10000, v9
	v_cmp_eq_u32_sdwa vcc, v9, v101 src0_sel:WORD_0 src1_sel:DWORD
	s_nop 1
	v_cndmask_b32_e32 v8, v8, v9, vcc
; %bb.92:                               ;   in Loop: Header=BB264_9 Depth=1
	s_or_b64 exec, exec, s[6:7]
	v_cvt_f32_i32_e32 v7, v7
	v_mov_b32_e32 v97, v101
	s_waitcnt lgkmcnt(0)
	v_lshl_add_u64 v[12:13], v[96:97], 1, s[20:21]
	global_store_short_d16_hi v[12:13], v8, off
	v_add_f32_e32 v5, v5, v7
	s_waitcnt vmcnt(3)
	v_lshlrev_b32_e32 v7, 16, v10
	v_add_f32_e32 v7, v5, v7
	v_and_b32_e32 v5, 0x7f800000, v7
	v_cmp_ne_u32_e32 vcc, s46, v5
                                        ; implicit-def: $vgpr5
	s_and_saveexec_b64 s[6:7], vcc
	s_xor_b64 s[6:7], exec, s[6:7]
; %bb.93:                               ;   in Loop: Header=BB264_9 Depth=1
	v_bfe_u32 v5, v7, 16, 1
	v_add3_u32 v5, v7, v5, s10
                                        ; implicit-def: $vgpr7
; %bb.94:                               ;   in Loop: Header=BB264_9 Depth=1
	s_andn2_saveexec_b64 s[6:7], s[6:7]
; %bb.95:                               ;   in Loop: Header=BB264_9 Depth=1
	v_or_b32_e32 v5, 0x10000, v7
	v_cmp_eq_u32_sdwa vcc, v7, v101 src0_sel:WORD_0 src1_sel:DWORD
	s_nop 1
	v_cndmask_b32_e32 v5, v5, v7, vcc
; %bb.96:                               ;   in Loop: Header=BB264_9 Depth=1
	s_or_b64 exec, exec, s[6:7]
	v_cvt_f32_i32_e32 v4, v4
	v_add_u32_e32 v100, s11, v96
	v_lshl_add_u64 v[8:9], v[100:101], 1, s[20:21]
	global_store_short_d16_hi v[8:9], v5, off
	v_add_f32_e32 v2, v2, v4
	s_waitcnt vmcnt(3)
	v_lshlrev_b32_e32 v4, 16, v6
	v_add_f32_e32 v4, v2, v4
	v_and_b32_e32 v2, 0x7f800000, v4
	v_cmp_ne_u32_e32 vcc, s46, v2
                                        ; implicit-def: $vgpr2
	s_and_saveexec_b64 s[6:7], vcc
	s_xor_b64 s[6:7], exec, s[6:7]
; %bb.97:                               ;   in Loop: Header=BB264_9 Depth=1
	v_bfe_u32 v2, v4, 16, 1
	v_add3_u32 v2, v4, v2, s10
                                        ; implicit-def: $vgpr4
; %bb.98:                               ;   in Loop: Header=BB264_9 Depth=1
	s_andn2_saveexec_b64 s[6:7], s[6:7]
; %bb.99:                               ;   in Loop: Header=BB264_9 Depth=1
	v_or_b32_e32 v2, 0x10000, v4
	v_cmp_eq_u32_sdwa vcc, v4, v101 src0_sel:WORD_0 src1_sel:DWORD
	s_nop 1
	v_cndmask_b32_e32 v2, v2, v4, vcc
; %bb.100:                              ;   in Loop: Header=BB264_9 Depth=1
	s_or_b64 exec, exec, s[6:7]
	v_cvt_f32_i32_e32 v1, v1
	v_add_u32_e32 v100, s11, v100
	v_lshl_add_u64 v[4:5], v[100:101], 1, s[20:21]
	global_store_short_d16_hi v[4:5], v2, off
	v_add_f32_e32 v0, v0, v1
	s_waitcnt vmcnt(3)
	v_lshlrev_b32_e32 v1, 16, v3
	v_add_f32_e32 v1, v0, v1
	v_and_b32_e32 v0, 0x7f800000, v1
	v_cmp_ne_u32_e32 vcc, s46, v0
                                        ; implicit-def: $vgpr0
	s_and_saveexec_b64 s[6:7], vcc
	s_xor_b64 s[6:7], exec, s[6:7]
; %bb.101:                              ;   in Loop: Header=BB264_9 Depth=1
	v_bfe_u32 v0, v1, 16, 1
	v_add3_u32 v0, v1, v0, s10
                                        ; implicit-def: $vgpr1
; %bb.102:                              ;   in Loop: Header=BB264_9 Depth=1
	s_andn2_saveexec_b64 s[6:7], s[6:7]
	s_cbranch_execz .LBB264_7
; %bb.103:                              ;   in Loop: Header=BB264_9 Depth=1
	v_or_b32_e32 v0, 0x10000, v1
	v_cmp_eq_u32_sdwa vcc, v1, v101 src0_sel:WORD_0 src1_sel:DWORD
	s_nop 1
	v_cndmask_b32_e32 v0, v0, v1, vcc
	s_branch .LBB264_7
.LBB264_104:
	s_endpgm
	.section	.rodata,"a",@progbits
	.p2align	6, 0x0
	.amdhsa_kernel _Z12wvSplitK_hf_I14__hip_bfloat16Li64ELi1ELi16ELi8ELi4ELi4EEviiiiiiPKT_S3_S3_PS1_ii
		.amdhsa_group_segment_fixed_size 65536
		.amdhsa_private_segment_fixed_size 0
		.amdhsa_kernarg_size 64
		.amdhsa_user_sgpr_count 2
		.amdhsa_user_sgpr_dispatch_ptr 0
		.amdhsa_user_sgpr_queue_ptr 0
		.amdhsa_user_sgpr_kernarg_segment_ptr 1
		.amdhsa_user_sgpr_dispatch_id 0
		.amdhsa_user_sgpr_kernarg_preload_length 0
		.amdhsa_user_sgpr_kernarg_preload_offset 0
		.amdhsa_user_sgpr_private_segment_size 0
		.amdhsa_uses_dynamic_stack 0
		.amdhsa_enable_private_segment 0
		.amdhsa_system_sgpr_workgroup_id_x 1
		.amdhsa_system_sgpr_workgroup_id_y 0
		.amdhsa_system_sgpr_workgroup_id_z 0
		.amdhsa_system_sgpr_workgroup_info 0
		.amdhsa_system_vgpr_workitem_id 1
		.amdhsa_next_free_vgpr 119
		.amdhsa_next_free_sgpr 48
		.amdhsa_accum_offset 120
		.amdhsa_reserve_vcc 1
		.amdhsa_float_round_mode_32 0
		.amdhsa_float_round_mode_16_64 0
		.amdhsa_float_denorm_mode_32 3
		.amdhsa_float_denorm_mode_16_64 3
		.amdhsa_dx10_clamp 1
		.amdhsa_ieee_mode 1
		.amdhsa_fp16_overflow 0
		.amdhsa_tg_split 0
		.amdhsa_exception_fp_ieee_invalid_op 0
		.amdhsa_exception_fp_denorm_src 0
		.amdhsa_exception_fp_ieee_div_zero 0
		.amdhsa_exception_fp_ieee_overflow 0
		.amdhsa_exception_fp_ieee_underflow 0
		.amdhsa_exception_fp_ieee_inexact 0
		.amdhsa_exception_int_div_zero 0
	.end_amdhsa_kernel
	.section	.text._Z12wvSplitK_hf_I14__hip_bfloat16Li64ELi1ELi16ELi8ELi4ELi4EEviiiiiiPKT_S3_S3_PS1_ii,"axG",@progbits,_Z12wvSplitK_hf_I14__hip_bfloat16Li64ELi1ELi16ELi8ELi4ELi4EEviiiiiiPKT_S3_S3_PS1_ii,comdat
.Lfunc_end264:
	.size	_Z12wvSplitK_hf_I14__hip_bfloat16Li64ELi1ELi16ELi8ELi4ELi4EEviiiiiiPKT_S3_S3_PS1_ii, .Lfunc_end264-_Z12wvSplitK_hf_I14__hip_bfloat16Li64ELi1ELi16ELi8ELi4ELi4EEviiiiiiPKT_S3_S3_PS1_ii
                                        ; -- End function
	.section	.AMDGPU.csdata,"",@progbits
; Kernel info:
; codeLenInByte = 3972
; NumSgprs: 54
; NumVgprs: 119
; NumAgprs: 0
; TotalNumVgprs: 119
; ScratchSize: 0
; MemoryBound: 1
; FloatMode: 240
; IeeeMode: 1
; LDSByteSize: 65536 bytes/workgroup (compile time only)
; SGPRBlocks: 6
; VGPRBlocks: 14
; NumSGPRsForWavesPerEU: 54
; NumVGPRsForWavesPerEU: 119
; AccumOffset: 120
; Occupancy: 4
; WaveLimiterHint : 0
; COMPUTE_PGM_RSRC2:SCRATCH_EN: 0
; COMPUTE_PGM_RSRC2:USER_SGPR: 2
; COMPUTE_PGM_RSRC2:TRAP_HANDLER: 0
; COMPUTE_PGM_RSRC2:TGID_X_EN: 1
; COMPUTE_PGM_RSRC2:TGID_Y_EN: 0
; COMPUTE_PGM_RSRC2:TGID_Z_EN: 0
; COMPUTE_PGM_RSRC2:TIDIG_COMP_CNT: 1
; COMPUTE_PGM_RSRC3_GFX90A:ACCUM_OFFSET: 29
; COMPUTE_PGM_RSRC3_GFX90A:TG_SPLIT: 0
	.section	.text._Z16wvSplitK_hf_big_I14__hip_bfloat16Li64ELi1ELi16ELi8ELi4ELi4EEviiiiiiPKT_S3_S3_PS1_ii,"axG",@progbits,_Z16wvSplitK_hf_big_I14__hip_bfloat16Li64ELi1ELi16ELi8ELi4ELi4EEviiiiiiPKT_S3_S3_PS1_ii,comdat
	.protected	_Z16wvSplitK_hf_big_I14__hip_bfloat16Li64ELi1ELi16ELi8ELi4ELi4EEviiiiiiPKT_S3_S3_PS1_ii ; -- Begin function _Z16wvSplitK_hf_big_I14__hip_bfloat16Li64ELi1ELi16ELi8ELi4ELi4EEviiiiiiPKT_S3_S3_PS1_ii
	.globl	_Z16wvSplitK_hf_big_I14__hip_bfloat16Li64ELi1ELi16ELi8ELi4ELi4EEviiiiiiPKT_S3_S3_PS1_ii
	.p2align	8
	.type	_Z16wvSplitK_hf_big_I14__hip_bfloat16Li64ELi1ELi16ELi8ELi4ELi4EEviiiiiiPKT_S3_S3_PS1_ii,@function
_Z16wvSplitK_hf_big_I14__hip_bfloat16Li64ELi1ELi16ELi8ELi4ELi4EEviiiiiiPKT_S3_S3_PS1_ii: ; @_Z16wvSplitK_hf_big_I14__hip_bfloat16Li64ELi1ELi16ELi8ELi4ELi4EEviiiiiiPKT_S3_S3_PS1_ii
; %bb.0:
	s_load_dwordx2 s[4:5], s[0:1], 0x38
	v_bfe_u32 v1, v0, 10, 10
	s_waitcnt lgkmcnt(0)
	v_cmp_gt_u32_e32 vcc, s4, v1
	s_and_saveexec_b64 s[6:7], vcc
	s_cbranch_execz .LBB265_54
; %bb.1:
	s_load_dwordx4 s[20:23], s[0:1], 0x0
	s_mul_i32 s2, s2, s4
	v_add_u32_e32 v96, s2, v1
	v_add_u32_e32 v2, 1, v96
	v_mov_b32_e32 v101, 1
	s_waitcnt lgkmcnt(0)
	v_cmp_gt_u32_e32 vcc, s23, v96
	v_cmp_le_u32_e64 s[2:3], s23, v2
	s_and_b64 s[6:7], vcc, s[2:3]
	s_and_saveexec_b64 s[2:3], s[6:7]
; %bb.2:
	v_subrev_u32_e32 v2, s23, v96
	v_cmp_eq_u32_e32 vcc, -1, v2
	s_add_i32 s6, s23, -1
	v_mov_b32_e32 v96, s6
	v_cndmask_b32_e64 v101, 0, 1, vcc
; %bb.3:
	s_or_b64 exec, exec, s[2:3]
	s_abs_i32 s2, s4
	v_cvt_f32_u32_e32 v2, s2
	s_sub_i32 s7, 0, s2
	s_abs_i32 s6, s23
	s_ashr_i32 s3, s23, 31
	v_rcp_iflag_f32_e32 v2, v2
	s_nop 0
	v_mul_f32_e32 v2, 0x4f7ffffe, v2
	v_cvt_u32_f32_e32 v2, v2
	s_nop 0
	v_readfirstlane_b32 s8, v2
	s_mul_i32 s7, s7, s8
	s_mul_hi_u32 s7, s8, s7
	s_add_i32 s8, s8, s7
	s_mul_hi_u32 s7, s6, s8
	s_mul_i32 s7, s7, s2
	s_sub_i32 s6, s6, s7
	s_sub_i32 s7, s6, s2
	s_cmp_ge_u32 s6, s2
	s_cselect_b32 s6, s7, s6
	s_sub_i32 s7, s6, s2
	s_cmp_ge_u32 s6, s2
	s_cselect_b32 s2, s7, s6
	s_xor_b32 s2, s2, s3
	s_sub_i32 s2, s2, s3
	s_add_i32 s3, s4, s23
	s_sub_i32 s3, s3, s2
	s_cmp_eq_u32 s2, 0
	s_cselect_b32 s33, s23, s3
	v_cmp_gt_u32_e32 vcc, s33, v96
	s_and_b64 exec, exec, vcc
	s_cbranch_execz .LBB265_54
; %bb.4:
	s_load_dwordx8 s[12:19], s[0:1], 0x10
	s_min_u32 s38, s22, 0x2000
	s_cmp_lg_u32 s20, 0
	s_cselect_b64 s[2:3], -1, 0
	s_cmp_lg_u32 s22, 0
	s_cselect_b64 s[6:7], -1, 0
	s_lshl_b32 s39, s4, 9
	s_add_i32 s40, s20, -8
	s_add_i32 s41, s23, -1
	s_waitcnt lgkmcnt(0)
	s_cmp_lg_u64 s[18:19], 0
	s_cselect_b64 s[26:27], -1, 0
	s_abs_i32 s8, s13
	v_cvt_f32_u32_e32 v2, s12
	v_cvt_f32_u32_e32 v3, s8
	s_mul_i32 s42, s5, s4
	s_sub_i32 s5, s42, s23
	v_rcp_iflag_f32_e32 v2, v2
	v_rcp_iflag_f32_e32 v3, v3
	s_add_i32 s13, s5, 2
	s_sub_i32 s5, 0, s12
	v_mul_f32_e32 v2, 0x4f7ffffe, v2
	v_mul_f32_e32 v3, 0x4f7ffffe, v3
	v_cvt_u32_f32_e32 v2, v2
	v_cvt_u32_f32_e32 v3, v3
	s_load_dwordx2 s[10:11], s[0:1], 0x30
	v_and_b32_e32 v0, 0x3ff, v0
	v_mul_lo_u32 v4, s5, v2
	s_sub_i32 s5, 0, s8
	v_readfirstlane_b32 s9, v3
	s_mul_i32 s5, s5, s9
	s_mul_hi_u32 s5, s9, s5
	s_add_i32 s9, s9, s5
	s_sub_i32 s5, 1, s8
	s_cmp_lt_u32 s8, 2
	s_cselect_b32 s5, s5, 1
	s_sub_i32 s28, s5, s8
	s_cmp_ge_u32 s5, s8
	s_cselect_b32 s43, s28, s5
	s_lshr_b32 s5, s9, 31
	s_mul_i32 s5, s5, s8
	s_sub_i32 s5, 2, s5
	s_sub_i32 s28, s5, s8
	s_cmp_ge_u32 s5, s8
	s_cselect_b32 s5, s28, s5
	s_sub_i32 s28, s5, s8
	s_cmp_ge_u32 s5, s8
	s_cselect_b32 s44, s28, s5
	s_mul_hi_u32 s5, s9, 3
	s_mul_i32 s5, s5, s8
	s_sub_i32 s5, 3, s5
	s_sub_i32 s9, s5, s8
	s_cmp_ge_u32 s5, s8
	s_cselect_b32 s5, s9, s5
	v_lshlrev_b32_e32 v106, 3, v0
	v_cmp_eq_u32_e64 s[0:1], 63, v0
	s_sub_i32 s9, s5, s8
	v_lshlrev_b32_e32 v0, 4, v0
	s_cmp_ge_u32 s5, s8
	v_lshl_add_u32 v108, v1, 10, v0
	v_lshl_add_u32 v100, v1, 9, v106
	v_cndmask_b32_e64 v0, 0, 1, s[2:3]
	v_mul_hi_u32 v4, v2, v4
	s_cselect_b32 s45, s9, s5
	s_lshl_b32 s47, s4, 10
	v_mad_u64_u32 v[102:103], s[4:5], s22, 3, v[100:101]
	v_cmp_ne_u32_e64 s[2:3], 1, v0
	v_cndmask_b32_e64 v0, 0, 1, s[6:7]
	s_mov_b64 s[24:25], 0
	v_add_u32_e32 v107, v2, v4
	v_mov_b32_e32 v99, 0
	s_mul_i32 s43, s43, s12
	s_mul_i32 s44, s44, s12
	;; [unrolled: 1-line block ×4, first 2 shown]
	s_lshl_b32 s48, s38, 2
	s_lshl_b32 s49, s38, 1
	v_lshl_add_u32 v109, s22, 1, v100
	v_add_u32_e32 v103, s22, v100
	v_cmp_ne_u32_e64 s[4:5], 1, v0
	s_mov_b32 s50, 0x7f800000
	s_movk_i32 s51, 0x7fff
	s_branch .LBB265_7
.LBB265_5:                              ;   in Loop: Header=BB265_7 Depth=1
	s_or_b64 exec, exec, s[6:7]
.LBB265_6:                              ;   in Loop: Header=BB265_7 Depth=1
	s_or_b64 exec, exec, s[8:9]
	v_cmp_le_u32_e32 vcc, s33, v16
	s_or_b64 s[24:25], vcc, s[24:25]
	v_mov_b32_e32 v96, v16
	s_andn2_b64 exec, exec, s[24:25]
	s_cbranch_execz .LBB265_54
.LBB265_7:                              ; =>This Loop Header: Depth=1
                                        ;     Child Loop BB265_14 Depth 2
                                        ;       Child Loop BB265_19 Depth 3
	s_and_b64 vcc, exec, s[2:3]
	s_waitcnt vmcnt(0)
	v_mov_b32_e32 v3, v99
	v_mov_b32_e32 v2, v99
	v_mov_b32_e32 v1, v99
	v_mov_b32_e32 v0, v99
	v_mov_b32_e32 v7, v99
	v_mov_b32_e32 v6, v99
	v_mov_b32_e32 v5, v99
	v_mov_b32_e32 v4, v99
	v_mov_b32_e32 v11, v99
	v_mov_b32_e32 v10, v99
	v_mov_b32_e32 v9, v99
	v_mov_b32_e32 v8, v99
	v_mov_b32_e32 v15, v99
	v_mov_b32_e32 v14, v99
	v_mov_b32_e32 v13, v99
	v_mov_b32_e32 v12, v99
	s_cbranch_vccnz .LBB265_28
; %bb.8:                                ;   in Loop: Header=BB265_7 Depth=1
	v_min_u32_e32 v0, s41, v96
	v_mul_lo_u32 v98, v0, s21
	v_mov_b32_e32 v12, 0
	v_cmp_gt_u32_e64 s[6:7], s23, v96
	v_lshl_add_u64 v[104:105], v[98:99], 1, s[14:15]
	s_mov_b32 s52, 0
	s_mov_b32 s53, 0
	v_mov_b32_e32 v13, v12
	v_mov_b32_e32 v14, v12
	;; [unrolled: 1-line block ×15, first 2 shown]
	s_branch .LBB265_14
.LBB265_9:                              ;   in Loop: Header=BB265_14 Depth=2
	s_or_b64 exec, exec, s[36:37]
.LBB265_10:                             ;   in Loop: Header=BB265_14 Depth=2
	s_or_b64 exec, exec, s[34:35]
.LBB265_11:                             ;   in Loop: Header=BB265_14 Depth=2
	s_or_b64 exec, exec, s[30:31]
.LBB265_12:                             ;   in Loop: Header=BB265_14 Depth=2
	s_or_b64 exec, exec, s[28:29]
	s_waitcnt vmcnt(3) lgkmcnt(0)
	v_mfma_f32_4x4x4_16b_bf16 v[12:15], v[88:89], v[28:29], v[12:15]
	v_mfma_f32_4x4x4_16b_bf16 v[8:11], v[56:57], v[28:29], v[8:11]
	v_mfma_f32_4x4x4_16b_bf16 v[4:7], v[36:37], v[28:29], v[4:7]
	v_mfma_f32_4x4x4_16b_bf16 v[0:3], v[32:33], v[28:29], v[0:3]
	v_mfma_f32_4x4x4_16b_bf16 v[12:15], v[90:91], v[30:31], v[12:15]
	v_mfma_f32_4x4x4_16b_bf16 v[8:11], v[58:59], v[30:31], v[8:11]
	v_mfma_f32_4x4x4_16b_bf16 v[4:7], v[38:39], v[30:31], v[4:7]
	v_mfma_f32_4x4x4_16b_bf16 v[0:3], v[34:35], v[30:31], v[0:3]
	s_waitcnt vmcnt(2)
	v_mfma_f32_4x4x4_16b_bf16 v[12:15], v[76:77], v[24:25], v[12:15]
	v_mfma_f32_4x4x4_16b_bf16 v[8:11], v[64:65], v[24:25], v[8:11]
	v_mfma_f32_4x4x4_16b_bf16 v[4:7], v[48:49], v[24:25], v[4:7]
	v_mfma_f32_4x4x4_16b_bf16 v[0:3], v[40:41], v[24:25], v[0:3]
	v_mfma_f32_4x4x4_16b_bf16 v[12:15], v[78:79], v[26:27], v[12:15]
	v_mfma_f32_4x4x4_16b_bf16 v[8:11], v[66:67], v[26:27], v[8:11]
	v_mfma_f32_4x4x4_16b_bf16 v[4:7], v[50:51], v[26:27], v[4:7]
	v_mfma_f32_4x4x4_16b_bf16 v[0:3], v[42:43], v[26:27], v[0:3]
	s_waitcnt vmcnt(1)
	;; [unrolled: 9-line block ×3, first 2 shown]
	v_mfma_f32_4x4x4_16b_bf16 v[12:15], v[44:45], v[16:17], v[12:15]
	v_mfma_f32_4x4x4_16b_bf16 v[8:11], v[72:73], v[16:17], v[8:11]
	;; [unrolled: 1-line block ×8, first 2 shown]
.LBB265_13:                             ;   in Loop: Header=BB265_14 Depth=2
	s_or_b64 exec, exec, s[8:9]
	s_addk_i32 s53, 0x800
	s_cmp_ge_u32 s53, s20
	s_cbranch_scc1 .LBB265_28
.LBB265_14:                             ;   Parent Loop BB265_7 Depth=1
                                        ; =>  This Loop Header: Depth=2
                                        ;       Child Loop BB265_19 Depth 3
	s_cmp_eq_u32 s53, 0
	s_cselect_b64 s[8:9], -1, 0
	s_add_i32 s28, s52, s38
	s_cmp_eq_u32 s53, s28
	s_cselect_b64 s[30:31], -1, 0
	s_or_b64 s[30:31], s[8:9], s[30:31]
	s_andn2_b64 vcc, exec, s[30:31]
	s_cbranch_vccz .LBB265_16
; %bb.15:                               ;   in Loop: Header=BB265_14 Depth=2
	s_and_saveexec_b64 s[8:9], s[6:7]
	s_cbranch_execz .LBB265_13
	s_branch .LBB265_23
.LBB265_16:                             ;   in Loop: Header=BB265_14 Depth=2
	s_and_b64 s[8:9], s[8:9], exec
	s_cselect_b32 s52, s52, s28
	s_and_b64 vcc, exec, s[4:5]
	s_waitcnt lgkmcnt(0)
	s_barrier
	s_cbranch_vccnz .LBB265_22
; %bb.17:                               ;   in Loop: Header=BB265_14 Depth=2
	v_add_u32_e32 v16, s52, v109
	v_add_u32_e32 v17, s52, v102
	;; [unrolled: 1-line block ×4, first 2 shown]
	s_mov_b32 s34, 0
	s_mov_b64 s[28:29], 0
	v_mov_b32_e32 v20, v108
                                        ; implicit-def: $sgpr30_sgpr31
	s_branch .LBB265_19
.LBB265_18:                             ;   in Loop: Header=BB265_19 Depth=3
	s_or_b64 exec, exec, s[8:9]
	s_and_b64 s[8:9], exec, s[30:31]
	s_or_b64 s[28:29], s[8:9], s[28:29]
	s_andn2_b64 exec, exec, s[28:29]
	s_cbranch_execz .LBB265_21
.LBB265_19:                             ;   Parent Loop BB265_7 Depth=1
                                        ;     Parent Loop BB265_14 Depth=2
                                        ; =>    This Inner Loop Header: Depth=3
	v_add_u32_e32 v21, s34, v100
	v_add_u32_e32 v98, s34, v19
	v_cmp_gt_u32_e32 vcc, s22, v98
	v_cmp_gt_u32_e64 s[8:9], s38, v21
	s_and_b64 s[36:37], s[8:9], vcc
	s_or_b64 s[30:31], s[30:31], exec
	s_and_saveexec_b64 s[8:9], s[36:37]
	s_cbranch_execz .LBB265_18
; %bb.20:                               ;   in Loop: Header=BB265_19 Depth=3
	v_lshl_add_u64 v[22:23], v[98:99], 1, s[16:17]
	v_add_u32_e32 v98, s34, v18
	v_lshl_add_u64 v[26:27], v[98:99], 1, s[16:17]
	v_add_u32_e32 v98, s34, v16
	global_load_dwordx4 v[22:25], v[22:23], off
	s_nop 0
	global_load_dwordx4 v[26:29], v[26:27], off
	v_lshl_add_u64 v[30:31], v[98:99], 1, s[16:17]
	v_add_u32_e32 v98, s34, v17
	global_load_dwordx4 v[30:33], v[30:31], off
	v_lshl_add_u64 v[34:35], v[98:99], 1, s[16:17]
	global_load_dwordx4 v[34:37], v[34:35], off
	s_add_i32 s34, s34, s39
	s_cmp_ge_u32 s34, s38
	s_cselect_b64 s[36:37], -1, 0
	s_andn2_b64 s[30:31], s[30:31], exec
	s_and_b64 s[36:37], s[36:37], exec
	v_add_u32_e32 v21, s49, v20
	v_add_u32_e32 v38, s48, v20
	;; [unrolled: 1-line block ×3, first 2 shown]
	s_or_b64 s[30:31], s[30:31], s[36:37]
	s_waitcnt vmcnt(3)
	ds_write_b128 v20, v[22:25]
	v_add_u32_e32 v20, s47, v20
	s_waitcnt vmcnt(2)
	ds_write2_b64 v21, v[26:27], v[28:29] offset1:1
	s_waitcnt vmcnt(1)
	ds_write2_b32 v38, v30, v31 offset1:1
	ds_write2_b32 v38, v32, v33 offset0:2 offset1:3
	s_waitcnt vmcnt(0)
	ds_write2_b64 v39, v[34:35], v[36:37] offset1:1
	s_branch .LBB265_18
.LBB265_21:                             ;   in Loop: Header=BB265_14 Depth=2
	s_or_b64 exec, exec, s[28:29]
.LBB265_22:                             ;   in Loop: Header=BB265_14 Depth=2
	s_waitcnt lgkmcnt(0)
	s_barrier
	s_and_saveexec_b64 s[8:9], s[6:7]
	s_cbranch_execz .LBB265_13
.LBB265_23:                             ;   in Loop: Header=BB265_14 Depth=2
	v_add_u32_e32 v111, s53, v106
	v_min_u32_e32 v98, s40, v111
	v_add_u32_e32 v114, 0x200, v111
	v_lshl_add_u64 v[16:17], v[98:99], 1, v[104:105]
	v_min_u32_e32 v98, s40, v114
	v_add_u32_e32 v110, 0x400, v111
	v_lshl_add_u64 v[18:19], v[98:99], 1, v[104:105]
	;; [unrolled: 3-line block ×3, first 2 shown]
	v_min_u32_e32 v98, s40, v97
	global_load_dwordx4 v[28:31], v[16:17], off nt
	global_load_dwordx4 v[24:27], v[18:19], off nt
	v_lshl_add_u64 v[34:35], v[98:99], 1, v[104:105]
	global_load_dwordx4 v[20:23], v[32:33], off nt
	global_load_dwordx4 v[16:19], v[34:35], off nt
	v_cmp_gt_u32_e32 vcc, s20, v111
	v_mov_b32_e32 v94, 0
	v_mov_b32_e32 v95, 0
	;; [unrolled: 1-line block ×64, first 2 shown]
	s_and_saveexec_b64 s[28:29], vcc
	s_cbranch_execz .LBB265_12
; %bb.24:                               ;   in Loop: Header=BB265_14 Depth=2
	v_subrev_u32_e32 v32, s52, v111
	v_lshlrev_b32_e32 v113, 1, v32
	v_add_u32_e32 v112, s49, v113
	v_add_u32_e32 v111, s49, v112
	ds_read_b128 v[88:91], v113
	ds_read_b128 v[56:59], v112
	v_add_u32_e32 v98, s49, v111
	ds_read_b128 v[36:39], v111
	ds_read_b128 v[32:35], v98
	v_cmp_gt_u32_e32 vcc, s20, v114
	v_mov_b32_e32 v77, 0
	v_mov_b32_e32 v76, 0
	;; [unrolled: 1-line block ×48, first 2 shown]
	s_and_saveexec_b64 s[30:31], vcc
	s_cbranch_execz .LBB265_11
; %bb.25:                               ;   in Loop: Header=BB265_14 Depth=2
	ds_read_b128 v[76:79], v113 offset:1024
	ds_read_b128 v[64:67], v112 offset:1024
	;; [unrolled: 1-line block ×4, first 2 shown]
	v_cmp_gt_u32_e32 vcc, s20, v110
	v_mov_b32_e32 v53, 0
	v_mov_b32_e32 v52, 0
	;; [unrolled: 1-line block ×32, first 2 shown]
	s_and_saveexec_b64 s[34:35], vcc
	s_cbranch_execz .LBB265_10
; %bb.26:                               ;   in Loop: Header=BB265_14 Depth=2
	ds_read_b128 v[52:55], v113 offset:2048
	ds_read_b128 v[60:63], v112 offset:2048
	;; [unrolled: 1-line block ×4, first 2 shown]
	v_cmp_gt_u32_e32 vcc, s20, v97
	v_mov_b32_e32 v45, 0
	v_mov_b32_e32 v44, 0
	;; [unrolled: 1-line block ×16, first 2 shown]
	s_and_saveexec_b64 s[36:37], vcc
	s_cbranch_execz .LBB265_9
; %bb.27:                               ;   in Loop: Header=BB265_14 Depth=2
	ds_read_b128 v[44:47], v113 offset:3072
	ds_read_b128 v[72:75], v112 offset:3072
	;; [unrolled: 1-line block ×4, first 2 shown]
	s_branch .LBB265_9
.LBB265_28:                             ;   in Loop: Header=BB265_7 Depth=1
	v_cmp_le_u32_e32 vcc, s23, v96
                                        ; implicit-def: $vgpr16
	s_and_saveexec_b64 s[6:7], vcc
	s_xor_b64 s[6:7], exec, s[6:7]
; %bb.29:                               ;   in Loop: Header=BB265_7 Depth=1
	v_add_u32_e32 v16, s42, v96
                                        ; implicit-def: $vgpr96
                                        ; implicit-def: $vgpr3
                                        ; implicit-def: $vgpr7
                                        ; implicit-def: $vgpr11
                                        ; implicit-def: $vgpr15
; %bb.30:                               ;   in Loop: Header=BB265_7 Depth=1
	s_andn2_saveexec_b64 s[8:9], s[6:7]
	s_cbranch_execz .LBB265_6
; %bb.31:                               ;   in Loop: Header=BB265_7 Depth=1
	v_cvt_i32_f32_e32 v13, v13
	v_cvt_i32_f32_e32 v14, v14
	;; [unrolled: 1-line block ×4, first 2 shown]
	v_cvt_f32_i32_dpp v13, v13 row_shl:1 row_mask:0xf bank_mask:0xf bound_ctrl:1
	v_cvt_f32_i32_dpp v14, v14 row_shl:2 row_mask:0xf bank_mask:0xf bound_ctrl:1
	v_cvt_i32_f32_e32 v10, v10
	v_cvt_f32_i32_dpp v15, v15 row_shl:3 row_mask:0xf bank_mask:0xf bound_ctrl:1
	v_cvt_i32_f32_e32 v11, v11
	v_cvt_i32_f32_e32 v5, v5
	v_add_f32_e32 v12, v12, v13
	v_cvt_f32_i32_dpp v9, v9 row_shl:1 row_mask:0xf bank_mask:0xf bound_ctrl:1
	v_cvt_i32_f32_e32 v1, v1
	v_add_f32_e32 v12, v12, v14
	v_cvt_f32_i32_dpp v10, v10 row_shl:2 row_mask:0xf bank_mask:0xf bound_ctrl:1
	v_cvt_i32_f32_e32 v6, v6
	v_cvt_i32_f32_e32 v2, v2
	v_add_f32_e32 v12, v12, v15
	v_cvt_f32_i32_dpp v11, v11 row_shl:3 row_mask:0xf bank_mask:0xf bound_ctrl:1
	v_cvt_f32_i32_dpp v5, v5 row_shl:1 row_mask:0xf bank_mask:0xf bound_ctrl:1
	v_cvt_i32_f32_e32 v7, v7
	v_cvt_i32_f32_e32 v3, v3
	;; [unrolled: 1-line block ×3, first 2 shown]
	v_add_f32_e32 v8, v8, v9
	v_cvt_f32_i32_dpp v1, v1 row_shl:1 row_mask:0xf bank_mask:0xf bound_ctrl:1
	v_add_f32_e32 v8, v8, v10
	v_cvt_f32_i32_dpp v6, v6 row_shl:2 row_mask:0xf bank_mask:0xf bound_ctrl:1
	v_cvt_f32_i32_dpp v2, v2 row_shl:2 row_mask:0xf bank_mask:0xf bound_ctrl:1
	v_add_f32_e32 v8, v8, v11
	v_add_f32_e32 v4, v4, v5
	v_cvt_f32_i32_dpp v5, v7 row_shl:3 row_mask:0xf bank_mask:0xf bound_ctrl:1
	v_cvt_f32_i32_dpp v3, v3 row_shl:3 row_mask:0xf bank_mask:0xf bound_ctrl:1
	;; [unrolled: 1-line block ×3, first 2 shown]
	v_cvt_i32_f32_e32 v10, v8
	v_add_f32_e32 v0, v0, v1
	v_add_f32_e32 v4, v4, v6
	;; [unrolled: 1-line block ×6, first 2 shown]
	v_cvt_f32_i32_dpp v10, v10 row_shl:4 row_mask:0xf bank_mask:0xf bound_ctrl:1
	v_cvt_i32_f32_e32 v5, v4
	v_cvt_i32_f32_e32 v1, v0
	;; [unrolled: 1-line block ×3, first 2 shown]
	v_add_f32_e32 v8, v8, v10
	v_cvt_f32_i32_dpp v3, v5 row_shl:4 row_mask:0xf bank_mask:0xf bound_ctrl:1
	v_cvt_f32_i32_dpp v1, v1 row_shl:4 row_mask:0xf bank_mask:0xf bound_ctrl:1
	;; [unrolled: 1-line block ×3, first 2 shown]
	v_cvt_i32_f32_e32 v10, v8
	v_add_f32_e32 v3, v4, v3
	v_add_f32_e32 v0, v0, v1
	;; [unrolled: 1-line block ×3, first 2 shown]
	v_cvt_f32_i32_dpp v2, v10 row_shl:8 row_mask:0xf bank_mask:0xf bound_ctrl:1
	v_cvt_i32_f32_e32 v4, v3
	v_cvt_i32_f32_e32 v1, v0
	v_cvt_i32_f32_e32 v9, v9
	v_add_f32_e32 v2, v8, v2
	v_cvt_f32_i32_dpp v4, v4 row_shl:8 row_mask:0xf bank_mask:0xf bound_ctrl:1
	v_cvt_f32_i32_dpp v1, v1 row_shl:8 row_mask:0xf bank_mask:0xf bound_ctrl:1
	v_cvt_f32_i32_dpp v5, v9 row_shr:15 row_mask:0xf bank_mask:0xf bound_ctrl:1
	v_cvt_i32_f32_e32 v2, v2
	v_add_f32_e32 v3, v3, v4
	v_add_f32_e32 v0, v0, v1
	v_cvt_i32_f32_e32 v6, v5
	v_cvt_f32_i32_dpp v2, v2 row_shr:15 row_mask:0xf bank_mask:0xf bound_ctrl:1
	v_cvt_i32_f32_e32 v3, v3
	v_cvt_i32_f32_e32 v0, v0
	v_cvt_f32_i32_dpp v1, v6 row_bcast:15 row_mask:0xf bank_mask:0xf bound_ctrl:1
	v_cvt_i32_f32_e32 v4, v2
	v_cvt_f32_i32_dpp v3, v3 row_shr:15 row_mask:0xf bank_mask:0xf bound_ctrl:1
	v_cvt_f32_i32_dpp v0, v0 row_shr:15 row_mask:0xf bank_mask:0xf bound_ctrl:1
	v_add_f32_e32 v8, v5, v1
	v_cvt_f32_i32_dpp v4, v4 row_bcast:15 row_mask:0xf bank_mask:0xf bound_ctrl:1
	v_cvt_i32_f32_e32 v1, v3
	v_cvt_i32_f32_e32 v6, v0
	;; [unrolled: 1-line block ×3, first 2 shown]
	v_add_f32_e32 v5, v2, v4
	v_cvt_f32_i32_dpp v1, v1 row_bcast:15 row_mask:0xf bank_mask:0xf bound_ctrl:1
	v_cvt_f32_i32_dpp v4, v6 row_bcast:15 row_mask:0xf bank_mask:0xf bound_ctrl:1
	v_cvt_i32_f32_e32 v6, v5
	v_mov_b32_dpp v9, v7 row_bcast:31 row_mask:0xf bank_mask:0xf bound_ctrl:1
	v_add_f32_e32 v2, v3, v1
	v_add_f32_e32 v0, v0, v4
	v_cvt_i32_f32_e32 v1, v2
	v_cvt_i32_f32_e32 v3, v0
	v_mov_b32_dpp v7, v6 row_bcast:31 row_mask:0xf bank_mask:0xf bound_ctrl:1
	v_mov_b32_dpp v4, v1 row_bcast:31 row_mask:0xf bank_mask:0xf bound_ctrl:1
	;; [unrolled: 1-line block ×3, first 2 shown]
	s_and_saveexec_b64 s[6:7], s[0:1]
	s_cbranch_execz .LBB265_52
; %bb.32:                               ;   in Loop: Header=BB265_7 Depth=1
	s_andn2_b64 vcc, exec, s[26:27]
	v_mov_b32_e32 v3, 0
	v_mov_b32_e32 v6, 0
	;; [unrolled: 1-line block ×4, first 2 shown]
	s_cbranch_vccnz .LBB265_34
; %bb.33:                               ;   in Loop: Header=BB265_7 Depth=1
	v_mul_hi_u32 v3, v96, v107
	v_mul_lo_u32 v3, v3, s12
	v_sub_u32_e32 v3, v96, v3
	v_subrev_u32_e32 v6, s12, v3
	v_cmp_le_u32_e32 vcc, s12, v3
	v_mov_b32_e32 v11, v99
	s_nop 0
	v_cndmask_b32_e32 v3, v3, v6, vcc
	v_subrev_u32_e32 v6, s12, v3
	v_cmp_le_u32_e32 vcc, s12, v3
	s_nop 1
	v_cndmask_b32_e32 v98, v3, v6, vcc
	v_add_u32_e32 v10, s43, v98
	v_lshl_add_u64 v[12:13], v[98:99], 1, s[18:19]
	v_lshl_add_u64 v[14:15], v[10:11], 1, s[18:19]
	v_add_u32_e32 v10, s44, v98
	v_add_u32_e32 v98, s45, v98
	v_lshl_add_u64 v[16:17], v[10:11], 1, s[18:19]
	v_lshl_add_u64 v[18:19], v[98:99], 1, s[18:19]
	global_load_ushort v11, v[12:13], off
	global_load_ushort v10, v[14:15], off
	;; [unrolled: 1-line block ×4, first 2 shown]
.LBB265_34:                             ;   in Loop: Header=BB265_7 Depth=1
	v_cmp_ne_u32_e32 vcc, 0, v101
	s_and_b64 exec, exec, vcc
	s_cbranch_execz .LBB265_52
; %bb.35:                               ;   in Loop: Header=BB265_7 Depth=1
	v_cvt_f32_i32_e32 v9, v9
	v_add_f32_e32 v8, v8, v9
	s_waitcnt vmcnt(3)
	v_lshlrev_b32_e32 v9, 16, v11
	v_add_f32_e32 v9, v8, v9
	v_and_b32_e32 v8, 0x7f800000, v9
	v_cmp_ne_u32_e32 vcc, s50, v8
                                        ; implicit-def: $vgpr8
	s_and_saveexec_b64 s[28:29], vcc
	s_xor_b64 s[28:29], exec, s[28:29]
; %bb.36:                               ;   in Loop: Header=BB265_7 Depth=1
	v_bfe_u32 v8, v9, 16, 1
	v_add3_u32 v8, v9, v8, s51
                                        ; implicit-def: $vgpr9
; %bb.37:                               ;   in Loop: Header=BB265_7 Depth=1
	s_andn2_saveexec_b64 s[28:29], s[28:29]
; %bb.38:                               ;   in Loop: Header=BB265_7 Depth=1
	v_or_b32_e32 v8, 0x10000, v9
	v_cmp_eq_u32_sdwa vcc, v9, v99 src0_sel:WORD_0 src1_sel:DWORD
	s_nop 1
	v_cndmask_b32_e32 v8, v8, v9, vcc
; %bb.39:                               ;   in Loop: Header=BB265_7 Depth=1
	s_or_b64 exec, exec, s[28:29]
	v_cvt_f32_i32_e32 v7, v7
	v_mov_b32_e32 v97, v99
	s_waitcnt lgkmcnt(0)
	v_lshl_add_u64 v[12:13], v[96:97], 1, s[10:11]
	global_store_short_d16_hi v[12:13], v8, off
	v_add_f32_e32 v5, v5, v7
	s_waitcnt vmcnt(3)
	v_lshlrev_b32_e32 v7, 16, v10
	v_add_f32_e32 v7, v5, v7
	v_and_b32_e32 v5, 0x7f800000, v7
	v_cmp_ne_u32_e32 vcc, s50, v5
                                        ; implicit-def: $vgpr5
	s_and_saveexec_b64 s[28:29], vcc
	s_xor_b64 s[28:29], exec, s[28:29]
; %bb.40:                               ;   in Loop: Header=BB265_7 Depth=1
	v_bfe_u32 v5, v7, 16, 1
	v_add3_u32 v5, v7, v5, s51
                                        ; implicit-def: $vgpr7
; %bb.41:                               ;   in Loop: Header=BB265_7 Depth=1
	s_andn2_saveexec_b64 s[28:29], s[28:29]
; %bb.42:                               ;   in Loop: Header=BB265_7 Depth=1
	v_or_b32_e32 v5, 0x10000, v7
	v_cmp_eq_u32_sdwa vcc, v7, v99 src0_sel:WORD_0 src1_sel:DWORD
	s_nop 1
	v_cndmask_b32_e32 v5, v5, v7, vcc
; %bb.43:                               ;   in Loop: Header=BB265_7 Depth=1
	s_or_b64 exec, exec, s[28:29]
	v_cvt_f32_i32_e32 v4, v4
	v_add_u32_e32 v98, s23, v96
	v_lshl_add_u64 v[8:9], v[98:99], 1, s[10:11]
	global_store_short_d16_hi v[8:9], v5, off
	v_add_f32_e32 v2, v2, v4
	s_waitcnt vmcnt(3)
	v_lshlrev_b32_e32 v4, 16, v6
	v_add_f32_e32 v4, v2, v4
	v_and_b32_e32 v2, 0x7f800000, v4
	v_cmp_ne_u32_e32 vcc, s50, v2
                                        ; implicit-def: $vgpr2
	s_and_saveexec_b64 s[28:29], vcc
	s_xor_b64 s[28:29], exec, s[28:29]
; %bb.44:                               ;   in Loop: Header=BB265_7 Depth=1
	v_bfe_u32 v2, v4, 16, 1
	v_add3_u32 v2, v4, v2, s51
                                        ; implicit-def: $vgpr4
; %bb.45:                               ;   in Loop: Header=BB265_7 Depth=1
	s_andn2_saveexec_b64 s[28:29], s[28:29]
; %bb.46:                               ;   in Loop: Header=BB265_7 Depth=1
	v_or_b32_e32 v2, 0x10000, v4
	v_cmp_eq_u32_sdwa vcc, v4, v99 src0_sel:WORD_0 src1_sel:DWORD
	s_nop 1
	v_cndmask_b32_e32 v2, v2, v4, vcc
; %bb.47:                               ;   in Loop: Header=BB265_7 Depth=1
	s_or_b64 exec, exec, s[28:29]
	v_cvt_f32_i32_e32 v1, v1
	v_add_u32_e32 v98, s23, v98
	v_lshl_add_u64 v[4:5], v[98:99], 1, s[10:11]
	global_store_short_d16_hi v[4:5], v2, off
	v_add_f32_e32 v0, v0, v1
	s_waitcnt vmcnt(3)
	v_lshlrev_b32_e32 v1, 16, v3
	v_add_f32_e32 v1, v0, v1
	v_and_b32_e32 v0, 0x7f800000, v1
	v_cmp_ne_u32_e32 vcc, s50, v0
                                        ; implicit-def: $vgpr0
	s_and_saveexec_b64 s[28:29], vcc
	s_xor_b64 s[28:29], exec, s[28:29]
; %bb.48:                               ;   in Loop: Header=BB265_7 Depth=1
	v_bfe_u32 v0, v1, 16, 1
	v_add3_u32 v0, v1, v0, s51
                                        ; implicit-def: $vgpr1
; %bb.49:                               ;   in Loop: Header=BB265_7 Depth=1
	s_andn2_saveexec_b64 s[28:29], s[28:29]
; %bb.50:                               ;   in Loop: Header=BB265_7 Depth=1
	v_or_b32_e32 v0, 0x10000, v1
	v_cmp_eq_u32_sdwa vcc, v1, v99 src0_sel:WORD_0 src1_sel:DWORD
	s_nop 1
	v_cndmask_b32_e32 v0, v0, v1, vcc
; %bb.51:                               ;   in Loop: Header=BB265_7 Depth=1
	s_or_b64 exec, exec, s[28:29]
	v_add_u32_e32 v98, s23, v98
	v_lshl_add_u64 v[2:3], v[98:99], 1, s[10:11]
	global_store_short_d16_hi v[2:3], v0, off
.LBB265_52:                             ;   in Loop: Header=BB265_7 Depth=1
	s_or_b64 exec, exec, s[6:7]
	v_add_u32_e32 v16, s42, v96
	v_add_u32_e32 v0, 1, v16
	v_cmp_gt_u32_e32 vcc, s23, v16
	v_cmp_le_u32_e64 s[6:7], s23, v0
	s_and_b64 s[28:29], vcc, s[6:7]
	s_and_saveexec_b64 s[6:7], s[28:29]
	s_cbranch_execz .LBB265_5
; %bb.53:                               ;   in Loop: Header=BB265_7 Depth=1
	v_add_u32_e32 v0, s13, v96
	v_cmp_eq_u32_e32 vcc, 1, v0
	v_mov_b32_e32 v16, s41
	s_nop 0
	v_cndmask_b32_e32 v101, 0, v101, vcc
	s_branch .LBB265_5
.LBB265_54:
	s_endpgm
	.section	.rodata,"a",@progbits
	.p2align	6, 0x0
	.amdhsa_kernel _Z16wvSplitK_hf_big_I14__hip_bfloat16Li64ELi1ELi16ELi8ELi4ELi4EEviiiiiiPKT_S3_S3_PS1_ii
		.amdhsa_group_segment_fixed_size 65536
		.amdhsa_private_segment_fixed_size 0
		.amdhsa_kernarg_size 64
		.amdhsa_user_sgpr_count 2
		.amdhsa_user_sgpr_dispatch_ptr 0
		.amdhsa_user_sgpr_queue_ptr 0
		.amdhsa_user_sgpr_kernarg_segment_ptr 1
		.amdhsa_user_sgpr_dispatch_id 0
		.amdhsa_user_sgpr_kernarg_preload_length 0
		.amdhsa_user_sgpr_kernarg_preload_offset 0
		.amdhsa_user_sgpr_private_segment_size 0
		.amdhsa_uses_dynamic_stack 0
		.amdhsa_enable_private_segment 0
		.amdhsa_system_sgpr_workgroup_id_x 1
		.amdhsa_system_sgpr_workgroup_id_y 0
		.amdhsa_system_sgpr_workgroup_id_z 0
		.amdhsa_system_sgpr_workgroup_info 0
		.amdhsa_system_vgpr_workitem_id 1
		.amdhsa_next_free_vgpr 115
		.amdhsa_next_free_sgpr 54
		.amdhsa_accum_offset 116
		.amdhsa_reserve_vcc 1
		.amdhsa_float_round_mode_32 0
		.amdhsa_float_round_mode_16_64 0
		.amdhsa_float_denorm_mode_32 3
		.amdhsa_float_denorm_mode_16_64 3
		.amdhsa_dx10_clamp 1
		.amdhsa_ieee_mode 1
		.amdhsa_fp16_overflow 0
		.amdhsa_tg_split 0
		.amdhsa_exception_fp_ieee_invalid_op 0
		.amdhsa_exception_fp_denorm_src 0
		.amdhsa_exception_fp_ieee_div_zero 0
		.amdhsa_exception_fp_ieee_overflow 0
		.amdhsa_exception_fp_ieee_underflow 0
		.amdhsa_exception_fp_ieee_inexact 0
		.amdhsa_exception_int_div_zero 0
	.end_amdhsa_kernel
	.section	.text._Z16wvSplitK_hf_big_I14__hip_bfloat16Li64ELi1ELi16ELi8ELi4ELi4EEviiiiiiPKT_S3_S3_PS1_ii,"axG",@progbits,_Z16wvSplitK_hf_big_I14__hip_bfloat16Li64ELi1ELi16ELi8ELi4ELi4EEviiiiiiPKT_S3_S3_PS1_ii,comdat
.Lfunc_end265:
	.size	_Z16wvSplitK_hf_big_I14__hip_bfloat16Li64ELi1ELi16ELi8ELi4ELi4EEviiiiiiPKT_S3_S3_PS1_ii, .Lfunc_end265-_Z16wvSplitK_hf_big_I14__hip_bfloat16Li64ELi1ELi16ELi8ELi4ELi4EEviiiiiiPKT_S3_S3_PS1_ii
                                        ; -- End function
	.section	.AMDGPU.csdata,"",@progbits
; Kernel info:
; codeLenInByte = 3640
; NumSgprs: 60
; NumVgprs: 115
; NumAgprs: 0
; TotalNumVgprs: 115
; ScratchSize: 0
; MemoryBound: 0
; FloatMode: 240
; IeeeMode: 1
; LDSByteSize: 65536 bytes/workgroup (compile time only)
; SGPRBlocks: 7
; VGPRBlocks: 14
; NumSGPRsForWavesPerEU: 60
; NumVGPRsForWavesPerEU: 115
; AccumOffset: 116
; Occupancy: 4
; WaveLimiterHint : 0
; COMPUTE_PGM_RSRC2:SCRATCH_EN: 0
; COMPUTE_PGM_RSRC2:USER_SGPR: 2
; COMPUTE_PGM_RSRC2:TRAP_HANDLER: 0
; COMPUTE_PGM_RSRC2:TGID_X_EN: 1
; COMPUTE_PGM_RSRC2:TGID_Y_EN: 0
; COMPUTE_PGM_RSRC2:TGID_Z_EN: 0
; COMPUTE_PGM_RSRC2:TIDIG_COMP_CNT: 1
; COMPUTE_PGM_RSRC3_GFX90A:ACCUM_OFFSET: 28
; COMPUTE_PGM_RSRC3_GFX90A:TG_SPLIT: 0
	.section	.text._Z16wvSplitK_hf_sml_I14__hip_bfloat16Li64ELi2ELi16ELi8ELi2ELi4EEviiiiiiPKT_S3_S3_PS1_ii,"axG",@progbits,_Z16wvSplitK_hf_sml_I14__hip_bfloat16Li64ELi2ELi16ELi8ELi2ELi4EEviiiiiiPKT_S3_S3_PS1_ii,comdat
	.protected	_Z16wvSplitK_hf_sml_I14__hip_bfloat16Li64ELi2ELi16ELi8ELi2ELi4EEviiiiiiPKT_S3_S3_PS1_ii ; -- Begin function _Z16wvSplitK_hf_sml_I14__hip_bfloat16Li64ELi2ELi16ELi8ELi2ELi4EEviiiiiiPKT_S3_S3_PS1_ii
	.globl	_Z16wvSplitK_hf_sml_I14__hip_bfloat16Li64ELi2ELi16ELi8ELi2ELi4EEviiiiiiPKT_S3_S3_PS1_ii
	.p2align	8
	.type	_Z16wvSplitK_hf_sml_I14__hip_bfloat16Li64ELi2ELi16ELi8ELi2ELi4EEviiiiiiPKT_S3_S3_PS1_ii,@function
_Z16wvSplitK_hf_sml_I14__hip_bfloat16Li64ELi2ELi16ELi8ELi2ELi4EEviiiiiiPKT_S3_S3_PS1_ii: ; @_Z16wvSplitK_hf_sml_I14__hip_bfloat16Li64ELi2ELi16ELi8ELi2ELi4EEviiiiiiPKT_S3_S3_PS1_ii
; %bb.0:
	s_load_dwordx4 s[4:7], s[0:1], 0x0
	s_load_dwordx2 s[8:9], s[0:1], 0x10
	s_load_dwordx2 s[10:11], s[0:1], 0x28
	v_and_b32_e32 v2, 0x3ff, v0
	v_bfe_u32 v3, v0, 10, 10
	v_lshlrev_b32_e32 v88, 3, v2
	s_waitcnt lgkmcnt(0)
	s_lshl_b32 s24, s6, 2
	v_lshl_add_u32 v4, v3, 9, v88
	s_min_u32 s3, s24, 0x8000
	v_cmp_gt_u32_e32 vcc, s3, v4
	s_and_saveexec_b64 s[12:13], vcc
	s_cbranch_execz .LBB266_3
; %bb.1:
	s_load_dwordx2 s[14:15], s[0:1], 0x20
	v_mov_b32_e32 v7, 0
	v_lshlrev_b32_e32 v6, 10, v3
	v_lshlrev_b32_e32 v8, 4, v2
	v_mov_b32_e32 v9, v7
	v_lshl_add_u64 v[0:1], v[6:7], 0, v[8:9]
	s_waitcnt lgkmcnt(0)
	v_lshl_add_u64 v[0:1], s[14:15], 0, v[0:1]
	v_add_u32_e32 v5, v6, v8
	s_mov_b64 s[14:15], 0
	s_mov_b64 s[16:17], 0x4000
.LBB266_2:                              ; =>This Inner Loop Header: Depth=1
	global_load_dwordx4 v[6:9], v[0:1], off
	v_add_u32_e32 v4, 0x2000, v4
	v_cmp_le_u32_e32 vcc, s3, v4
	v_lshl_add_u64 v[0:1], v[0:1], 0, s[16:17]
	s_or_b64 s[14:15], vcc, s[14:15]
	s_waitcnt vmcnt(0)
	ds_write_b128 v5, v[6:9]
	v_add_u32_e32 v5, 0x4000, v5
	s_andn2_b64 exec, exec, s[14:15]
	s_cbranch_execnz .LBB266_2
.LBB266_3:
	s_or_b64 exec, exec, s[12:13]
	s_load_dwordx2 s[16:17], s[0:1], 0x38
	s_waitcnt lgkmcnt(0)
	s_barrier
	v_cmp_gt_u32_e32 vcc, s16, v3
	s_and_saveexec_b64 s[12:13], vcc
	s_cbranch_execz .LBB266_50
; %bb.4:
	s_mul_i32 s2, s2, s16
	v_add_lshl_u32 v72, s2, v3, 1
	v_cmp_gt_u32_e32 vcc, s7, v72
	s_and_b64 exec, exec, vcc
	s_cbranch_execz .LBB266_50
; %bb.5:
	s_cmp_lg_u32 s4, 0
	s_cselect_b64 s[2:3], -1, 0
	s_add_i32 s25, s4, -8
	s_add_i32 s26, s7, -1
	s_cmp_lg_u64 s[10:11], 0
	s_cselect_b64 s[18:19], -1, 0
	s_abs_i32 s21, s9
	v_cvt_f32_u32_e32 v0, s8
	v_cvt_f32_u32_e32 v1, s21
	s_mul_i32 s20, s16, s17
	s_lshl_b32 s9, s20, 1
	v_rcp_iflag_f32_e32 v0, v0
	v_rcp_iflag_f32_e32 v1, v1
	s_sub_i32 s20, 0, s8
	s_load_dwordx2 s[12:13], s[0:1], 0x18
	s_load_dwordx2 s[14:15], s[0:1], 0x30
	v_mul_f32_e32 v0, 0x4f7ffffe, v0
	v_mul_f32_e32 v1, 0x4f7ffffe, v1
	v_cvt_u32_f32_e32 v0, v0
	v_cvt_u32_f32_e32 v1, v1
	v_cmp_eq_u32_e64 s[0:1], 63, v2
	s_mov_b64 s[16:17], 0
	v_mul_lo_u32 v3, s20, v0
	s_sub_i32 s20, 0, s21
	v_readfirstlane_b32 s22, v1
	s_mul_i32 s20, s20, s22
	s_mul_hi_u32 s20, s22, s20
	s_add_i32 s22, s22, s20
	s_sub_i32 s20, 1, s21
	s_cmp_lt_u32 s21, 2
	s_cselect_b32 s20, s20, 1
	s_sub_i32 s23, s20, s21
	s_cmp_ge_u32 s20, s21
	s_cselect_b32 s27, s23, s20
	s_lshr_b32 s20, s22, 31
	s_mul_i32 s20, s20, s21
	s_sub_i32 s20, 2, s20
	s_sub_i32 s23, s20, s21
	s_cmp_ge_u32 s20, s21
	s_cselect_b32 s20, s23, s20
	s_sub_i32 s23, s20, s21
	s_cmp_ge_u32 s20, s21
	s_cselect_b32 s28, s23, s20
	s_mul_hi_u32 s20, s22, 3
	s_mul_i32 s20, s20, s21
	s_sub_i32 s20, 3, s20
	s_sub_i32 s22, s20, s21
	s_cmp_ge_u32 s20, s21
	s_cselect_b32 s20, s22, s20
	s_sub_i32 s22, s20, s21
	v_mul_hi_u32 v3, v0, v3
	s_cmp_ge_u32 s20, s21
	v_add_u32_e32 v89, v0, v3
	s_cselect_b32 s29, s22, s20
	v_cndmask_b32_e64 v0, 0, 1, s[2:3]
	v_mov_b32_e32 v75, 0
	s_mul_i32 s27, s27, s8
	s_mul_i32 s28, s28, s8
	;; [unrolled: 1-line block ×4, first 2 shown]
	v_lshlrev_b32_e32 v90, 4, v2
	s_lshl_b32 s6, s6, 1
	v_cmp_ne_u32_e64 s[2:3], 1, v0
	s_mov_b32 s31, 0x7f800000
	s_movk_i32 s33, 0x7fff
	s_branch .LBB266_8
.LBB266_6:                              ;   in Loop: Header=BB266_8 Depth=1
	s_or_b64 exec, exec, s[22:23]
	v_add_u32_e32 v74, 1, v74
	v_lshl_add_u64 v[2:3], v[74:75], 1, s[14:15]
	global_store_short_d16_hi v[2:3], v0, off
.LBB266_7:                              ;   in Loop: Header=BB266_8 Depth=1
	s_or_b64 exec, exec, s[20:21]
	v_add_u32_e32 v72, s9, v72
	v_cmp_le_u32_e32 vcc, s7, v72
	s_or_b64 s[16:17], vcc, s[16:17]
	s_andn2_b64 exec, exec, s[16:17]
	s_cbranch_execz .LBB266_50
.LBB266_8:                              ; =>This Loop Header: Depth=1
                                        ;     Child Loop BB266_12 Depth 2
	s_and_b64 vcc, exec, s[2:3]
	v_mov_b32_e32 v7, v75
	v_mov_b32_e32 v6, v75
	;; [unrolled: 1-line block ×32, first 2 shown]
	s_cbranch_vccnz .LBB266_15
; %bb.9:                                ;   in Loop: Header=BB266_8 Depth=1
	v_min_u32_e32 v0, s26, v72
	v_mul_lo_u32 v74, v0, s5
	v_or_b32_e32 v0, 1, v72
	v_min_u32_e32 v0, s26, v0
	v_mul_lo_u32 v0, v0, s5
	v_mov_b32_e32 v1, v75
	v_mov_b32_e32 v16, 0
	s_mov_b32 s34, 0
	v_lshlrev_b64 v[76:77], 1, v[74:75]
	v_lshlrev_b64 v[78:79], 1, v[0:1]
	v_mov_b32_e32 v73, v90
	v_mov_b32_e32 v17, v16
	;; [unrolled: 1-line block ×32, first 2 shown]
	s_branch .LBB266_12
.LBB266_10:                             ;   in Loop: Header=BB266_12 Depth=2
	s_or_b64 exec, exec, s[22:23]
.LBB266_11:                             ;   in Loop: Header=BB266_12 Depth=2
	s_or_b64 exec, exec, s[20:21]
	s_waitcnt vmcnt(3) lgkmcnt(4)
	v_mfma_f32_4x4x4_16b_bf16 v[28:31], v[68:69], v[48:49], v[28:31]
	s_addk_i32 s34, 0x400
	s_waitcnt vmcnt(2)
	v_mfma_f32_4x4x4_16b_bf16 v[24:27], v[68:69], v[44:45], v[24:27]
	v_add_u32_e32 v73, 0x800, v73
	s_waitcnt lgkmcnt(3)
	v_mfma_f32_4x4x4_16b_bf16 v[20:23], v[64:65], v[48:49], v[20:23]
	s_cmp_ge_u32 s34, s4
	v_mfma_f32_4x4x4_16b_bf16 v[16:19], v[64:65], v[44:45], v[16:19]
	s_waitcnt lgkmcnt(2)
	v_mfma_f32_4x4x4_16b_bf16 v[12:15], v[86:87], v[48:49], v[12:15]
	v_mfma_f32_4x4x4_16b_bf16 v[8:11], v[86:87], v[44:45], v[8:11]
	s_waitcnt lgkmcnt(0)
	v_mfma_f32_4x4x4_16b_bf16 v[0:3], v[52:53], v[48:49], v[0:3]
	v_mfma_f32_4x4x4_16b_bf16 v[4:7], v[52:53], v[44:45], v[4:7]
	;; [unrolled: 1-line block ×10, first 2 shown]
	s_waitcnt vmcnt(1)
	v_mfma_f32_4x4x4_16b_bf16 v[28:31], v[56:57], v[36:37], v[28:31]
	s_waitcnt vmcnt(0)
	v_mfma_f32_4x4x4_16b_bf16 v[24:27], v[56:57], v[32:33], v[24:27]
	v_mfma_f32_4x4x4_16b_bf16 v[20:23], v[60:61], v[36:37], v[20:23]
	;; [unrolled: 1-line block ×15, first 2 shown]
	s_cbranch_scc1 .LBB266_15
.LBB266_12:                             ;   Parent Loop BB266_8 Depth=1
                                        ; =>  This Inner Loop Header: Depth=2
	v_add_u32_e32 v52, s34, v88
	v_min_u32_e32 v74, s25, v52
	s_waitcnt lgkmcnt(0)
	v_lshl_add_u64 v[32:33], v[74:75], 1, s[12:13]
	v_add_u32_e32 v91, 0x200, v52
	v_lshl_add_u64 v[34:35], v[32:33], 0, v[76:77]
	v_lshl_add_u64 v[32:33], v[32:33], 0, v[78:79]
	v_min_u32_e32 v74, s25, v91
	global_load_dwordx4 v[48:51], v[34:35], off nt
	global_load_dwordx4 v[44:47], v[32:33], off nt
	v_lshl_add_u64 v[32:33], v[74:75], 1, s[12:13]
	v_lshl_add_u64 v[40:41], v[32:33], 0, v[76:77]
	;; [unrolled: 1-line block ×3, first 2 shown]
	global_load_dwordx4 v[36:39], v[40:41], off nt
	global_load_dwordx4 v[32:35], v[42:43], off nt
	v_cmp_gt_u32_e32 vcc, s4, v52
	v_mov_b32_e32 v42, 0
	v_mov_b32_e32 v43, 0
	;; [unrolled: 1-line block ×32, first 2 shown]
	s_and_saveexec_b64 s[20:21], vcc
	s_cbranch_execz .LBB266_11
; %bb.13:                               ;   in Loop: Header=BB266_12 Depth=2
	v_add_u32_e32 v74, s6, v73
	v_add_u32_e32 v92, s24, v73
	ds_read_b128 v[68:71], v73
	ds_read_b128 v[64:67], v74
	ds_read2_b32 v[86:87], v92 offset1:1
	v_add_u32_e32 v93, s30, v73
	ds_read2_b32 v[84:85], v92 offset0:2 offset1:3
	ds_read_b128 v[52:55], v93
	v_cmp_gt_u32_e32 vcc, s4, v91
	v_mov_b32_e32 v57, 0
	v_mov_b32_e32 v56, 0
	;; [unrolled: 1-line block ×16, first 2 shown]
	s_and_saveexec_b64 s[22:23], vcc
	s_cbranch_execz .LBB266_10
; %bb.14:                               ;   in Loop: Header=BB266_12 Depth=2
	v_add_u32_e32 v40, 0x400, v92
	v_add_u32_e32 v41, 0x408, v92
	ds_read_b128 v[56:59], v73 offset:1024
	ds_read2_b32 v[82:83], v40 offset1:1
	ds_read2_b32 v[80:81], v41 offset1:1
	ds_read_b128 v[60:63], v74 offset:1024
	ds_read_b128 v[40:43], v93 offset:1024
	s_branch .LBB266_10
.LBB266_15:                             ;   in Loop: Header=BB266_8 Depth=1
	; sched_barrier mask(0x00000000)
	v_cvt_i32_f32_e32 v29, v29
	v_cvt_i32_f32_e32 v30, v30
	;; [unrolled: 1-line block ×4, first 2 shown]
	v_cvt_f32_i32_dpp v29, v29 row_shl:1 row_mask:0xf bank_mask:0xf bound_ctrl:1
	v_cvt_f32_i32_dpp v30, v30 row_shl:2 row_mask:0xf bank_mask:0xf bound_ctrl:1
	;; [unrolled: 1-line block ×3, first 2 shown]
	v_cvt_i32_f32_e32 v26, v26
	v_add_f32_e32 v28, v28, v29
	v_add_f32_e32 v28, v28, v30
	;; [unrolled: 1-line block ×3, first 2 shown]
	v_cvt_i32_f32_e32 v29, v28
	v_cvt_i32_f32_e32 v27, v27
	v_cvt_f32_i32_dpp v25, v25 row_shl:1 row_mask:0xf bank_mask:0xf bound_ctrl:1
	v_cvt_f32_i32_dpp v26, v26 row_shl:2 row_mask:0xf bank_mask:0xf bound_ctrl:1
	;; [unrolled: 1-line block ×4, first 2 shown]
	v_add_f32_e32 v24, v24, v25
	v_cvt_i32_f32_e32 v21, v21
	v_add_f32_e32 v28, v28, v29
	v_cvt_i32_f32_e32 v29, v28
	;; [unrolled: 2-line block ×3, first 2 shown]
	v_add_f32_e32 v24, v24, v27
	v_cvt_f32_i32_dpp v25, v29 row_shl:8 row_mask:0xf bank_mask:0xf bound_ctrl:1
	v_cvt_i32_f32_e32 v23, v23
	v_cvt_i32_f32_e32 v26, v24
	v_cvt_f32_i32_dpp v21, v21 row_shl:1 row_mask:0xf bank_mask:0xf bound_ctrl:1
	v_add_f32_e32 v25, v28, v25
	v_cvt_i32_f32_e32 v25, v25
	v_cvt_f32_i32_dpp v22, v22 row_shl:2 row_mask:0xf bank_mask:0xf bound_ctrl:1
	v_cvt_i32_f32_e32 v17, v17
	v_cvt_f32_i32_dpp v26, v26 row_shl:4 row_mask:0xf bank_mask:0xf bound_ctrl:1
	v_cvt_f32_i32_dpp v23, v23 row_shl:3 row_mask:0xf bank_mask:0xf bound_ctrl:1
	v_cvt_i32_f32_e32 v18, v18
	v_cvt_f32_i32_dpp v25, v25 row_shr:15 row_mask:0xf bank_mask:0xf bound_ctrl:1
	v_cvt_i32_f32_e32 v19, v19
	v_add_f32_e32 v20, v20, v21
	v_add_f32_e32 v20, v20, v22
	v_cvt_f32_i32_dpp v17, v17 row_shl:1 row_mask:0xf bank_mask:0xf bound_ctrl:1
	v_add_f32_e32 v21, v24, v26
	v_add_f32_e32 v22, v20, v23
	v_cvt_f32_i32_dpp v18, v18 row_shl:2 row_mask:0xf bank_mask:0xf bound_ctrl:1
	v_cvt_i32_f32_e32 v24, v21
	v_cvt_i32_f32_e32 v26, v25
	;; [unrolled: 1-line block ×3, first 2 shown]
	v_cvt_f32_i32_dpp v19, v19 row_shl:3 row_mask:0xf bank_mask:0xf bound_ctrl:1
	v_add_f32_e32 v16, v16, v17
	v_add_f32_e32 v16, v16, v18
	v_cvt_f32_i32_dpp v23, v24 row_shl:8 row_mask:0xf bank_mask:0xf bound_ctrl:1
	v_cvt_f32_i32_dpp v24, v26 row_bcast:15 row_mask:0xf bank_mask:0xf bound_ctrl:1
	v_cvt_f32_i32_dpp v26, v20 row_shl:4 row_mask:0xf bank_mask:0xf bound_ctrl:1
	v_add_f32_e32 v16, v16, v19
	v_cvt_i32_f32_e32 v17, v16
	v_add_f32_e32 v21, v21, v23
	v_add_f32_e32 v22, v22, v26
	v_cvt_i32_f32_e32 v23, v22
	v_cvt_f32_i32_dpp v17, v17 row_shl:4 row_mask:0xf bank_mask:0xf bound_ctrl:1
	v_cvt_i32_f32_e32 v21, v21
	v_add_f32_e32 v20, v25, v24
	v_cvt_f32_i32_dpp v23, v23 row_shl:8 row_mask:0xf bank_mask:0xf bound_ctrl:1
	v_add_f32_e32 v17, v16, v17
	v_cvt_i32_f32_e32 v16, v17
	v_cvt_f32_i32_dpp v19, v21 row_shr:15 row_mask:0xf bank_mask:0xf bound_ctrl:1
	v_add_f32_e32 v18, v22, v23
	v_cvt_i32_f32_e32 v18, v18
	v_cvt_f32_i32_dpp v24, v16 row_shl:8 row_mask:0xf bank_mask:0xf bound_ctrl:1
	v_cvt_i32_f32_e32 v1, v1
	v_cvt_i32_f32_e32 v13, v13
	;; [unrolled: 1-line block ×7, first 2 shown]
	v_cvt_f32_i32_dpp v23, v18 row_shr:15 row_mask:0xf bank_mask:0xf bound_ctrl:1
	v_add_f32_e32 v17, v17, v24
	v_cvt_f32_i32_dpp v1, v1 row_shl:1 row_mask:0xf bank_mask:0xf bound_ctrl:1
	v_cvt_i32_f32_e32 v17, v17
	v_cvt_f32_i32_dpp v13, v13 row_shl:1 row_mask:0xf bank_mask:0xf bound_ctrl:1
	v_cvt_i32_f32_e32 v9, v9
	;; [unrolled: 2-line block ×5, first 2 shown]
	v_cvt_f32_i32_dpp v22, v22 row_bcast:15 row_mask:0xf bank_mask:0xf bound_ctrl:1
	v_mov_b32_dpp v18, v21 row_bcast:31 row_mask:0xf bank_mask:0xf bound_ctrl:1
	v_cvt_i32_f32_e32 v21, v23
	v_add_f32_e32 v0, v0, v1
	v_cvt_f32_i32_dpp v17, v17 row_shr:15 row_mask:0xf bank_mask:0xf bound_ctrl:1
	v_add_f32_e32 v12, v12, v13
	v_cvt_f32_i32_dpp v9, v9 row_shl:1 row_mask:0xf bank_mask:0xf bound_ctrl:1
	v_add_f32_e32 v0, v0, v2
	v_cvt_f32_i32_dpp v1, v3 row_shl:3 row_mask:0xf bank_mask:0xf bound_ctrl:1
	v_cvt_i32_f32_e32 v2, v5
	v_add_f32_e32 v12, v12, v14
	v_cvt_f32_i32_dpp v10, v10 row_shl:2 row_mask:0xf bank_mask:0xf bound_ctrl:1
	v_cvt_i32_f32_e32 v3, v6
	;; [unrolled: 3-line block ×3, first 2 shown]
	v_add_f32_e32 v16, v19, v22
	v_cvt_f32_i32_dpp v21, v21 row_bcast:15 row_mask:0xf bank_mask:0xf bound_ctrl:1
	v_cvt_i32_f32_e32 v12, v14
	v_cvt_i32_f32_e32 v19, v16
	;; [unrolled: 1-line block ×3, first 2 shown]
	v_add_f32_e32 v8, v8, v9
	v_add_f32_e32 v0, v0, v1
	v_cvt_f32_i32_dpp v1, v2 row_shl:1 row_mask:0xf bank_mask:0xf bound_ctrl:1
	v_add_f32_e32 v8, v8, v10
	v_cvt_f32_i32_dpp v2, v3 row_shl:2 row_mask:0xf bank_mask:0xf bound_ctrl:1
	v_add_f32_e32 v9, v8, v11
	v_cvt_f32_i32_dpp v3, v5 row_shl:3 row_mask:0xf bank_mask:0xf bound_ctrl:1
	v_add_f32_e32 v13, v23, v21
	v_cvt_f32_i32_dpp v21, v12 row_shl:4 row_mask:0xf bank_mask:0xf bound_ctrl:1
	v_cvt_i32_f32_e32 v10, v9
	v_mov_b32_dpp v15, v19 row_bcast:31 row_mask:0xf bank_mask:0xf bound_ctrl:1
	v_cvt_f32_i32_dpp v19, v22 row_bcast:15 row_mask:0xf bank_mask:0xf bound_ctrl:1
	v_add_f32_e32 v1, v4, v1
	v_add_f32_e32 v1, v1, v2
	;; [unrolled: 1-line block ×4, first 2 shown]
	v_cvt_f32_i32_dpp v10, v10 row_shl:4 row_mask:0xf bank_mask:0xf bound_ctrl:1
	v_cvt_i32_f32_e32 v5, v0
	v_cvt_i32_f32_e32 v2, v1
	v_add_f32_e32 v12, v17, v19
	v_cvt_i32_f32_e32 v19, v14
	v_add_f32_e32 v9, v9, v10
	v_cvt_f32_i32_dpp v4, v5 row_shl:4 row_mask:0xf bank_mask:0xf bound_ctrl:1
	v_cvt_f32_i32_dpp v2, v2 row_shl:4 row_mask:0xf bank_mask:0xf bound_ctrl:1
	;; [unrolled: 1-line block ×3, first 2 shown]
	v_cvt_i32_f32_e32 v10, v9
	v_add_f32_e32 v0, v0, v4
	v_add_f32_e32 v1, v1, v2
	;; [unrolled: 1-line block ×3, first 2 shown]
	v_cvt_f32_i32_dpp v3, v10 row_shl:8 row_mask:0xf bank_mask:0xf bound_ctrl:1
	v_cvt_i32_f32_e32 v4, v0
	v_cvt_i32_f32_e32 v2, v1
	;; [unrolled: 1-line block ×3, first 2 shown]
	v_add_f32_e32 v3, v9, v3
	v_cvt_f32_i32_dpp v4, v4 row_shl:8 row_mask:0xf bank_mask:0xf bound_ctrl:1
	v_cvt_f32_i32_dpp v2, v2 row_shl:8 row_mask:0xf bank_mask:0xf bound_ctrl:1
	v_cvt_f32_i32_dpp v5, v14 row_shr:15 row_mask:0xf bank_mask:0xf bound_ctrl:1
	v_cvt_i32_f32_e32 v3, v3
	v_add_f32_e32 v0, v0, v4
	v_add_f32_e32 v1, v1, v2
	v_cvt_i32_f32_e32 v6, v5
	v_cvt_f32_i32_dpp v3, v3 row_shr:15 row_mask:0xf bank_mask:0xf bound_ctrl:1
	v_cvt_i32_f32_e32 v0, v0
	v_cvt_i32_f32_e32 v1, v1
	v_cvt_f32_i32_dpp v2, v6 row_bcast:15 row_mask:0xf bank_mask:0xf bound_ctrl:1
	v_cvt_i32_f32_e32 v4, v3
	v_cvt_f32_i32_dpp v0, v0 row_shr:15 row_mask:0xf bank_mask:0xf bound_ctrl:1
	v_cvt_f32_i32_dpp v1, v1 row_shr:15 row_mask:0xf bank_mask:0xf bound_ctrl:1
	v_add_f32_e32 v10, v5, v2
	v_cvt_f32_i32_dpp v4, v4 row_bcast:15 row_mask:0xf bank_mask:0xf bound_ctrl:1
	v_cvt_i32_f32_e32 v2, v0
	v_cvt_i32_f32_e32 v5, v1
	v_cvt_i32_f32_e32 v22, v13
	v_add_f32_e32 v6, v3, v4
	v_cvt_f32_i32_dpp v2, v2 row_bcast:15 row_mask:0xf bank_mask:0xf bound_ctrl:1
	v_cvt_f32_i32_dpp v3, v5 row_bcast:15 row_mask:0xf bank_mask:0xf bound_ctrl:1
	v_cvt_i32_f32_e32 v17, v12
	v_cvt_i32_f32_e32 v7, v10
	v_add_f32_e32 v4, v0, v2
	v_add_f32_e32 v2, v1, v3
	v_cvt_i32_f32_e32 v5, v6
	v_cvt_i32_f32_e32 v0, v4
	;; [unrolled: 1-line block ×3, first 2 shown]
	v_mov_b32_dpp v11, v22 row_bcast:31 row_mask:0xf bank_mask:0xf bound_ctrl:1
	v_mov_b32_dpp v8, v17 row_bcast:31 row_mask:0xf bank_mask:0xf bound_ctrl:1
	;; [unrolled: 1-line block ×6, first 2 shown]
	s_and_saveexec_b64 s[20:21], s[0:1]
	s_cbranch_execz .LBB266_7
; %bb.16:                               ;   in Loop: Header=BB266_8 Depth=1
	s_andn2_b64 vcc, exec, s[18:19]
	v_mov_b32_e32 v0, 0
	v_mov_b32_e32 v24, 0
	;; [unrolled: 1-line block ×8, first 2 shown]
	s_cbranch_vccnz .LBB266_18
; %bb.17:                               ;   in Loop: Header=BB266_8 Depth=1
	v_mul_hi_u32 v0, v72, v89
	v_mul_lo_u32 v0, v0, s8
	v_sub_u32_e32 v0, v72, v0
	v_subrev_u32_e32 v1, s8, v0
	v_cmp_le_u32_e32 vcc, s8, v0
	v_mov_b32_e32 v23, v75
	s_nop 0
	v_cndmask_b32_e32 v0, v0, v1, vcc
	v_subrev_u32_e32 v1, s8, v0
	v_cmp_le_u32_e32 vcc, s8, v0
	s_nop 1
	v_cndmask_b32_e32 v74, v0, v1, vcc
	v_or_b32_e32 v0, 1, v72
	v_mul_hi_u32 v1, v0, v89
	v_mul_lo_u32 v1, v1, s8
	v_sub_u32_e32 v0, v0, v1
	v_subrev_u32_e32 v1, s8, v0
	v_cmp_le_u32_e32 vcc, s8, v0
	v_add_u32_e32 v22, s27, v74
	v_lshl_add_u64 v[30:31], v[22:23], 1, s[10:11]
	v_cndmask_b32_e32 v0, v0, v1, vcc
	v_subrev_u32_e32 v1, s8, v0
	v_cmp_le_u32_e32 vcc, s8, v0
	v_lshl_add_u64 v[26:27], v[74:75], 1, s[10:11]
	s_nop 0
	v_cndmask_b32_e32 v0, v0, v1, vcc
	v_add_u32_e32 v22, s27, v0
	v_lshl_add_u64 v[32:33], v[22:23], 1, s[10:11]
	v_add_u32_e32 v22, s28, v74
	v_add_u32_e32 v74, s29, v74
	v_mov_b32_e32 v1, v75
	v_lshl_add_u64 v[34:35], v[22:23], 1, s[10:11]
	v_add_u32_e32 v22, s28, v0
	v_lshl_add_u64 v[38:39], v[74:75], 1, s[10:11]
	v_add_u32_e32 v74, s29, v0
	v_lshl_add_u64 v[28:29], v[0:1], 1, s[10:11]
	v_lshl_add_u64 v[36:37], v[22:23], 1, s[10:11]
	;; [unrolled: 1-line block ×3, first 2 shown]
	global_load_ushort v0, v[26:27], off
	global_load_ushort v24, v[28:29], off
	;; [unrolled: 1-line block ×8, first 2 shown]
.LBB266_18:                             ;   in Loop: Header=BB266_8 Depth=1
	v_cvt_f32_i32_e32 v1, v18
	s_waitcnt vmcnt(7)
	v_lshlrev_b32_e32 v0, 16, v0
                                        ; implicit-def: $vgpr18
	v_add_f32_e32 v1, v20, v1
	v_add_f32_e32 v0, v1, v0
	v_and_b32_e32 v1, 0x7f800000, v0
	v_cmp_ne_u32_e32 vcc, s31, v1
	s_and_saveexec_b64 s[22:23], vcc
	s_xor_b64 s[22:23], exec, s[22:23]
; %bb.19:                               ;   in Loop: Header=BB266_8 Depth=1
	v_bfe_u32 v1, v0, 16, 1
	v_add3_u32 v18, v0, v1, s33
                                        ; implicit-def: $vgpr0
; %bb.20:                               ;   in Loop: Header=BB266_8 Depth=1
	s_andn2_saveexec_b64 s[22:23], s[22:23]
; %bb.21:                               ;   in Loop: Header=BB266_8 Depth=1
	v_or_b32_e32 v1, 0x10000, v0
	v_cmp_eq_u32_sdwa vcc, v0, v75 src0_sel:WORD_0 src1_sel:DWORD
	s_nop 1
	v_cndmask_b32_e32 v18, v1, v0, vcc
; %bb.22:                               ;   in Loop: Header=BB266_8 Depth=1
	s_or_b64 exec, exec, s[22:23]
	v_cvt_f32_i32_e32 v15, v15
	v_mov_b32_e32 v73, v75
	s_waitcnt lgkmcnt(0)
	v_lshl_add_u64 v[0:1], v[72:73], 1, s[14:15]
	global_store_short_d16_hi v[0:1], v18, off
	v_add_f32_e32 v15, v16, v15
	s_waitcnt vmcnt(7)
	v_lshlrev_b32_e32 v16, 16, v24
	v_add_f32_e32 v15, v15, v16
	v_and_b32_e32 v16, 0x7f800000, v15
	v_cmp_ne_u32_e32 vcc, s31, v16
                                        ; implicit-def: $vgpr16
	s_and_saveexec_b64 s[22:23], vcc
	s_xor_b64 s[22:23], exec, s[22:23]
; %bb.23:                               ;   in Loop: Header=BB266_8 Depth=1
	v_bfe_u32 v16, v15, 16, 1
	v_add3_u32 v16, v15, v16, s33
                                        ; implicit-def: $vgpr15
; %bb.24:                               ;   in Loop: Header=BB266_8 Depth=1
	s_andn2_saveexec_b64 s[22:23], s[22:23]
; %bb.25:                               ;   in Loop: Header=BB266_8 Depth=1
	v_or_b32_e32 v16, 0x10000, v15
	v_cmp_eq_u32_sdwa vcc, v15, v75 src0_sel:WORD_0 src1_sel:DWORD
	s_nop 1
	v_cndmask_b32_e32 v16, v16, v15, vcc
; %bb.26:                               ;   in Loop: Header=BB266_8 Depth=1
	s_or_b64 exec, exec, s[22:23]
	v_cvt_f32_i32_e32 v11, v11
	global_store_short_d16_hi v[0:1], v16, off offset:2
	s_waitcnt vmcnt(7)
	v_lshlrev_b32_e32 v1, 16, v23
	v_add_f32_e32 v0, v13, v11
	v_add_f32_e32 v1, v0, v1
	v_and_b32_e32 v0, 0x7f800000, v1
	v_cmp_ne_u32_e32 vcc, s31, v0
                                        ; implicit-def: $vgpr0
	s_and_saveexec_b64 s[22:23], vcc
	s_xor_b64 s[22:23], exec, s[22:23]
; %bb.27:                               ;   in Loop: Header=BB266_8 Depth=1
	v_bfe_u32 v0, v1, 16, 1
	v_add3_u32 v0, v1, v0, s33
                                        ; implicit-def: $vgpr1
; %bb.28:                               ;   in Loop: Header=BB266_8 Depth=1
	s_andn2_saveexec_b64 s[22:23], s[22:23]
; %bb.29:                               ;   in Loop: Header=BB266_8 Depth=1
	v_or_b32_e32 v0, 0x10000, v1
	v_cmp_eq_u32_sdwa vcc, v1, v75 src0_sel:WORD_0 src1_sel:DWORD
	s_nop 1
	v_cndmask_b32_e32 v0, v0, v1, vcc
; %bb.30:                               ;   in Loop: Header=BB266_8 Depth=1
	s_or_b64 exec, exec, s[22:23]
	v_cvt_f32_i32_e32 v1, v8
	v_add_u32_e32 v74, s7, v72
	v_lshl_add_u64 v[24:25], v[74:75], 1, s[14:15]
	global_store_short_d16_hi v[24:25], v0, off
	v_add_f32_e32 v0, v12, v1
	s_waitcnt vmcnt(7)
	v_lshlrev_b32_e32 v1, 16, v22
	v_add_f32_e32 v1, v0, v1
	v_and_b32_e32 v0, 0x7f800000, v1
	v_cmp_ne_u32_e32 vcc, s31, v0
                                        ; implicit-def: $vgpr0
	s_and_saveexec_b64 s[22:23], vcc
	s_xor_b64 s[22:23], exec, s[22:23]
; %bb.31:                               ;   in Loop: Header=BB266_8 Depth=1
	v_bfe_u32 v0, v1, 16, 1
	v_add3_u32 v0, v1, v0, s33
                                        ; implicit-def: $vgpr1
; %bb.32:                               ;   in Loop: Header=BB266_8 Depth=1
	s_andn2_saveexec_b64 s[22:23], s[22:23]
; %bb.33:                               ;   in Loop: Header=BB266_8 Depth=1
	v_or_b32_e32 v0, 0x10000, v1
	v_cmp_eq_u32_sdwa vcc, v1, v75 src0_sel:WORD_0 src1_sel:DWORD
	s_nop 1
	v_cndmask_b32_e32 v0, v0, v1, vcc
; %bb.34:                               ;   in Loop: Header=BB266_8 Depth=1
	s_or_b64 exec, exec, s[22:23]
	v_cvt_f32_i32_e32 v1, v17
	v_add_u32_e32 v12, 1, v74
	v_mov_b32_e32 v13, v75
	v_lshl_add_u64 v[12:13], v[12:13], 1, s[14:15]
	v_add_f32_e32 v1, v10, v1
	global_store_short_d16_hi v[12:13], v0, off
	s_waitcnt vmcnt(7)
	v_lshlrev_b32_e32 v0, 16, v21
	v_add_f32_e32 v0, v1, v0
	v_and_b32_e32 v1, 0x7f800000, v0
	v_cmp_ne_u32_e32 vcc, s31, v1
                                        ; implicit-def: $vgpr8
	s_and_saveexec_b64 s[22:23], vcc
	s_xor_b64 s[22:23], exec, s[22:23]
; %bb.35:                               ;   in Loop: Header=BB266_8 Depth=1
	v_bfe_u32 v1, v0, 16, 1
	v_add3_u32 v8, v0, v1, s33
                                        ; implicit-def: $vgpr0
; %bb.36:                               ;   in Loop: Header=BB266_8 Depth=1
	s_andn2_saveexec_b64 s[22:23], s[22:23]
; %bb.37:                               ;   in Loop: Header=BB266_8 Depth=1
	v_or_b32_e32 v1, 0x10000, v0
	v_cmp_eq_u32_sdwa vcc, v0, v75 src0_sel:WORD_0 src1_sel:DWORD
	s_nop 1
	v_cndmask_b32_e32 v8, v1, v0, vcc
; %bb.38:                               ;   in Loop: Header=BB266_8 Depth=1
	s_or_b64 exec, exec, s[22:23]
	v_cvt_f32_i32_e32 v9, v9
	v_add_u32_e32 v74, s7, v74
	v_lshl_add_u64 v[0:1], v[74:75], 1, s[14:15]
	global_store_short_d16_hi v[0:1], v8, off
	v_add_f32_e32 v6, v6, v9
	s_waitcnt vmcnt(7)
	v_lshlrev_b32_e32 v8, 16, v19
	v_add_f32_e32 v6, v6, v8
	v_and_b32_e32 v8, 0x7f800000, v6
	v_cmp_ne_u32_e32 vcc, s31, v8
                                        ; implicit-def: $vgpr8
	s_and_saveexec_b64 s[22:23], vcc
	s_xor_b64 s[22:23], exec, s[22:23]
; %bb.39:                               ;   in Loop: Header=BB266_8 Depth=1
	v_bfe_u32 v8, v6, 16, 1
	v_add3_u32 v8, v6, v8, s33
                                        ; implicit-def: $vgpr6
; %bb.40:                               ;   in Loop: Header=BB266_8 Depth=1
	s_andn2_saveexec_b64 s[22:23], s[22:23]
; %bb.41:                               ;   in Loop: Header=BB266_8 Depth=1
	v_or_b32_e32 v8, 0x10000, v6
	v_cmp_eq_u32_sdwa vcc, v6, v75 src0_sel:WORD_0 src1_sel:DWORD
	s_nop 1
	v_cndmask_b32_e32 v8, v8, v6, vcc
; %bb.42:                               ;   in Loop: Header=BB266_8 Depth=1
	s_or_b64 exec, exec, s[22:23]
	v_cvt_f32_i32_e32 v5, v5
	global_store_short_d16_hi v[0:1], v8, off offset:2
	s_waitcnt vmcnt(7)
	v_lshlrev_b32_e32 v1, 16, v14
	v_add_f32_e32 v0, v4, v5
	v_add_f32_e32 v1, v0, v1
	v_and_b32_e32 v0, 0x7f800000, v1
	v_cmp_ne_u32_e32 vcc, s31, v0
                                        ; implicit-def: $vgpr0
	s_and_saveexec_b64 s[22:23], vcc
	s_xor_b64 s[22:23], exec, s[22:23]
; %bb.43:                               ;   in Loop: Header=BB266_8 Depth=1
	v_bfe_u32 v0, v1, 16, 1
	v_add3_u32 v0, v1, v0, s33
                                        ; implicit-def: $vgpr1
; %bb.44:                               ;   in Loop: Header=BB266_8 Depth=1
	s_andn2_saveexec_b64 s[22:23], s[22:23]
; %bb.45:                               ;   in Loop: Header=BB266_8 Depth=1
	v_or_b32_e32 v0, 0x10000, v1
	v_cmp_eq_u32_sdwa vcc, v1, v75 src0_sel:WORD_0 src1_sel:DWORD
	s_nop 1
	v_cndmask_b32_e32 v0, v0, v1, vcc
; %bb.46:                               ;   in Loop: Header=BB266_8 Depth=1
	s_or_b64 exec, exec, s[22:23]
	v_cvt_f32_i32_e32 v1, v3
	v_add_u32_e32 v74, s7, v74
	v_lshl_add_u64 v[4:5], v[74:75], 1, s[14:15]
	global_store_short_d16_hi v[4:5], v0, off
	v_add_f32_e32 v0, v2, v1
	s_waitcnt vmcnt(7)
	v_lshlrev_b32_e32 v1, 16, v7
	v_add_f32_e32 v1, v0, v1
	v_and_b32_e32 v0, 0x7f800000, v1
	v_cmp_ne_u32_e32 vcc, s31, v0
                                        ; implicit-def: $vgpr0
	s_and_saveexec_b64 s[22:23], vcc
	s_xor_b64 s[22:23], exec, s[22:23]
; %bb.47:                               ;   in Loop: Header=BB266_8 Depth=1
	v_bfe_u32 v0, v1, 16, 1
	v_add3_u32 v0, v1, v0, s33
                                        ; implicit-def: $vgpr1
; %bb.48:                               ;   in Loop: Header=BB266_8 Depth=1
	s_andn2_saveexec_b64 s[22:23], s[22:23]
	s_cbranch_execz .LBB266_6
; %bb.49:                               ;   in Loop: Header=BB266_8 Depth=1
	v_or_b32_e32 v0, 0x10000, v1
	v_cmp_eq_u32_sdwa vcc, v1, v75 src0_sel:WORD_0 src1_sel:DWORD
	s_nop 1
	v_cndmask_b32_e32 v0, v0, v1, vcc
	s_branch .LBB266_6
.LBB266_50:
	s_endpgm
	.section	.rodata,"a",@progbits
	.p2align	6, 0x0
	.amdhsa_kernel _Z16wvSplitK_hf_sml_I14__hip_bfloat16Li64ELi2ELi16ELi8ELi2ELi4EEviiiiiiPKT_S3_S3_PS1_ii
		.amdhsa_group_segment_fixed_size 65536
		.amdhsa_private_segment_fixed_size 0
		.amdhsa_kernarg_size 64
		.amdhsa_user_sgpr_count 2
		.amdhsa_user_sgpr_dispatch_ptr 0
		.amdhsa_user_sgpr_queue_ptr 0
		.amdhsa_user_sgpr_kernarg_segment_ptr 1
		.amdhsa_user_sgpr_dispatch_id 0
		.amdhsa_user_sgpr_kernarg_preload_length 0
		.amdhsa_user_sgpr_kernarg_preload_offset 0
		.amdhsa_user_sgpr_private_segment_size 0
		.amdhsa_uses_dynamic_stack 0
		.amdhsa_enable_private_segment 0
		.amdhsa_system_sgpr_workgroup_id_x 1
		.amdhsa_system_sgpr_workgroup_id_y 0
		.amdhsa_system_sgpr_workgroup_id_z 0
		.amdhsa_system_sgpr_workgroup_info 0
		.amdhsa_system_vgpr_workitem_id 1
		.amdhsa_next_free_vgpr 94
		.amdhsa_next_free_sgpr 35
		.amdhsa_accum_offset 96
		.amdhsa_reserve_vcc 1
		.amdhsa_float_round_mode_32 0
		.amdhsa_float_round_mode_16_64 0
		.amdhsa_float_denorm_mode_32 3
		.amdhsa_float_denorm_mode_16_64 3
		.amdhsa_dx10_clamp 1
		.amdhsa_ieee_mode 1
		.amdhsa_fp16_overflow 0
		.amdhsa_tg_split 0
		.amdhsa_exception_fp_ieee_invalid_op 0
		.amdhsa_exception_fp_denorm_src 0
		.amdhsa_exception_fp_ieee_div_zero 0
		.amdhsa_exception_fp_ieee_overflow 0
		.amdhsa_exception_fp_ieee_underflow 0
		.amdhsa_exception_fp_ieee_inexact 0
		.amdhsa_exception_int_div_zero 0
	.end_amdhsa_kernel
	.section	.text._Z16wvSplitK_hf_sml_I14__hip_bfloat16Li64ELi2ELi16ELi8ELi2ELi4EEviiiiiiPKT_S3_S3_PS1_ii,"axG",@progbits,_Z16wvSplitK_hf_sml_I14__hip_bfloat16Li64ELi2ELi16ELi8ELi2ELi4EEviiiiiiPKT_S3_S3_PS1_ii,comdat
.Lfunc_end266:
	.size	_Z16wvSplitK_hf_sml_I14__hip_bfloat16Li64ELi2ELi16ELi8ELi2ELi4EEviiiiiiPKT_S3_S3_PS1_ii, .Lfunc_end266-_Z16wvSplitK_hf_sml_I14__hip_bfloat16Li64ELi2ELi16ELi8ELi2ELi4EEviiiiiiPKT_S3_S3_PS1_ii
                                        ; -- End function
	.section	.AMDGPU.csdata,"",@progbits
; Kernel info:
; codeLenInByte = 3784
; NumSgprs: 41
; NumVgprs: 94
; NumAgprs: 0
; TotalNumVgprs: 94
; ScratchSize: 0
; MemoryBound: 0
; FloatMode: 240
; IeeeMode: 1
; LDSByteSize: 65536 bytes/workgroup (compile time only)
; SGPRBlocks: 5
; VGPRBlocks: 11
; NumSGPRsForWavesPerEU: 41
; NumVGPRsForWavesPerEU: 94
; AccumOffset: 96
; Occupancy: 4
; WaveLimiterHint : 0
; COMPUTE_PGM_RSRC2:SCRATCH_EN: 0
; COMPUTE_PGM_RSRC2:USER_SGPR: 2
; COMPUTE_PGM_RSRC2:TRAP_HANDLER: 0
; COMPUTE_PGM_RSRC2:TGID_X_EN: 1
; COMPUTE_PGM_RSRC2:TGID_Y_EN: 0
; COMPUTE_PGM_RSRC2:TGID_Z_EN: 0
; COMPUTE_PGM_RSRC2:TIDIG_COMP_CNT: 1
; COMPUTE_PGM_RSRC3_GFX90A:ACCUM_OFFSET: 23
; COMPUTE_PGM_RSRC3_GFX90A:TG_SPLIT: 0
	.section	.text._Z12wvSplitK_hf_I14__hip_bfloat16Li64ELi2ELi16ELi8ELi2ELi4EEviiiiiiPKT_S3_S3_PS1_ii,"axG",@progbits,_Z12wvSplitK_hf_I14__hip_bfloat16Li64ELi2ELi16ELi8ELi2ELi4EEviiiiiiPKT_S3_S3_PS1_ii,comdat
	.protected	_Z12wvSplitK_hf_I14__hip_bfloat16Li64ELi2ELi16ELi8ELi2ELi4EEviiiiiiPKT_S3_S3_PS1_ii ; -- Begin function _Z12wvSplitK_hf_I14__hip_bfloat16Li64ELi2ELi16ELi8ELi2ELi4EEviiiiiiPKT_S3_S3_PS1_ii
	.globl	_Z12wvSplitK_hf_I14__hip_bfloat16Li64ELi2ELi16ELi8ELi2ELi4EEviiiiiiPKT_S3_S3_PS1_ii
	.p2align	8
	.type	_Z12wvSplitK_hf_I14__hip_bfloat16Li64ELi2ELi16ELi8ELi2ELi4EEviiiiiiPKT_S3_S3_PS1_ii,@function
_Z12wvSplitK_hf_I14__hip_bfloat16Li64ELi2ELi16ELi8ELi2ELi4EEviiiiiiPKT_S3_S3_PS1_ii: ; @_Z12wvSplitK_hf_I14__hip_bfloat16Li64ELi2ELi16ELi8ELi2ELi4EEviiiiiiPKT_S3_S3_PS1_ii
; %bb.0:
	s_load_dwordx2 s[4:5], s[0:1], 0x38
	s_load_dwordx4 s[8:11], s[0:1], 0x0
	s_load_dwordx2 s[16:17], s[0:1], 0x10
	v_bfe_u32 v3, v0, 10, 10
	s_mov_b32 s6, 1
	s_waitcnt lgkmcnt(0)
	s_mul_i32 s2, s2, s4
	v_add_lshl_u32 v82, s2, v3, 1
	v_add_u32_e32 v1, 2, v82
	v_cmp_gt_u32_e32 vcc, s11, v82
	v_cmp_le_u32_e64 s[2:3], s11, v1
	s_mov_b32 s7, s6
	s_and_b64 s[12:13], vcc, s[2:3]
	v_mov_b64_e32 v[80:81], s[6:7]
	s_and_saveexec_b64 s[2:3], s[12:13]
	s_cbranch_execz .LBB267_6
; %bb.1:
	s_add_i32 s20, s11, -2
	v_cmp_ne_u32_e32 vcc, s20, v82
	v_mov_b64_e32 v[80:81], s[6:7]
	s_and_saveexec_b64 s[6:7], vcc
	s_cbranch_execz .LBB267_5
; %bb.2:
	v_subrev_u32_e32 v1, s20, v82
	s_mov_b32 s12, 1
	v_cmp_lt_u32_e32 vcc, 1, v1
	s_mov_b64 s[14:15], 0
	s_mov_b64 s[18:19], 0
	v_cndmask_b32_e32 v2, 1, v1, vcc
	s_mov_b32 s13, s12
.LBB267_3:                              ; =>This Inner Loop Header: Depth=1
	s_cmp_lg_u32 s18, 1
	s_cselect_b32 s13, s13, 0
	s_cmp_lg_u32 s18, 0
	s_cselect_b32 s12, s12, 0
	s_add_u32 s18, s18, 1
	s_addc_u32 s19, s19, 0
	v_cmp_eq_u32_e32 vcc, s18, v2
	s_or_b64 s[14:15], vcc, s[14:15]
	v_mov_b64_e32 v[80:81], s[12:13]
	s_andn2_b64 exec, exec, s[14:15]
	s_cbranch_execnz .LBB267_3
; %bb.4:
	s_or_b64 exec, exec, s[14:15]
	v_mov_b32_e32 v82, s20
.LBB267_5:
	s_or_b64 exec, exec, s[6:7]
.LBB267_6:
	s_or_b64 exec, exec, s[2:3]
	s_load_dwordx4 s[12:15], s[0:1], 0x20
	v_and_b32_e32 v2, 0x3ff, v0
	v_lshlrev_b32_e32 v84, 3, v2
	s_lshl_b32 s33, s10, 2
	v_lshl_add_u32 v4, v3, 9, v84
	s_min_u32 s20, s33, 0x8000
	v_cmp_gt_u32_e32 vcc, s20, v4
	s_and_saveexec_b64 s[2:3], vcc
	s_cbranch_execz .LBB267_9
; %bb.7:
	v_mov_b32_e32 v7, 0
	v_lshlrev_b32_e32 v6, 10, v3
	v_lshlrev_b32_e32 v8, 4, v2
	v_mov_b32_e32 v9, v7
	v_lshl_add_u64 v[0:1], v[6:7], 0, v[8:9]
	s_waitcnt lgkmcnt(0)
	v_lshl_add_u64 v[0:1], s[12:13], 0, v[0:1]
	v_add_u32_e32 v5, v6, v8
	s_mov_b64 s[6:7], 0
	s_mov_b64 s[18:19], 0x4000
.LBB267_8:                              ; =>This Inner Loop Header: Depth=1
	global_load_dwordx4 v[6:9], v[0:1], off
	v_add_u32_e32 v4, 0x2000, v4
	v_cmp_le_u32_e32 vcc, s20, v4
	v_lshl_add_u64 v[0:1], v[0:1], 0, s[18:19]
	s_or_b64 s[6:7], vcc, s[6:7]
	s_waitcnt vmcnt(0)
	ds_write_b128 v5, v[6:9]
	v_add_u32_e32 v5, 0x4000, v5
	s_andn2_b64 exec, exec, s[6:7]
	s_cbranch_execnz .LBB267_8
.LBB267_9:
	s_or_b64 exec, exec, s[2:3]
	v_cmp_gt_u32_e32 vcc, s4, v3
	v_cmp_gt_u32_e64 s[2:3], s11, v82
	s_and_b64 s[2:3], vcc, s[2:3]
	s_waitcnt lgkmcnt(0)
	s_barrier
	s_and_saveexec_b64 s[6:7], s[2:3]
	s_cbranch_execz .LBB267_108
; %bb.10:
	s_cmp_lg_u32 s8, 0
	s_cselect_b64 s[2:3], -1, 0
	s_add_i32 s36, s8, -8
	s_add_i32 s37, s11, -1
	s_mul_i32 s4, s4, s5
	s_cmp_lg_u64 s[14:15], 0
	s_cselect_b64 s[24:25], -1, 0
	s_lshl_b32 s38, s4, 1
	s_abs_i32 s4, s17
	v_cvt_f32_u32_e32 v0, s16
	v_cvt_f32_u32_e32 v1, s4
	s_sub_i32 s5, 0, s16
	s_add_i32 s17, s11, -2
	v_rcp_iflag_f32_e32 v0, v0
	v_rcp_iflag_f32_e32 v1, v1
	s_load_dwordx2 s[18:19], s[0:1], 0x18
	s_load_dwordx2 s[20:21], s[0:1], 0x30
	v_cmp_eq_u32_e64 s[0:1], 63, v2
	v_mul_f32_e32 v0, 0x4f7ffffe, v0
	v_mul_f32_e32 v1, 0x4f7ffffe, v1
	v_cvt_u32_f32_e32 v0, v0
	v_cvt_u32_f32_e32 v1, v1
	s_mov_b64 s[22:23], 0
	v_mov_b32_e32 v87, 0
	v_mul_lo_u32 v3, s5, v0
	s_sub_i32 s5, 0, s4
	v_readfirstlane_b32 s6, v1
	s_mul_i32 s5, s5, s6
	s_mul_hi_u32 s5, s6, s5
	s_add_i32 s6, s6, s5
	s_sub_i32 s5, 1, s4
	s_cmp_lt_u32 s4, 2
	s_cselect_b32 s5, s5, 1
	s_sub_i32 s7, s5, s4
	s_cmp_ge_u32 s5, s4
	s_cselect_b32 s39, s7, s5
	s_lshr_b32 s5, s6, 31
	s_mul_i32 s5, s5, s4
	s_sub_i32 s5, 2, s5
	s_sub_i32 s7, s5, s4
	s_cmp_ge_u32 s5, s4
	s_cselect_b32 s5, s7, s5
	s_sub_i32 s7, s5, s4
	s_cmp_ge_u32 s5, s4
	s_cselect_b32 s40, s7, s5
	s_mul_hi_u32 s5, s6, 3
	s_mul_i32 s5, s5, s4
	s_sub_i32 s5, 3, s5
	s_sub_i32 s6, s5, s4
	s_cmp_ge_u32 s5, s4
	s_cselect_b32 s5, s6, s5
	v_mul_hi_u32 v3, v0, v3
	s_sub_i32 s6, s5, s4
	v_add_u32_e32 v85, v0, v3
	s_cmp_ge_u32 s5, s4
	s_cselect_b32 s41, s6, s5
	s_lshl_b32 s42, s10, 1
	v_mad_u64_u32 v[88:89], s[4:5], s10, 3, v[84:85]
	v_cndmask_b32_e64 v0, 0, 1, s[2:3]
	s_mul_i32 s39, s39, s16
	s_mul_i32 s40, s40, s16
	;; [unrolled: 1-line block ×3, first 2 shown]
	v_lshlrev_b32_e32 v102, 4, v2
	v_add_u32_e32 v103, s42, v84
	s_mul_i32 s43, s10, 6
	v_add_u32_e32 v89, s10, v84
	v_cmp_ne_u32_e64 s[2:3], 1, v0
	s_movk_i32 s10, 0x7fff
	s_mov_b32 s44, 0x7f800000
	s_mov_b32 s26, 0
	s_branch .LBB267_13
.LBB267_11:                             ;   in Loop: Header=BB267_13 Depth=1
	s_or_b64 exec, exec, s[28:29]
	v_mov_b32_e32 v82, s17
.LBB267_12:                             ;   in Loop: Header=BB267_13 Depth=1
	s_or_b64 exec, exec, s[6:7]
	v_cmp_le_u32_e32 vcc, s11, v82
	s_or_b64 s[22:23], vcc, s[22:23]
	s_andn2_b64 exec, exec, s[22:23]
	s_cbranch_execz .LBB267_108
.LBB267_13:                             ; =>This Loop Header: Depth=1
                                        ;     Child Loop BB267_18 Depth 2
                                        ;     Child Loop BB267_106 Depth 2
	s_and_b64 vcc, exec, s[2:3]
	v_add_u32_e32 v90, 1, v82
	s_waitcnt vmcnt(1)
	v_mov_b32_e32 v7, v87
	v_mov_b32_e32 v6, v87
	;; [unrolled: 1-line block ×3, first 2 shown]
	s_waitcnt vmcnt(0)
	v_mov_b32_e32 v4, v87
	v_mov_b32_e32 v3, v87
	;; [unrolled: 1-line block ×29, first 2 shown]
	s_cbranch_vccnz .LBB267_52
; %bb.14:                               ;   in Loop: Header=BB267_13 Depth=1
	v_min_u32_e32 v0, s37, v82
	v_mul_lo_u32 v86, v0, s9
	v_min_u32_e32 v0, s37, v90
	v_mul_lo_u32 v0, v0, s9
	v_mov_b32_e32 v1, v87
	v_mov_b32_e32 v16, 0
	s_mov_b32 s4, 0
	v_lshlrev_b64 v[92:93], 1, v[86:87]
	v_lshlrev_b64 v[94:95], 1, v[0:1]
	v_mov_b32_e32 v83, v102
	s_mov_b32 s34, 0
	v_mov_b32_e32 v17, v16
	v_mov_b32_e32 v18, v16
	v_mov_b32_e32 v19, v16
	v_mov_b32_e32 v20, v16
	v_mov_b32_e32 v21, v16
	v_mov_b32_e32 v22, v16
	v_mov_b32_e32 v23, v16
	v_mov_b32_e32 v24, v16
	v_mov_b32_e32 v25, v16
	v_mov_b32_e32 v26, v16
	v_mov_b32_e32 v27, v16
	v_mov_b32_e32 v28, v16
	v_mov_b32_e32 v29, v16
	v_mov_b32_e32 v30, v16
	v_mov_b32_e32 v31, v16
	v_mov_b32_e32 v12, v16
	v_mov_b32_e32 v13, v16
	v_mov_b32_e32 v14, v16
	v_mov_b32_e32 v15, v16
	v_mov_b32_e32 v8, v16
	v_mov_b32_e32 v9, v16
	v_mov_b32_e32 v10, v16
	v_mov_b32_e32 v11, v16
	v_mov_b32_e32 v0, v16
	v_mov_b32_e32 v1, v16
	v_mov_b32_e32 v2, v16
	v_mov_b32_e32 v3, v16
	v_mov_b32_e32 v4, v16
	v_mov_b32_e32 v5, v16
	v_mov_b32_e32 v6, v16
	v_mov_b32_e32 v7, v16
	s_branch .LBB267_18
.LBB267_15:                             ;   in Loop: Header=BB267_18 Depth=2
	s_or_b64 exec, exec, s[30:31]
.LBB267_16:                             ;   in Loop: Header=BB267_18 Depth=2
	s_or_b64 exec, exec, s[28:29]
.LBB267_17:                             ;   in Loop: Header=BB267_18 Depth=2
	s_or_b64 exec, exec, s[6:7]
	s_waitcnt vmcnt(0) lgkmcnt(0)
	v_mfma_f32_4x4x4_16b_bf16 v[28:31], v[48:49], v[40:41], v[28:31]
	s_addk_i32 s34, 0x400
	v_mfma_f32_4x4x4_16b_bf16 v[24:27], v[48:49], v[36:37], v[24:27]
	v_add_u32_e32 v83, 0x800, v83
	v_mfma_f32_4x4x4_16b_bf16 v[20:23], v[52:53], v[40:41], v[20:23]
	s_cmp_ge_u32 s34, s8
	v_mfma_f32_4x4x4_16b_bf16 v[16:19], v[52:53], v[36:37], v[16:19]
	v_mfma_f32_4x4x4_16b_bf16 v[12:15], v[56:57], v[40:41], v[12:15]
	;; [unrolled: 1-line block ×29, first 2 shown]
	s_cbranch_scc1 .LBB267_52
.LBB267_18:                             ;   Parent Loop BB267_13 Depth=1
                                        ; =>  This Inner Loop Header: Depth=2
	v_add_u32_e32 v98, s34, v84
	v_min_u32_e32 v86, s36, v98
	s_waitcnt lgkmcnt(0)
	v_lshl_add_u64 v[32:33], v[86:87], 1, s[18:19]
	v_add_u32_e32 v96, 0x200, v98
	v_lshl_add_u64 v[34:35], v[32:33], 0, v[92:93]
	v_lshl_add_u64 v[32:33], v[32:33], 0, v[94:95]
	v_min_u32_e32 v86, s36, v96
	global_load_dwordx4 v[40:43], v[34:35], off nt
	global_load_dwordx4 v[36:39], v[32:33], off nt
	v_lshl_add_u64 v[32:33], v[86:87], 1, s[18:19]
	v_lshl_add_u64 v[34:35], v[32:33], 0, v[92:93]
	;; [unrolled: 1-line block ×3, first 2 shown]
	global_load_dwordx4 v[44:47], v[34:35], off nt
	s_nop 0
	global_load_dwordx4 v[32:35], v[32:33], off nt
	s_mov_b32 s5, s4
	v_cmp_gt_u32_e32 vcc, s8, v98
	v_mov_b64_e32 v[48:49], s[4:5]
	v_mov_b32_e32 v73, 0
	v_mov_b32_e32 v72, 0
	;; [unrolled: 1-line block ×4, first 2 shown]
	v_mov_b64_e32 v[50:51], s[4:5]
	v_mov_b64_e32 v[64:65], s[4:5]
	;; [unrolled: 1-line block ×13, first 2 shown]
	s_and_saveexec_b64 s[6:7], vcc
	s_cbranch_execz .LBB267_17
; %bb.19:                               ;   in Loop: Header=BB267_18 Depth=2
	v_cmp_lt_u32_e32 vcc, s10, v98
                                        ; implicit-def: $vgpr48_vgpr49
	s_and_saveexec_b64 s[28:29], vcc
	s_xor_b64 s[28:29], exec, s[28:29]
	s_cbranch_execz .LBB267_21
; %bb.20:                               ;   in Loop: Header=BB267_18 Depth=2
	v_mov_b32_e32 v99, v87
	v_lshl_add_u64 v[48:49], v[98:99], 1, s[12:13]
	global_load_dwordx4 v[48:51], v[48:49], off
.LBB267_21:                             ;   in Loop: Header=BB267_18 Depth=2
	s_andn2_saveexec_b64 s[28:29], s[28:29]
	s_cbranch_execz .LBB267_23
; %bb.22:                               ;   in Loop: Header=BB267_18 Depth=2
	s_waitcnt vmcnt(0)
	ds_read_b128 v[48:51], v83
.LBB267_23:                             ;   in Loop: Header=BB267_18 Depth=2
	s_or_b64 exec, exec, s[28:29]
	v_add_u32_e32 v86, s34, v89
	v_cmp_lt_u32_e32 vcc, s10, v86
                                        ; implicit-def: $vgpr52_vgpr53
	s_and_saveexec_b64 s[28:29], vcc
	s_xor_b64 s[28:29], exec, s[28:29]
	s_cbranch_execz .LBB267_25
; %bb.24:                               ;   in Loop: Header=BB267_18 Depth=2
	v_lshl_add_u64 v[52:53], v[86:87], 1, s[12:13]
	global_load_dwordx4 v[52:55], v[52:53], off
.LBB267_25:                             ;   in Loop: Header=BB267_18 Depth=2
	s_andn2_saveexec_b64 s[28:29], s[28:29]
	s_cbranch_execz .LBB267_27
; %bb.26:                               ;   in Loop: Header=BB267_18 Depth=2
	s_waitcnt vmcnt(0)
	v_add_u32_e32 v52, s42, v83
	ds_read_b128 v[52:55], v52
.LBB267_27:                             ;   in Loop: Header=BB267_18 Depth=2
	s_or_b64 exec, exec, s[28:29]
	v_add_u32_e32 v100, s34, v103
	v_cmp_lt_u32_e32 vcc, s10, v100
                                        ; implicit-def: $vgpr56_vgpr57
	s_and_saveexec_b64 s[28:29], vcc
	s_xor_b64 s[28:29], exec, s[28:29]
	s_cbranch_execz .LBB267_29
; %bb.28:                               ;   in Loop: Header=BB267_18 Depth=2
	v_mov_b32_e32 v101, v87
	v_lshl_add_u64 v[56:57], v[100:101], 1, s[12:13]
	global_load_dwordx4 v[56:59], v[56:57], off
.LBB267_29:                             ;   in Loop: Header=BB267_18 Depth=2
	s_andn2_saveexec_b64 s[28:29], s[28:29]
	s_cbranch_execz .LBB267_31
; %bb.30:                               ;   in Loop: Header=BB267_18 Depth=2
	s_waitcnt vmcnt(0)
	v_add_u32_e32 v58, s33, v83
	ds_read2_b32 v[56:57], v58 offset1:1
	ds_read2_b32 v[58:59], v58 offset0:2 offset1:3
.LBB267_31:                             ;   in Loop: Header=BB267_18 Depth=2
	s_or_b64 exec, exec, s[28:29]
	v_add_u32_e32 v98, s34, v88
	v_cmp_lt_u32_e32 vcc, s10, v98
                                        ; implicit-def: $vgpr60_vgpr61
	s_and_saveexec_b64 s[28:29], vcc
	s_xor_b64 s[28:29], exec, s[28:29]
	s_cbranch_execz .LBB267_33
; %bb.32:                               ;   in Loop: Header=BB267_18 Depth=2
	v_mov_b32_e32 v99, v87
	v_lshl_add_u64 v[60:61], v[98:99], 1, s[12:13]
	global_load_dwordx4 v[60:63], v[60:61], off
.LBB267_33:                             ;   in Loop: Header=BB267_18 Depth=2
	s_andn2_saveexec_b64 s[28:29], s[28:29]
	s_cbranch_execz .LBB267_35
; %bb.34:                               ;   in Loop: Header=BB267_18 Depth=2
	s_waitcnt vmcnt(0)
	v_add_u32_e32 v60, s43, v83
	ds_read_b128 v[60:63], v60
.LBB267_35:                             ;   in Loop: Header=BB267_18 Depth=2
	s_or_b64 exec, exec, s[28:29]
	s_mov_b32 s27, s26
	v_cmp_gt_u32_e32 vcc, s8, v96
	v_mov_b32_e32 v73, 0
	v_mov_b64_e32 v[64:65], s[26:27]
	v_mov_b32_e32 v72, 0
	v_mov_b32_e32 v75, 0
	;; [unrolled: 1-line block ×3, first 2 shown]
	v_mov_b64_e32 v[66:67], s[26:27]
	v_mov_b64_e32 v[68:69], s[26:27]
	v_mov_b64_e32 v[70:71], s[26:27]
	v_mov_b64_e32 v[76:77], s[26:27]
	v_mov_b64_e32 v[78:79], s[26:27]
	s_and_saveexec_b64 s[28:29], vcc
	s_cbranch_execz .LBB267_16
; %bb.36:                               ;   in Loop: Header=BB267_18 Depth=2
	v_cmp_lt_u32_e32 vcc, s10, v96
                                        ; implicit-def: $vgpr64_vgpr65
	s_and_saveexec_b64 s[30:31], vcc
	s_xor_b64 s[30:31], exec, s[30:31]
	s_cbranch_execz .LBB267_38
; %bb.37:                               ;   in Loop: Header=BB267_18 Depth=2
	v_mov_b32_e32 v97, v87
	v_lshl_add_u64 v[64:65], v[96:97], 1, s[12:13]
	global_load_dwordx4 v[64:67], v[64:65], off
.LBB267_38:                             ;   in Loop: Header=BB267_18 Depth=2
	s_andn2_saveexec_b64 s[30:31], s[30:31]
	s_cbranch_execz .LBB267_40
; %bb.39:                               ;   in Loop: Header=BB267_18 Depth=2
	s_waitcnt vmcnt(0)
	ds_read_b128 v[64:67], v83 offset:1024
.LBB267_40:                             ;   in Loop: Header=BB267_18 Depth=2
	s_or_b64 exec, exec, s[30:31]
	v_add_u32_e32 v86, 0x200, v86
	v_cmp_lt_u32_e32 vcc, s10, v86
                                        ; implicit-def: $vgpr68_vgpr69
	s_and_saveexec_b64 s[30:31], vcc
	s_xor_b64 s[30:31], exec, s[30:31]
	s_cbranch_execz .LBB267_42
; %bb.41:                               ;   in Loop: Header=BB267_18 Depth=2
	v_lshl_add_u64 v[68:69], v[86:87], 1, s[12:13]
	global_load_dwordx4 v[68:71], v[68:69], off
.LBB267_42:                             ;   in Loop: Header=BB267_18 Depth=2
	s_andn2_saveexec_b64 s[30:31], s[30:31]
	s_cbranch_execz .LBB267_44
; %bb.43:                               ;   in Loop: Header=BB267_18 Depth=2
	s_waitcnt vmcnt(0)
	v_add_u32_e32 v68, s42, v83
	ds_read_b128 v[68:71], v68 offset:1024
.LBB267_44:                             ;   in Loop: Header=BB267_18 Depth=2
	s_or_b64 exec, exec, s[30:31]
	v_add_u32_e32 v86, 0x200, v100
	v_cmp_lt_u32_e32 vcc, s10, v86
                                        ; implicit-def: $vgpr76_vgpr77
	s_and_saveexec_b64 s[30:31], vcc
	s_xor_b64 s[30:31], exec, s[30:31]
	s_cbranch_execz .LBB267_46
; %bb.45:                               ;   in Loop: Header=BB267_18 Depth=2
	v_lshl_add_u64 v[72:73], v[86:87], 1, s[12:13]
	global_load_dwordx4 v[76:79], v[72:73], off
.LBB267_46:                             ;   in Loop: Header=BB267_18 Depth=2
	s_andn2_saveexec_b64 s[30:31], s[30:31]
	s_cbranch_execz .LBB267_48
; %bb.47:                               ;   in Loop: Header=BB267_18 Depth=2
	v_add_u32_e32 v72, s33, v83
	v_add_u32_e32 v73, 0x400, v72
	;; [unrolled: 1-line block ×3, first 2 shown]
	s_waitcnt vmcnt(0)
	ds_read2_b32 v[76:77], v73 offset1:1
	ds_read2_b32 v[78:79], v72 offset1:1
.LBB267_48:                             ;   in Loop: Header=BB267_18 Depth=2
	s_or_b64 exec, exec, s[30:31]
	v_add_u32_e32 v86, 0x200, v98
	v_cmp_lt_u32_e32 vcc, s10, v86
                                        ; implicit-def: $vgpr73
	s_and_saveexec_b64 s[30:31], vcc
	s_xor_b64 s[30:31], exec, s[30:31]
	s_cbranch_execz .LBB267_50
; %bb.49:                               ;   in Loop: Header=BB267_18 Depth=2
	v_lshl_add_u64 v[72:73], v[86:87], 1, s[12:13]
	global_load_dwordx4 v[72:75], v[72:73], off
.LBB267_50:                             ;   in Loop: Header=BB267_18 Depth=2
	s_andn2_saveexec_b64 s[30:31], s[30:31]
	s_cbranch_execz .LBB267_15
; %bb.51:                               ;   in Loop: Header=BB267_18 Depth=2
	s_waitcnt vmcnt(0)
	v_add_u32_e32 v72, s43, v83
	ds_read_b128 v[72:75], v72 offset:1024
	s_branch .LBB267_15
.LBB267_52:                             ;   in Loop: Header=BB267_13 Depth=1
	v_cvt_i32_f32_e32 v29, v29
	v_cvt_i32_f32_e32 v30, v30
	;; [unrolled: 1-line block ×4, first 2 shown]
	v_cvt_f32_i32_dpp v29, v29 row_shl:1 row_mask:0xf bank_mask:0xf bound_ctrl:1
	v_cvt_f32_i32_dpp v30, v30 row_shl:2 row_mask:0xf bank_mask:0xf bound_ctrl:1
	;; [unrolled: 1-line block ×3, first 2 shown]
	v_cvt_i32_f32_e32 v26, v26
	v_add_f32_e32 v28, v28, v29
	v_add_f32_e32 v28, v28, v30
	;; [unrolled: 1-line block ×3, first 2 shown]
	v_cvt_i32_f32_e32 v29, v28
	v_cvt_i32_f32_e32 v27, v27
	v_cvt_f32_i32_dpp v25, v25 row_shl:1 row_mask:0xf bank_mask:0xf bound_ctrl:1
	v_cvt_f32_i32_dpp v26, v26 row_shl:2 row_mask:0xf bank_mask:0xf bound_ctrl:1
	;; [unrolled: 1-line block ×4, first 2 shown]
	v_add_f32_e32 v24, v24, v25
	v_cvt_i32_f32_e32 v21, v21
	v_add_f32_e32 v28, v28, v29
	v_cvt_i32_f32_e32 v29, v28
	;; [unrolled: 2-line block ×3, first 2 shown]
	v_add_f32_e32 v24, v24, v27
	v_cvt_f32_i32_dpp v25, v29 row_shl:8 row_mask:0xf bank_mask:0xf bound_ctrl:1
	v_cvt_i32_f32_e32 v23, v23
	v_cvt_i32_f32_e32 v26, v24
	v_cvt_f32_i32_dpp v21, v21 row_shl:1 row_mask:0xf bank_mask:0xf bound_ctrl:1
	v_add_f32_e32 v25, v28, v25
	v_cvt_i32_f32_e32 v25, v25
	v_cvt_f32_i32_dpp v22, v22 row_shl:2 row_mask:0xf bank_mask:0xf bound_ctrl:1
	v_cvt_f32_i32_dpp v26, v26 row_shl:4 row_mask:0xf bank_mask:0xf bound_ctrl:1
	;; [unrolled: 1-line block ×3, first 2 shown]
	v_cvt_f32_i32_dpp v25, v25 row_shr:15 row_mask:0xf bank_mask:0xf bound_ctrl:1
	v_add_f32_e32 v20, v20, v21
	v_add_f32_e32 v20, v20, v22
	;; [unrolled: 1-line block ×4, first 2 shown]
	v_cvt_i32_f32_e32 v24, v21
	v_cvt_i32_f32_e32 v26, v25
	v_cvt_i32_f32_e32 v20, v22
	v_cvt_i32_f32_e32 v17, v17
	v_cvt_f32_i32_dpp v23, v24 row_shl:8 row_mask:0xf bank_mask:0xf bound_ctrl:1
	v_cvt_f32_i32_dpp v24, v26 row_bcast:15 row_mask:0xf bank_mask:0xf bound_ctrl:1
	v_cvt_f32_i32_dpp v26, v20 row_shl:4 row_mask:0xf bank_mask:0xf bound_ctrl:1
	v_cvt_i32_f32_e32 v18, v18
	v_add_f32_e32 v21, v21, v23
	v_cvt_i32_f32_e32 v19, v19
	v_add_f32_e32 v22, v22, v26
	v_cvt_i32_f32_e32 v23, v22
	v_cvt_f32_i32_dpp v17, v17 row_shl:1 row_mask:0xf bank_mask:0xf bound_ctrl:1
	v_cvt_f32_i32_dpp v18, v18 row_shl:2 row_mask:0xf bank_mask:0xf bound_ctrl:1
	;; [unrolled: 1-line block ×4, first 2 shown]
	v_add_f32_e32 v16, v16, v17
	v_add_f32_e32 v16, v16, v18
	;; [unrolled: 1-line block ×4, first 2 shown]
	v_cvt_i32_f32_e32 v21, v21
	v_cvt_i32_f32_e32 v17, v16
	;; [unrolled: 1-line block ×7, first 2 shown]
	v_add_f32_e32 v20, v25, v24
	v_cvt_i32_f32_e32 v15, v15
	v_cvt_f32_i32_dpp v18, v21 row_shr:15 row_mask:0xf bank_mask:0xf bound_ctrl:1
	v_cvt_f32_i32_dpp v17, v17 row_shl:4 row_mask:0xf bank_mask:0xf bound_ctrl:1
	v_cvt_i32_f32_e32 v21, v20
	v_cvt_f32_i32_dpp v19, v19 row_shr:15 row_mask:0xf bank_mask:0xf bound_ctrl:1
	v_cvt_f32_i32_dpp v1, v1 row_shl:1 row_mask:0xf bank_mask:0xf bound_ctrl:1
	v_cvt_f32_i32_dpp v13, v13 row_shl:1 row_mask:0xf bank_mask:0xf bound_ctrl:1
	v_cvt_i32_f32_e32 v9, v9
	v_cvt_f32_i32_dpp v2, v2 row_shl:2 row_mask:0xf bank_mask:0xf bound_ctrl:1
	v_cvt_i32_f32_e32 v3, v3
	;; [unrolled: 2-line block ×4, first 2 shown]
	v_add_f32_e32 v23, v16, v17
	v_mov_b32_dpp v17, v21 row_bcast:31 row_mask:0xf bank_mask:0xf bound_ctrl:1
	v_cvt_i32_f32_e32 v21, v19
	v_add_f32_e32 v0, v0, v1
	v_add_f32_e32 v12, v12, v13
	v_cvt_f32_i32_dpp v9, v9 row_shl:1 row_mask:0xf bank_mask:0xf bound_ctrl:1
	v_add_f32_e32 v0, v0, v2
	v_cvt_f32_i32_dpp v1, v3 row_shl:3 row_mask:0xf bank_mask:0xf bound_ctrl:1
	v_cvt_i32_f32_e32 v2, v5
	v_add_f32_e32 v12, v12, v14
	v_cvt_f32_i32_dpp v10, v10 row_shl:2 row_mask:0xf bank_mask:0xf bound_ctrl:1
	v_cvt_i32_f32_e32 v3, v6
	;; [unrolled: 3-line block ×3, first 2 shown]
	v_cvt_f32_i32_dpp v21, v21 row_bcast:15 row_mask:0xf bank_mask:0xf bound_ctrl:1
	v_cvt_i32_f32_e32 v12, v14
	v_add_f32_e32 v8, v8, v9
	v_add_f32_e32 v0, v0, v1
	v_cvt_f32_i32_dpp v1, v2 row_shl:1 row_mask:0xf bank_mask:0xf bound_ctrl:1
	v_add_f32_e32 v8, v8, v10
	v_cvt_f32_i32_dpp v2, v3 row_shl:2 row_mask:0xf bank_mask:0xf bound_ctrl:1
	;; [unrolled: 2-line block ×4, first 2 shown]
	v_cvt_i32_f32_e32 v10, v9
	v_add_f32_e32 v1, v4, v1
	v_add_f32_e32 v1, v1, v2
	;; [unrolled: 1-line block ×4, first 2 shown]
	v_cvt_f32_i32_dpp v10, v10 row_shl:4 row_mask:0xf bank_mask:0xf bound_ctrl:1
	v_cvt_i32_f32_e32 v5, v0
	v_cvt_i32_f32_e32 v2, v1
	;; [unrolled: 1-line block ×3, first 2 shown]
	v_add_f32_e32 v9, v9, v10
	v_cvt_f32_i32_dpp v4, v5 row_shl:4 row_mask:0xf bank_mask:0xf bound_ctrl:1
	v_cvt_f32_i32_dpp v2, v2 row_shl:4 row_mask:0xf bank_mask:0xf bound_ctrl:1
	;; [unrolled: 1-line block ×3, first 2 shown]
	v_cvt_i32_f32_e32 v10, v9
	v_add_f32_e32 v0, v0, v4
	v_add_f32_e32 v1, v1, v2
	v_cvt_i32_f32_e32 v22, v18
	v_cvt_i32_f32_e32 v16, v23
	v_add_f32_e32 v14, v14, v19
	v_cvt_f32_i32_dpp v3, v10 row_shl:8 row_mask:0xf bank_mask:0xf bound_ctrl:1
	v_cvt_i32_f32_e32 v4, v0
	v_cvt_i32_f32_e32 v2, v1
	;; [unrolled: 1-line block ×3, first 2 shown]
	v_cvt_f32_i32_dpp v22, v22 row_bcast:15 row_mask:0xf bank_mask:0xf bound_ctrl:1
	v_cvt_f32_i32_dpp v24, v16 row_shl:8 row_mask:0xf bank_mask:0xf bound_ctrl:1
	v_add_f32_e32 v3, v9, v3
	v_cvt_f32_i32_dpp v4, v4 row_shl:8 row_mask:0xf bank_mask:0xf bound_ctrl:1
	v_cvt_f32_i32_dpp v2, v2 row_shl:8 row_mask:0xf bank_mask:0xf bound_ctrl:1
	v_cvt_f32_i32_dpp v5, v14 row_shr:15 row_mask:0xf bank_mask:0xf bound_ctrl:1
	v_cvt_i32_f32_e32 v3, v3
	v_add_f32_e32 v16, v18, v22
	v_add_f32_e32 v22, v23, v24
	;; [unrolled: 1-line block ×4, first 2 shown]
	v_cvt_i32_f32_e32 v22, v22
	v_cvt_i32_f32_e32 v6, v5
	v_cvt_f32_i32_dpp v3, v3 row_shr:15 row_mask:0xf bank_mask:0xf bound_ctrl:1
	v_cvt_i32_f32_e32 v0, v0
	v_cvt_i32_f32_e32 v1, v1
	v_cvt_f32_i32_dpp v22, v22 row_shr:15 row_mask:0xf bank_mask:0xf bound_ctrl:1
	v_cvt_f32_i32_dpp v2, v6 row_bcast:15 row_mask:0xf bank_mask:0xf bound_ctrl:1
	v_cvt_f32_i32_dpp v0, v0 row_shr:15 row_mask:0xf bank_mask:0xf bound_ctrl:1
	v_cvt_i32_f32_e32 v4, v3
	v_cvt_f32_i32_dpp v1, v1 row_shr:15 row_mask:0xf bank_mask:0xf bound_ctrl:1
	v_cvt_i32_f32_e32 v18, v16
	v_cvt_i32_f32_e32 v23, v22
	v_add_f32_e32 v9, v5, v2
	v_cvt_i32_f32_e32 v2, v0
	v_cvt_f32_i32_dpp v4, v4 row_bcast:15 row_mask:0xf bank_mask:0xf bound_ctrl:1
	v_cvt_i32_f32_e32 v6, v1
	v_mov_b32_dpp v15, v18 row_bcast:31 row_mask:0xf bank_mask:0xf bound_ctrl:1
	v_cvt_f32_i32_dpp v18, v23 row_bcast:15 row_mask:0xf bank_mask:0xf bound_ctrl:1
	v_cvt_f32_i32_dpp v2, v2 row_bcast:15 row_mask:0xf bank_mask:0xf bound_ctrl:1
	v_add_f32_e32 v5, v3, v4
	v_cvt_f32_i32_dpp v3, v6 row_bcast:15 row_mask:0xf bank_mask:0xf bound_ctrl:1
	v_add_f32_e32 v12, v22, v18
	v_add_f32_e32 v2, v0, v2
	v_cvt_i32_f32_e32 v21, v13
	v_add_f32_e32 v0, v1, v3
	v_cvt_i32_f32_e32 v18, v12
	v_cvt_i32_f32_e32 v7, v9
	;; [unrolled: 1-line block ×5, first 2 shown]
	v_mov_b32_dpp v11, v21 row_bcast:31 row_mask:0xf bank_mask:0xf bound_ctrl:1
	v_mov_b32_dpp v8, v18 row_bcast:31 row_mask:0xf bank_mask:0xf bound_ctrl:1
	;; [unrolled: 1-line block ×6, first 2 shown]
	s_and_saveexec_b64 s[28:29], s[0:1]
	s_cbranch_execz .LBB267_103
; %bb.53:                               ;   in Loop: Header=BB267_13 Depth=1
	s_andn2_b64 vcc, exec, s[24:25]
	v_mov_b32_e32 v23, 0
	v_mov_b32_e32 v22, 0
	v_mov_b32_e32 v21, 0
	v_mov_b32_e32 v19, 0
	v_mov_b32_e32 v18, 0
	v_mov_b32_e32 v14, 0
	v_mov_b32_e32 v7, 0
	v_mov_b32_e32 v4, 0
	s_cbranch_vccnz .LBB267_55
; %bb.54:                               ;   in Loop: Header=BB267_13 Depth=1
	v_mul_hi_u32 v4, v82, v85
	v_mul_lo_u32 v4, v4, s16
	v_sub_u32_e32 v4, v82, v4
	v_subrev_u32_e32 v7, s16, v4
	v_cmp_le_u32_e32 vcc, s16, v4
	v_mov_b32_e32 v23, v87
	v_mov_b32_e32 v19, v87
	v_cndmask_b32_e32 v4, v4, v7, vcc
	v_subrev_u32_e32 v7, s16, v4
	v_cmp_le_u32_e32 vcc, s16, v4
	s_nop 1
	v_cndmask_b32_e32 v86, v4, v7, vcc
	v_mul_hi_u32 v4, v90, v85
	v_mul_lo_u32 v4, v4, s16
	v_sub_u32_e32 v4, v90, v4
	v_subrev_u32_e32 v7, s16, v4
	v_cmp_le_u32_e32 vcc, s16, v4
	v_add_u32_e32 v22, s39, v86
	v_lshl_add_u64 v[28:29], v[22:23], 1, s[14:15]
	v_cndmask_b32_e32 v4, v4, v7, vcc
	v_subrev_u32_e32 v7, s16, v4
	v_cmp_le_u32_e32 vcc, s16, v4
	v_lshl_add_u64 v[24:25], v[86:87], 1, s[14:15]
	s_nop 0
	v_cndmask_b32_e32 v18, v4, v7, vcc
	v_add_u32_e32 v22, s39, v18
	v_lshl_add_u64 v[30:31], v[22:23], 1, s[14:15]
	v_add_u32_e32 v22, s40, v86
	v_add_u32_e32 v86, s41, v86
	v_lshl_add_u64 v[32:33], v[22:23], 1, s[14:15]
	v_add_u32_e32 v22, s40, v18
	v_lshl_add_u64 v[36:37], v[86:87], 1, s[14:15]
	;; [unrolled: 2-line block ×3, first 2 shown]
	v_lshl_add_u64 v[34:35], v[22:23], 1, s[14:15]
	v_lshl_add_u64 v[38:39], v[86:87], 1, s[14:15]
	global_load_ushort v23, v[24:25], off
	global_load_ushort v22, v[26:27], off
	;; [unrolled: 1-line block ×8, first 2 shown]
.LBB267_55:                             ;   in Loop: Header=BB267_13 Depth=1
	v_cmp_ne_u32_e32 vcc, 0, v80
	s_and_saveexec_b64 s[6:7], vcc
	s_cbranch_execnz .LBB267_63
; %bb.56:                               ;   in Loop: Header=BB267_13 Depth=1
	s_or_b64 exec, exec, s[6:7]
	v_cmp_ne_u32_e64 s[4:5], 0, v81
	s_and_saveexec_b64 s[30:31], s[4:5]
	s_cbranch_execnz .LBB267_68
.LBB267_57:                             ;   in Loop: Header=BB267_13 Depth=1
	s_or_b64 exec, exec, s[30:31]
	v_add_u32_e32 v86, s11, v82
	s_and_saveexec_b64 s[30:31], vcc
	s_cbranch_execnz .LBB267_73
.LBB267_58:                             ;   in Loop: Header=BB267_13 Depth=1
	s_or_b64 exec, exec, s[30:31]
	s_and_saveexec_b64 s[30:31], s[4:5]
	s_cbranch_execnz .LBB267_78
.LBB267_59:                             ;   in Loop: Header=BB267_13 Depth=1
	s_or_b64 exec, exec, s[30:31]
	v_add_u32_e32 v86, s11, v86
	s_and_saveexec_b64 s[30:31], vcc
	s_cbranch_execnz .LBB267_83
.LBB267_60:                             ;   in Loop: Header=BB267_13 Depth=1
	s_or_b64 exec, exec, s[30:31]
	s_and_saveexec_b64 s[30:31], s[4:5]
	s_cbranch_execnz .LBB267_88
.LBB267_61:                             ;   in Loop: Header=BB267_13 Depth=1
	s_or_b64 exec, exec, s[30:31]
	v_add_u32_e32 v86, s11, v86
	s_and_saveexec_b64 s[6:7], vcc
	s_cbranch_execnz .LBB267_93
.LBB267_62:                             ;   in Loop: Header=BB267_13 Depth=1
	s_or_b64 exec, exec, s[6:7]
	s_and_b64 exec, exec, s[4:5]
	s_cbranch_execnz .LBB267_98
	s_branch .LBB267_103
.LBB267_63:                             ;   in Loop: Header=BB267_13 Depth=1
	v_cvt_f32_i32_e32 v17, v17
	v_add_f32_e32 v17, v20, v17
	s_waitcnt vmcnt(7)
	v_lshlrev_b32_e32 v20, 16, v23
	v_add_f32_e32 v20, v17, v20
	v_and_b32_e32 v17, 0x7f800000, v20
	v_cmp_ne_u32_e64 s[4:5], s44, v17
                                        ; implicit-def: $vgpr17
	s_and_saveexec_b64 s[30:31], s[4:5]
	s_xor_b64 s[4:5], exec, s[30:31]
; %bb.64:                               ;   in Loop: Header=BB267_13 Depth=1
	v_bfe_u32 v17, v20, 16, 1
	v_add3_u32 v17, v20, v17, s10
                                        ; implicit-def: $vgpr20
; %bb.65:                               ;   in Loop: Header=BB267_13 Depth=1
	s_andn2_saveexec_b64 s[30:31], s[4:5]
; %bb.66:                               ;   in Loop: Header=BB267_13 Depth=1
	v_or_b32_e32 v17, 0x10000, v20
	v_cmp_eq_u32_sdwa s[4:5], v20, v87 src0_sel:WORD_0 src1_sel:DWORD
	s_nop 1
	v_cndmask_b32_e64 v17, v17, v20, s[4:5]
; %bb.67:                               ;   in Loop: Header=BB267_13 Depth=1
	s_or_b64 exec, exec, s[30:31]
	v_mov_b32_e32 v83, v87
	s_waitcnt lgkmcnt(0)
	v_lshl_add_u64 v[24:25], v[82:83], 1, s[20:21]
	global_store_short_d16_hi v[24:25], v17, off
	s_or_b64 exec, exec, s[6:7]
	v_cmp_ne_u32_e64 s[4:5], 0, v81
	s_and_saveexec_b64 s[30:31], s[4:5]
	s_cbranch_execz .LBB267_57
.LBB267_68:                             ;   in Loop: Header=BB267_13 Depth=1
	v_cvt_f32_i32_e32 v15, v15
	v_add_f32_e32 v15, v16, v15
	s_waitcnt vmcnt(6)
	v_lshlrev_b32_e32 v16, 16, v22
	v_add_f32_e32 v16, v15, v16
	v_and_b32_e32 v15, 0x7f800000, v16
	v_cmp_ne_u32_e64 s[6:7], s44, v15
                                        ; implicit-def: $vgpr15
	s_and_saveexec_b64 s[34:35], s[6:7]
	s_xor_b64 s[6:7], exec, s[34:35]
; %bb.69:                               ;   in Loop: Header=BB267_13 Depth=1
	v_bfe_u32 v15, v16, 16, 1
	v_add3_u32 v15, v16, v15, s10
                                        ; implicit-def: $vgpr16
; %bb.70:                               ;   in Loop: Header=BB267_13 Depth=1
	s_andn2_saveexec_b64 s[34:35], s[6:7]
; %bb.71:                               ;   in Loop: Header=BB267_13 Depth=1
	v_or_b32_e32 v15, 0x10000, v16
	v_cmp_eq_u32_sdwa s[6:7], v16, v87 src0_sel:WORD_0 src1_sel:DWORD
	s_nop 1
	v_cndmask_b32_e64 v15, v15, v16, s[6:7]
; %bb.72:                               ;   in Loop: Header=BB267_13 Depth=1
	s_or_b64 exec, exec, s[34:35]
	v_mov_b32_e32 v91, v87
	s_waitcnt lgkmcnt(0)
	v_lshl_add_u64 v[16:17], v[90:91], 1, s[20:21]
	global_store_short_d16_hi v[16:17], v15, off
	s_or_b64 exec, exec, s[30:31]
	v_add_u32_e32 v86, s11, v82
	s_and_saveexec_b64 s[30:31], vcc
	s_cbranch_execz .LBB267_58
.LBB267_73:                             ;   in Loop: Header=BB267_13 Depth=1
	v_cvt_f32_i32_e32 v11, v11
	v_add_f32_e32 v11, v13, v11
	s_waitcnt vmcnt(5)
	v_lshlrev_b32_e32 v13, 16, v21
	v_add_f32_e32 v13, v11, v13
	v_and_b32_e32 v11, 0x7f800000, v13
	v_cmp_ne_u32_e64 s[6:7], s44, v11
                                        ; implicit-def: $vgpr11
	s_and_saveexec_b64 s[34:35], s[6:7]
	s_xor_b64 s[6:7], exec, s[34:35]
; %bb.74:                               ;   in Loop: Header=BB267_13 Depth=1
	v_bfe_u32 v11, v13, 16, 1
	v_add3_u32 v11, v13, v11, s10
                                        ; implicit-def: $vgpr13
; %bb.75:                               ;   in Loop: Header=BB267_13 Depth=1
	s_andn2_saveexec_b64 s[34:35], s[6:7]
; %bb.76:                               ;   in Loop: Header=BB267_13 Depth=1
	v_or_b32_e32 v11, 0x10000, v13
	v_cmp_eq_u32_sdwa s[6:7], v13, v87 src0_sel:WORD_0 src1_sel:DWORD
	s_nop 1
	v_cndmask_b32_e64 v11, v11, v13, s[6:7]
; %bb.77:                               ;   in Loop: Header=BB267_13 Depth=1
	s_or_b64 exec, exec, s[34:35]
	s_waitcnt lgkmcnt(0)
	v_lshl_add_u64 v[16:17], v[86:87], 1, s[20:21]
	global_store_short_d16_hi v[16:17], v11, off
	s_or_b64 exec, exec, s[30:31]
	s_and_saveexec_b64 s[30:31], s[4:5]
	s_cbranch_execz .LBB267_59
.LBB267_78:                             ;   in Loop: Header=BB267_13 Depth=1
	v_cvt_f32_i32_e32 v8, v8
	s_waitcnt vmcnt(4)
	v_lshlrev_b32_e32 v11, 16, v19
	v_add_f32_e32 v8, v12, v8
	v_add_f32_e32 v11, v8, v11
	v_and_b32_e32 v8, 0x7f800000, v11
	v_cmp_ne_u32_e64 s[6:7], s44, v8
                                        ; implicit-def: $vgpr8
	s_and_saveexec_b64 s[34:35], s[6:7]
	s_xor_b64 s[6:7], exec, s[34:35]
; %bb.79:                               ;   in Loop: Header=BB267_13 Depth=1
	v_bfe_u32 v8, v11, 16, 1
	v_add3_u32 v8, v11, v8, s10
                                        ; implicit-def: $vgpr11
; %bb.80:                               ;   in Loop: Header=BB267_13 Depth=1
	s_andn2_saveexec_b64 s[34:35], s[6:7]
; %bb.81:                               ;   in Loop: Header=BB267_13 Depth=1
	v_or_b32_e32 v8, 0x10000, v11
	v_cmp_eq_u32_sdwa s[6:7], v11, v87 src0_sel:WORD_0 src1_sel:DWORD
	s_nop 1
	v_cndmask_b32_e64 v8, v8, v11, s[6:7]
; %bb.82:                               ;   in Loop: Header=BB267_13 Depth=1
	s_or_b64 exec, exec, s[34:35]
	v_add_u32_e32 v12, 1, v86
	v_mov_b32_e32 v13, v87
	s_waitcnt lgkmcnt(0)
	v_lshl_add_u64 v[12:13], v[12:13], 1, s[20:21]
	global_store_short_d16_hi v[12:13], v8, off
	s_or_b64 exec, exec, s[30:31]
	v_add_u32_e32 v86, s11, v86
	s_and_saveexec_b64 s[30:31], vcc
	s_cbranch_execz .LBB267_60
.LBB267_83:                             ;   in Loop: Header=BB267_13 Depth=1
	v_cvt_f32_i32_e32 v8, v10
	v_add_f32_e32 v8, v9, v8
	s_waitcnt vmcnt(3)
	v_lshlrev_b32_e32 v9, 16, v18
	v_add_f32_e32 v9, v8, v9
	v_and_b32_e32 v8, 0x7f800000, v9
	v_cmp_ne_u32_e64 s[6:7], s44, v8
                                        ; implicit-def: $vgpr8
	s_and_saveexec_b64 s[34:35], s[6:7]
	s_xor_b64 s[6:7], exec, s[34:35]
; %bb.84:                               ;   in Loop: Header=BB267_13 Depth=1
	v_bfe_u32 v8, v9, 16, 1
	v_add3_u32 v8, v9, v8, s10
                                        ; implicit-def: $vgpr9
; %bb.85:                               ;   in Loop: Header=BB267_13 Depth=1
	s_andn2_saveexec_b64 s[34:35], s[6:7]
; %bb.86:                               ;   in Loop: Header=BB267_13 Depth=1
	v_or_b32_e32 v8, 0x10000, v9
	v_cmp_eq_u32_sdwa s[6:7], v9, v87 src0_sel:WORD_0 src1_sel:DWORD
	s_nop 1
	v_cndmask_b32_e64 v8, v8, v9, s[6:7]
; %bb.87:                               ;   in Loop: Header=BB267_13 Depth=1
	s_or_b64 exec, exec, s[34:35]
	s_waitcnt lgkmcnt(0)
	v_lshl_add_u64 v[10:11], v[86:87], 1, s[20:21]
	global_store_short_d16_hi v[10:11], v8, off
	s_or_b64 exec, exec, s[30:31]
	s_and_saveexec_b64 s[30:31], s[4:5]
	s_cbranch_execz .LBB267_61
.LBB267_88:                             ;   in Loop: Header=BB267_13 Depth=1
	v_cvt_f32_i32_e32 v6, v6
	v_add_f32_e32 v5, v5, v6
	s_waitcnt vmcnt(2)
	v_lshlrev_b32_e32 v6, 16, v14
	v_add_f32_e32 v6, v5, v6
	v_and_b32_e32 v5, 0x7f800000, v6
	v_cmp_ne_u32_e64 s[6:7], s44, v5
                                        ; implicit-def: $vgpr5
	s_and_saveexec_b64 s[34:35], s[6:7]
	s_xor_b64 s[6:7], exec, s[34:35]
; %bb.89:                               ;   in Loop: Header=BB267_13 Depth=1
	v_bfe_u32 v5, v6, 16, 1
	v_add3_u32 v5, v6, v5, s10
                                        ; implicit-def: $vgpr6
; %bb.90:                               ;   in Loop: Header=BB267_13 Depth=1
	s_andn2_saveexec_b64 s[34:35], s[6:7]
; %bb.91:                               ;   in Loop: Header=BB267_13 Depth=1
	v_or_b32_e32 v5, 0x10000, v6
	v_cmp_eq_u32_sdwa s[6:7], v6, v87 src0_sel:WORD_0 src1_sel:DWORD
	s_nop 1
	v_cndmask_b32_e64 v5, v5, v6, s[6:7]
; %bb.92:                               ;   in Loop: Header=BB267_13 Depth=1
	s_or_b64 exec, exec, s[34:35]
	v_add_u32_e32 v8, 1, v86
	v_mov_b32_e32 v9, v87
	s_waitcnt lgkmcnt(0)
	v_lshl_add_u64 v[8:9], v[8:9], 1, s[20:21]
	global_store_short_d16_hi v[8:9], v5, off
	s_or_b64 exec, exec, s[30:31]
	v_add_u32_e32 v86, s11, v86
	s_and_saveexec_b64 s[6:7], vcc
	s_cbranch_execz .LBB267_62
.LBB267_93:                             ;   in Loop: Header=BB267_13 Depth=1
	v_cvt_f32_i32_e32 v3, v3
	v_add_f32_e32 v2, v2, v3
	s_waitcnt vmcnt(1)
	v_lshlrev_b32_e32 v3, 16, v7
	v_add_f32_e32 v3, v2, v3
	v_and_b32_e32 v2, 0x7f800000, v3
	v_cmp_ne_u32_e32 vcc, s44, v2
                                        ; implicit-def: $vgpr2
	s_and_saveexec_b64 s[30:31], vcc
	s_xor_b64 s[30:31], exec, s[30:31]
; %bb.94:                               ;   in Loop: Header=BB267_13 Depth=1
	v_bfe_u32 v2, v3, 16, 1
	v_add3_u32 v2, v3, v2, s10
                                        ; implicit-def: $vgpr3
; %bb.95:                               ;   in Loop: Header=BB267_13 Depth=1
	s_andn2_saveexec_b64 s[30:31], s[30:31]
; %bb.96:                               ;   in Loop: Header=BB267_13 Depth=1
	v_or_b32_e32 v2, 0x10000, v3
	v_cmp_eq_u32_sdwa vcc, v3, v87 src0_sel:WORD_0 src1_sel:DWORD
	s_nop 1
	v_cndmask_b32_e32 v2, v2, v3, vcc
; %bb.97:                               ;   in Loop: Header=BB267_13 Depth=1
	s_or_b64 exec, exec, s[30:31]
	s_waitcnt lgkmcnt(0)
	v_lshl_add_u64 v[6:7], v[86:87], 1, s[20:21]
	global_store_short_d16_hi v[6:7], v2, off
	s_or_b64 exec, exec, s[6:7]
	s_and_b64 exec, exec, s[4:5]
	s_cbranch_execz .LBB267_103
.LBB267_98:                             ;   in Loop: Header=BB267_13 Depth=1
	v_cvt_f32_i32_e32 v1, v1
	v_add_f32_e32 v0, v0, v1
	s_waitcnt vmcnt(0)
	v_lshlrev_b32_e32 v1, 16, v4
	v_add_f32_e32 v1, v0, v1
	v_and_b32_e32 v0, 0x7f800000, v1
	v_cmp_ne_u32_e32 vcc, s44, v0
                                        ; implicit-def: $vgpr0
	s_and_saveexec_b64 s[4:5], vcc
	s_xor_b64 s[4:5], exec, s[4:5]
; %bb.99:                               ;   in Loop: Header=BB267_13 Depth=1
	v_bfe_u32 v0, v1, 16, 1
	v_add3_u32 v0, v1, v0, s10
                                        ; implicit-def: $vgpr1
; %bb.100:                              ;   in Loop: Header=BB267_13 Depth=1
	s_andn2_saveexec_b64 s[4:5], s[4:5]
; %bb.101:                              ;   in Loop: Header=BB267_13 Depth=1
	v_or_b32_e32 v0, 0x10000, v1
	v_cmp_eq_u32_sdwa vcc, v1, v87 src0_sel:WORD_0 src1_sel:DWORD
	s_nop 1
	v_cndmask_b32_e32 v0, v0, v1, vcc
; %bb.102:                              ;   in Loop: Header=BB267_13 Depth=1
	s_or_b64 exec, exec, s[4:5]
	v_add_u32_e32 v86, 1, v86
	s_waitcnt lgkmcnt(0)
	v_lshl_add_u64 v[2:3], v[86:87], 1, s[20:21]
	global_store_short_d16_hi v[2:3], v0, off
.LBB267_103:                            ;   in Loop: Header=BB267_13 Depth=1
	s_or_b64 exec, exec, s[28:29]
	v_add_u32_e32 v82, s38, v82
	v_add_u32_e32 v0, 2, v82
	v_cmp_gt_u32_e32 vcc, s11, v82
	v_cmp_le_u32_e64 s[4:5], s11, v0
	s_and_b64 s[4:5], vcc, s[4:5]
	s_and_saveexec_b64 s[6:7], s[4:5]
	s_cbranch_execz .LBB267_12
; %bb.104:                              ;   in Loop: Header=BB267_13 Depth=1
	v_cmp_ne_u32_e32 vcc, s17, v82
	s_and_saveexec_b64 s[28:29], vcc
	s_cbranch_execz .LBB267_11
; %bb.105:                              ;   in Loop: Header=BB267_13 Depth=1
	v_subrev_u32_e32 v0, s17, v82
	v_cmp_lt_u32_e32 vcc, 1, v0
	s_mov_b64 s[30:31], 0
	s_mov_b64 s[34:35], 0
	v_cndmask_b32_e32 v0, 1, v0, vcc
.LBB267_106:                            ;   Parent Loop BB267_13 Depth=1
                                        ; =>  This Inner Loop Header: Depth=2
	s_cmp_lg_u32 s34, 1
	s_cselect_b64 vcc, -1, 0
	s_cmp_lg_u32 s34, 0
	v_cndmask_b32_e32 v81, 0, v81, vcc
	s_cselect_b64 vcc, -1, 0
	s_add_u32 s34, s34, 1
	s_addc_u32 s35, s35, 0
	v_cmp_eq_u32_e64 s[4:5], s34, v0
	s_or_b64 s[30:31], s[4:5], s[30:31]
	v_cndmask_b32_e32 v80, 0, v80, vcc
	s_andn2_b64 exec, exec, s[30:31]
	s_cbranch_execnz .LBB267_106
; %bb.107:                              ;   in Loop: Header=BB267_13 Depth=1
	s_or_b64 exec, exec, s[30:31]
	s_branch .LBB267_11
.LBB267_108:
	s_endpgm
	.section	.rodata,"a",@progbits
	.p2align	6, 0x0
	.amdhsa_kernel _Z12wvSplitK_hf_I14__hip_bfloat16Li64ELi2ELi16ELi8ELi2ELi4EEviiiiiiPKT_S3_S3_PS1_ii
		.amdhsa_group_segment_fixed_size 65536
		.amdhsa_private_segment_fixed_size 0
		.amdhsa_kernarg_size 64
		.amdhsa_user_sgpr_count 2
		.amdhsa_user_sgpr_dispatch_ptr 0
		.amdhsa_user_sgpr_queue_ptr 0
		.amdhsa_user_sgpr_kernarg_segment_ptr 1
		.amdhsa_user_sgpr_dispatch_id 0
		.amdhsa_user_sgpr_kernarg_preload_length 0
		.amdhsa_user_sgpr_kernarg_preload_offset 0
		.amdhsa_user_sgpr_private_segment_size 0
		.amdhsa_uses_dynamic_stack 0
		.amdhsa_enable_private_segment 0
		.amdhsa_system_sgpr_workgroup_id_x 1
		.amdhsa_system_sgpr_workgroup_id_y 0
		.amdhsa_system_sgpr_workgroup_id_z 0
		.amdhsa_system_sgpr_workgroup_info 0
		.amdhsa_system_vgpr_workitem_id 1
		.amdhsa_next_free_vgpr 104
		.amdhsa_next_free_sgpr 45
		.amdhsa_accum_offset 104
		.amdhsa_reserve_vcc 1
		.amdhsa_float_round_mode_32 0
		.amdhsa_float_round_mode_16_64 0
		.amdhsa_float_denorm_mode_32 3
		.amdhsa_float_denorm_mode_16_64 3
		.amdhsa_dx10_clamp 1
		.amdhsa_ieee_mode 1
		.amdhsa_fp16_overflow 0
		.amdhsa_tg_split 0
		.amdhsa_exception_fp_ieee_invalid_op 0
		.amdhsa_exception_fp_denorm_src 0
		.amdhsa_exception_fp_ieee_div_zero 0
		.amdhsa_exception_fp_ieee_overflow 0
		.amdhsa_exception_fp_ieee_underflow 0
		.amdhsa_exception_fp_ieee_inexact 0
		.amdhsa_exception_int_div_zero 0
	.end_amdhsa_kernel
	.section	.text._Z12wvSplitK_hf_I14__hip_bfloat16Li64ELi2ELi16ELi8ELi2ELi4EEviiiiiiPKT_S3_S3_PS1_ii,"axG",@progbits,_Z12wvSplitK_hf_I14__hip_bfloat16Li64ELi2ELi16ELi8ELi2ELi4EEviiiiiiPKT_S3_S3_PS1_ii,comdat
.Lfunc_end267:
	.size	_Z12wvSplitK_hf_I14__hip_bfloat16Li64ELi2ELi16ELi8ELi2ELi4EEviiiiiiPKT_S3_S3_PS1_ii, .Lfunc_end267-_Z12wvSplitK_hf_I14__hip_bfloat16Li64ELi2ELi16ELi8ELi2ELi4EEviiiiiiPKT_S3_S3_PS1_ii
                                        ; -- End function
	.section	.AMDGPU.csdata,"",@progbits
; Kernel info:
; codeLenInByte = 4748
; NumSgprs: 51
; NumVgprs: 104
; NumAgprs: 0
; TotalNumVgprs: 104
; ScratchSize: 0
; MemoryBound: 1
; FloatMode: 240
; IeeeMode: 1
; LDSByteSize: 65536 bytes/workgroup (compile time only)
; SGPRBlocks: 6
; VGPRBlocks: 12
; NumSGPRsForWavesPerEU: 51
; NumVGPRsForWavesPerEU: 104
; AccumOffset: 104
; Occupancy: 4
; WaveLimiterHint : 0
; COMPUTE_PGM_RSRC2:SCRATCH_EN: 0
; COMPUTE_PGM_RSRC2:USER_SGPR: 2
; COMPUTE_PGM_RSRC2:TRAP_HANDLER: 0
; COMPUTE_PGM_RSRC2:TGID_X_EN: 1
; COMPUTE_PGM_RSRC2:TGID_Y_EN: 0
; COMPUTE_PGM_RSRC2:TGID_Z_EN: 0
; COMPUTE_PGM_RSRC2:TIDIG_COMP_CNT: 1
; COMPUTE_PGM_RSRC3_GFX90A:ACCUM_OFFSET: 25
; COMPUTE_PGM_RSRC3_GFX90A:TG_SPLIT: 0
	.section	.text._Z16wvSplitK_hf_big_I14__hip_bfloat16Li64ELi2ELi16ELi8ELi2ELi4EEviiiiiiPKT_S3_S3_PS1_ii,"axG",@progbits,_Z16wvSplitK_hf_big_I14__hip_bfloat16Li64ELi2ELi16ELi8ELi2ELi4EEviiiiiiPKT_S3_S3_PS1_ii,comdat
	.protected	_Z16wvSplitK_hf_big_I14__hip_bfloat16Li64ELi2ELi16ELi8ELi2ELi4EEviiiiiiPKT_S3_S3_PS1_ii ; -- Begin function _Z16wvSplitK_hf_big_I14__hip_bfloat16Li64ELi2ELi16ELi8ELi2ELi4EEviiiiiiPKT_S3_S3_PS1_ii
	.globl	_Z16wvSplitK_hf_big_I14__hip_bfloat16Li64ELi2ELi16ELi8ELi2ELi4EEviiiiiiPKT_S3_S3_PS1_ii
	.p2align	8
	.type	_Z16wvSplitK_hf_big_I14__hip_bfloat16Li64ELi2ELi16ELi8ELi2ELi4EEviiiiiiPKT_S3_S3_PS1_ii,@function
_Z16wvSplitK_hf_big_I14__hip_bfloat16Li64ELi2ELi16ELi8ELi2ELi4EEviiiiiiPKT_S3_S3_PS1_ii: ; @_Z16wvSplitK_hf_big_I14__hip_bfloat16Li64ELi2ELi16ELi8ELi2ELi4EEviiiiiiPKT_S3_S3_PS1_ii
; %bb.0:
	s_load_dwordx2 s[4:5], s[0:1], 0x38
	v_bfe_u32 v1, v0, 10, 10
	s_waitcnt lgkmcnt(0)
	v_cmp_gt_u32_e32 vcc, s4, v1
	s_and_saveexec_b64 s[6:7], vcc
	s_cbranch_execz .LBB268_88
; %bb.1:
	s_load_dwordx4 s[20:23], s[0:1], 0x0
	s_mul_i32 s2, s2, s4
	v_add_lshl_u32 v82, s2, v1, 1
	s_mov_b32 s6, 1
	v_add_u32_e32 v2, 2, v82
	s_waitcnt lgkmcnt(0)
	v_cmp_gt_u32_e32 vcc, s23, v82
	v_cmp_le_u32_e64 s[2:3], s23, v2
	s_mov_b32 s7, s6
	s_and_b64 s[8:9], vcc, s[2:3]
	v_mov_b64_e32 v[80:81], s[6:7]
	s_and_saveexec_b64 s[2:3], s[8:9]
	s_cbranch_execz .LBB268_7
; %bb.2:
	s_add_i32 s14, s23, -2
	v_cmp_ne_u32_e32 vcc, s14, v82
	v_mov_b64_e32 v[80:81], s[6:7]
	s_and_saveexec_b64 s[6:7], vcc
	s_cbranch_execz .LBB268_6
; %bb.3:
	v_subrev_u32_e32 v2, s14, v82
	s_mov_b32 s8, 1
	v_cmp_lt_u32_e32 vcc, 1, v2
	s_mov_b64 s[10:11], 0
	s_mov_b64 s[12:13], 0
	v_cndmask_b32_e32 v2, 1, v2, vcc
	s_mov_b32 s9, s8
.LBB268_4:                              ; =>This Inner Loop Header: Depth=1
	s_cmp_lg_u32 s12, 1
	s_cselect_b32 s9, s9, 0
	s_cmp_lg_u32 s12, 0
	s_cselect_b32 s8, s8, 0
	s_add_u32 s12, s12, 1
	s_addc_u32 s13, s13, 0
	v_cmp_eq_u32_e32 vcc, s12, v2
	s_or_b64 s[10:11], vcc, s[10:11]
	v_mov_b64_e32 v[80:81], s[8:9]
	s_andn2_b64 exec, exec, s[10:11]
	s_cbranch_execnz .LBB268_4
; %bb.5:
	s_or_b64 exec, exec, s[10:11]
	v_mov_b32_e32 v82, s14
.LBB268_6:
	s_or_b64 exec, exec, s[6:7]
.LBB268_7:
	s_or_b64 exec, exec, s[2:3]
	s_lshl_b32 s2, s4, 1
	s_abs_i32 s3, s2
	v_cvt_f32_u32_e32 v2, s3
	s_sub_i32 s8, 0, s3
	s_abs_i32 s7, s23
	s_ashr_i32 s6, s23, 31
	v_rcp_iflag_f32_e32 v2, v2
	s_nop 0
	v_mul_f32_e32 v2, 0x4f7ffffe, v2
	v_cvt_u32_f32_e32 v2, v2
	s_nop 0
	v_readfirstlane_b32 s9, v2
	s_mul_i32 s8, s8, s9
	s_mul_hi_u32 s8, s9, s8
	s_add_i32 s9, s9, s8
	s_mul_hi_u32 s8, s7, s9
	s_mul_i32 s8, s8, s3
	s_sub_i32 s7, s7, s8
	s_sub_i32 s8, s7, s3
	s_cmp_ge_u32 s7, s3
	s_cselect_b32 s7, s8, s7
	s_sub_i32 s8, s7, s3
	s_cmp_ge_u32 s7, s3
	s_cselect_b32 s3, s8, s7
	s_xor_b32 s3, s3, s6
	s_sub_i32 s3, s3, s6
	s_add_i32 s2, s2, s23
	s_sub_i32 s2, s2, s3
	s_cmp_eq_u32 s3, 0
	s_cselect_b32 s33, s23, s2
	v_cmp_gt_u32_e32 vcc, s33, v82
	s_and_b64 exec, exec, vcc
	s_cbranch_execz .LBB268_88
; %bb.8:
	s_load_dwordx8 s[12:19], s[0:1], 0x10
	s_min_u32 s40, s22, 0x2000
	s_cmp_lg_u32 s20, 0
	s_load_dwordx2 s[10:11], s[0:1], 0x30
	s_cselect_b64 s[2:3], -1, 0
	s_cmp_lg_u32 s22, 0
	s_mul_i32 s0, s5, s4
	s_cselect_b64 s[6:7], -1, 0
	s_lshl_b32 s41, s4, 9
	s_add_i32 s42, s20, -8
	s_add_i32 s43, s23, -1
	s_lshl_b32 s44, s0, 1
	s_waitcnt lgkmcnt(0)
	s_cmp_lg_u64 s[18:19], 0
	s_cselect_b64 s[26:27], -1, 0
	s_abs_i32 s5, s13
	v_cvt_f32_u32_e32 v2, s12
	v_cvt_f32_u32_e32 v3, s5
	s_sub_i32 s8, 0, s12
	s_add_i32 s13, s23, -2
	v_rcp_iflag_f32_e32 v2, v2
	v_rcp_iflag_f32_e32 v3, v3
	v_and_b32_e32 v0, 0x3ff, v0
	v_lshlrev_b32_e32 v87, 3, v0
	v_mul_f32_e32 v2, 0x4f7ffffe, v2
	v_mul_f32_e32 v3, 0x4f7ffffe, v3
	v_cvt_u32_f32_e32 v2, v2
	v_cvt_u32_f32_e32 v3, v3
	v_cmp_eq_u32_e64 s[0:1], 63, v0
	v_lshlrev_b32_e32 v0, 4, v0
	v_mul_lo_u32 v4, s8, v2
	s_sub_i32 s8, 0, s5
	v_readfirstlane_b32 s9, v3
	s_mul_i32 s8, s8, s9
	s_mul_hi_u32 s8, s9, s8
	s_add_i32 s9, s9, s8
	s_sub_i32 s8, 1, s5
	s_cmp_lt_u32 s5, 2
	s_cselect_b32 s8, s8, 1
	s_sub_i32 s28, s8, s5
	s_cmp_ge_u32 s8, s5
	s_cselect_b32 s45, s28, s8
	s_lshr_b32 s8, s9, 31
	s_mul_i32 s8, s8, s5
	s_sub_i32 s8, 2, s8
	s_sub_i32 s28, s8, s5
	s_cmp_ge_u32 s8, s5
	s_cselect_b32 s8, s28, s8
	s_sub_i32 s28, s8, s5
	s_cmp_ge_u32 s8, s5
	s_cselect_b32 s46, s28, s8
	s_mul_hi_u32 s8, s9, 3
	s_mul_i32 s8, s8, s5
	s_sub_i32 s8, 3, s8
	s_sub_i32 s9, s8, s5
	s_cmp_ge_u32 s8, s5
	s_cselect_b32 s8, s9, s8
	s_sub_i32 s9, s8, s5
	s_cmp_ge_u32 s8, s5
	s_cselect_b32 s47, s9, s8
	s_add_u32 s28, s10, 2
	v_lshl_add_u32 v95, v1, 10, v0
	v_lshl_add_u32 v86, v1, 9, v87
	v_cndmask_b32_e64 v0, 0, 1, s[2:3]
	v_mul_hi_u32 v4, v2, v4
	s_addc_u32 s29, s11, 0
	s_lshl_b32 s49, s4, 10
	v_mad_u64_u32 v[88:89], s[4:5], s22, 3, v[86:87]
	v_cmp_ne_u32_e64 s[2:3], 1, v0
	v_cndmask_b32_e64 v0, 0, 1, s[6:7]
	s_mov_b64 s[24:25], 0
	v_add_u32_e32 v94, v2, v4
	v_mov_b32_e32 v85, 0
	s_mul_i32 s45, s45, s12
	s_mul_i32 s46, s46, s12
	;; [unrolled: 1-line block ×4, first 2 shown]
	s_lshl_b32 s50, s40, 2
	s_lshl_b32 s51, s40, 1
	v_lshl_add_u32 v96, s22, 1, v86
	v_add_u32_e32 v89, s22, v86
	v_cmp_ne_u32_e64 s[4:5], 1, v0
	s_mov_b32 s52, 0x7f800000
	s_movk_i32 s53, 0x7fff
	s_branch .LBB268_12
.LBB268_9:                              ;   in Loop: Header=BB268_12 Depth=1
	s_or_b64 exec, exec, s[34:35]
	v_mov_b32_e32 v82, s13
.LBB268_10:                             ;   in Loop: Header=BB268_12 Depth=1
	s_or_b64 exec, exec, s[8:9]
.LBB268_11:                             ;   in Loop: Header=BB268_12 Depth=1
	s_or_b64 exec, exec, s[30:31]
	v_cmp_le_u32_e32 vcc, s33, v82
	s_or_b64 s[24:25], vcc, s[24:25]
	s_andn2_b64 exec, exec, s[24:25]
	s_cbranch_execz .LBB268_88
.LBB268_12:                             ; =>This Loop Header: Depth=1
                                        ;     Child Loop BB268_17 Depth 2
                                        ;       Child Loop BB268_22 Depth 3
                                        ;     Child Loop BB268_86 Depth 2
	s_and_b64 vcc, exec, s[2:3]
	v_mov_b32_e32 v3, v85
	v_mov_b32_e32 v2, v85
	;; [unrolled: 1-line block ×4, first 2 shown]
	s_waitcnt vmcnt(1)
	v_mov_b32_e32 v7, v85
	v_mov_b32_e32 v6, v85
	;; [unrolled: 1-line block ×3, first 2 shown]
	s_waitcnt vmcnt(0)
	v_mov_b32_e32 v4, v85
	v_mov_b32_e32 v11, v85
	;; [unrolled: 1-line block ×25, first 2 shown]
	s_cbranch_vccnz .LBB268_29
; %bb.13:                               ;   in Loop: Header=BB268_12 Depth=1
	v_min_u32_e32 v0, s43, v82
	v_mul_lo_u32 v84, v0, s21
	v_add_u32_e32 v0, 1, v82
	v_min_u32_e32 v0, s43, v0
	v_mul_lo_u32 v0, v0, s21
	v_mov_b32_e32 v1, v85
	v_mov_b32_e32 v16, 0
	v_cmp_gt_u32_e64 s[6:7], s23, v82
	s_mov_b32 s36, 0
	v_lshlrev_b64 v[90:91], 1, v[84:85]
	v_lshlrev_b64 v[92:93], 1, v[0:1]
	s_mov_b32 s37, 0
	v_mov_b32_e32 v17, v16
	v_mov_b32_e32 v18, v16
	;; [unrolled: 1-line block ×31, first 2 shown]
	s_branch .LBB268_17
.LBB268_14:                             ;   in Loop: Header=BB268_17 Depth=2
	s_or_b64 exec, exec, s[34:35]
.LBB268_15:                             ;   in Loop: Header=BB268_17 Depth=2
	s_or_b64 exec, exec, s[30:31]
	s_waitcnt vmcnt(3) lgkmcnt(3)
	v_mfma_f32_4x4x4_16b_bf16 v[28:31], v[76:77], v[44:45], v[28:31]
	s_waitcnt vmcnt(2)
	v_mfma_f32_4x4x4_16b_bf16 v[24:27], v[76:77], v[40:41], v[24:27]
	s_waitcnt lgkmcnt(2)
	v_mfma_f32_4x4x4_16b_bf16 v[20:23], v[72:73], v[44:45], v[20:23]
	v_mfma_f32_4x4x4_16b_bf16 v[16:19], v[72:73], v[40:41], v[16:19]
	s_waitcnt lgkmcnt(1)
	v_mfma_f32_4x4x4_16b_bf16 v[12:15], v[68:69], v[44:45], v[12:15]
	;; [unrolled: 3-line block ×3, first 2 shown]
	v_mfma_f32_4x4x4_16b_bf16 v[0:3], v[56:57], v[40:41], v[0:3]
	v_mfma_f32_4x4x4_16b_bf16 v[28:31], v[78:79], v[46:47], v[28:31]
	;; [unrolled: 1-line block ×9, first 2 shown]
	s_waitcnt vmcnt(1)
	v_mfma_f32_4x4x4_16b_bf16 v[28:31], v[64:65], v[36:37], v[28:31]
	s_waitcnt vmcnt(0)
	v_mfma_f32_4x4x4_16b_bf16 v[24:27], v[64:65], v[32:33], v[24:27]
	v_mfma_f32_4x4x4_16b_bf16 v[20:23], v[60:61], v[36:37], v[20:23]
	;; [unrolled: 1-line block ×15, first 2 shown]
.LBB268_16:                             ;   in Loop: Header=BB268_17 Depth=2
	s_or_b64 exec, exec, s[8:9]
	s_addk_i32 s37, 0x400
	s_cmp_ge_u32 s37, s20
	s_cbranch_scc1 .LBB268_29
.LBB268_17:                             ;   Parent Loop BB268_12 Depth=1
                                        ; =>  This Loop Header: Depth=2
                                        ;       Child Loop BB268_22 Depth 3
	s_cmp_eq_u32 s37, 0
	s_cselect_b64 s[8:9], -1, 0
	s_add_i32 s30, s36, s40
	s_cmp_eq_u32 s37, s30
	s_cselect_b64 s[34:35], -1, 0
	s_or_b64 s[34:35], s[8:9], s[34:35]
	s_andn2_b64 vcc, exec, s[34:35]
	s_cbranch_vccz .LBB268_19
; %bb.18:                               ;   in Loop: Header=BB268_17 Depth=2
	s_and_saveexec_b64 s[8:9], s[6:7]
	s_cbranch_execz .LBB268_16
	s_branch .LBB268_26
.LBB268_19:                             ;   in Loop: Header=BB268_17 Depth=2
	s_and_b64 s[8:9], s[8:9], exec
	s_cselect_b32 s36, s36, s30
	s_and_b64 vcc, exec, s[4:5]
	s_barrier
	s_cbranch_vccnz .LBB268_25
; %bb.20:                               ;   in Loop: Header=BB268_17 Depth=2
	v_add_u32_e32 v32, s36, v96
	v_add_u32_e32 v33, s36, v88
	;; [unrolled: 1-line block ×4, first 2 shown]
	s_mov_b32 s38, 0
	s_mov_b64 s[30:31], 0
	v_mov_b32_e32 v36, v95
                                        ; implicit-def: $sgpr34_sgpr35
	s_branch .LBB268_22
.LBB268_21:                             ;   in Loop: Header=BB268_22 Depth=3
	s_or_b64 exec, exec, s[8:9]
	s_and_b64 s[8:9], exec, s[34:35]
	s_or_b64 s[30:31], s[8:9], s[30:31]
	s_andn2_b64 exec, exec, s[30:31]
	s_cbranch_execz .LBB268_24
.LBB268_22:                             ;   Parent Loop BB268_12 Depth=1
                                        ;     Parent Loop BB268_17 Depth=2
                                        ; =>    This Inner Loop Header: Depth=3
	v_add_u32_e32 v37, s38, v86
	v_add_u32_e32 v84, s38, v35
	v_cmp_gt_u32_e32 vcc, s22, v84
	v_cmp_gt_u32_e64 s[8:9], s40, v37
	s_and_b64 s[54:55], s[8:9], vcc
	s_or_b64 s[34:35], s[34:35], exec
	s_and_saveexec_b64 s[8:9], s[54:55]
	s_cbranch_execz .LBB268_21
; %bb.23:                               ;   in Loop: Header=BB268_22 Depth=3
	v_lshl_add_u64 v[38:39], v[84:85], 1, s[16:17]
	v_add_u32_e32 v84, s38, v34
	v_lshl_add_u64 v[42:43], v[84:85], 1, s[16:17]
	v_add_u32_e32 v84, s38, v32
	global_load_dwordx4 v[38:41], v[38:39], off
	s_nop 0
	global_load_dwordx4 v[42:45], v[42:43], off
	v_lshl_add_u64 v[46:47], v[84:85], 1, s[16:17]
	v_add_u32_e32 v84, s38, v33
	global_load_dwordx4 v[46:49], v[46:47], off
	v_lshl_add_u64 v[50:51], v[84:85], 1, s[16:17]
	global_load_dwordx4 v[50:53], v[50:51], off
	s_add_i32 s38, s38, s41
	s_cmp_ge_u32 s38, s40
	s_cselect_b64 s[54:55], -1, 0
	s_andn2_b64 s[34:35], s[34:35], exec
	s_and_b64 s[54:55], s[54:55], exec
	v_add_u32_e32 v37, s51, v36
	v_add_u32_e32 v54, s50, v36
	;; [unrolled: 1-line block ×3, first 2 shown]
	s_or_b64 s[34:35], s[34:35], s[54:55]
	s_waitcnt vmcnt(3)
	ds_write_b128 v36, v[38:41]
	v_add_u32_e32 v36, s49, v36
	s_waitcnt vmcnt(2)
	ds_write2_b64 v37, v[42:43], v[44:45] offset1:1
	s_waitcnt vmcnt(1)
	ds_write2_b32 v54, v46, v47 offset1:1
	ds_write2_b32 v54, v48, v49 offset0:2 offset1:3
	s_waitcnt vmcnt(0)
	ds_write2_b64 v55, v[50:51], v[52:53] offset1:1
	s_branch .LBB268_21
.LBB268_24:                             ;   in Loop: Header=BB268_17 Depth=2
	s_or_b64 exec, exec, s[30:31]
.LBB268_25:                             ;   in Loop: Header=BB268_17 Depth=2
	s_waitcnt lgkmcnt(0)
	s_barrier
	s_and_saveexec_b64 s[8:9], s[6:7]
	s_cbranch_execz .LBB268_16
.LBB268_26:                             ;   in Loop: Header=BB268_17 Depth=2
	v_add_u32_e32 v83, s37, v87
	v_min_u32_e32 v84, s42, v83
	v_lshl_add_u64 v[32:33], v[84:85], 1, s[14:15]
	v_add_u32_e32 v97, 0x200, v83
	v_lshl_add_u64 v[34:35], v[32:33], 0, v[90:91]
	v_lshl_add_u64 v[32:33], v[32:33], 0, v[92:93]
	v_min_u32_e32 v84, s42, v97
	global_load_dwordx4 v[44:47], v[34:35], off nt
	global_load_dwordx4 v[40:43], v[32:33], off nt
	v_lshl_add_u64 v[32:33], v[84:85], 1, s[14:15]
	v_lshl_add_u64 v[34:35], v[32:33], 0, v[90:91]
	;; [unrolled: 1-line block ×3, first 2 shown]
	global_load_dwordx4 v[36:39], v[34:35], off nt
	s_nop 0
	global_load_dwordx4 v[32:35], v[32:33], off nt
	v_cmp_gt_u32_e32 vcc, s20, v83
	v_mov_b32_e32 v50, 0
	v_mov_b32_e32 v51, 0
	;; [unrolled: 1-line block ×32, first 2 shown]
	s_and_saveexec_b64 s[30:31], vcc
	s_cbranch_execz .LBB268_15
; %bb.27:                               ;   in Loop: Header=BB268_17 Depth=2
	v_subrev_u32_e32 v48, s36, v83
	v_lshlrev_b32_e32 v99, 1, v48
	v_add_u32_e32 v98, s51, v99
	v_add_u32_e32 v84, s51, v98
	ds_read_b128 v[76:79], v99
	ds_read_b128 v[72:75], v98
	v_add_u32_e32 v83, s51, v84
	ds_read_b128 v[68:71], v84
	ds_read_b128 v[56:59], v83
	v_cmp_gt_u32_e32 vcc, s20, v97
	v_mov_b32_e32 v65, 0
	v_mov_b32_e32 v64, 0
	;; [unrolled: 1-line block ×16, first 2 shown]
	s_and_saveexec_b64 s[34:35], vcc
	s_cbranch_execz .LBB268_14
; %bb.28:                               ;   in Loop: Header=BB268_17 Depth=2
	ds_read_b128 v[64:67], v99 offset:1024
	ds_read_b128 v[60:63], v98 offset:1024
	;; [unrolled: 1-line block ×4, first 2 shown]
	s_branch .LBB268_14
.LBB268_29:                             ;   in Loop: Header=BB268_12 Depth=1
	v_cmp_le_u32_e32 vcc, s23, v82
	s_and_saveexec_b64 s[6:7], vcc
	s_xor_b64 s[6:7], exec, s[6:7]
; %bb.30:                               ;   in Loop: Header=BB268_12 Depth=1
	v_add_u32_e32 v82, s44, v82
                                        ; implicit-def: $vgpr3
                                        ; implicit-def: $vgpr7
                                        ; implicit-def: $vgpr11
                                        ; implicit-def: $vgpr15
                                        ; implicit-def: $vgpr31
                                        ; implicit-def: $vgpr27
                                        ; implicit-def: $vgpr23
                                        ; implicit-def: $vgpr19
; %bb.31:                               ;   in Loop: Header=BB268_12 Depth=1
	s_andn2_saveexec_b64 s[30:31], s[6:7]
	s_cbranch_execz .LBB268_11
; %bb.32:                               ;   in Loop: Header=BB268_12 Depth=1
	v_cvt_i32_f32_e32 v29, v29
	v_cvt_i32_f32_e32 v30, v30
	v_cvt_i32_f32_e32 v31, v31
	v_cvt_i32_f32_e32 v25, v25
	v_cvt_f32_i32_dpp v29, v29 row_shl:1 row_mask:0xf bank_mask:0xf bound_ctrl:1
	v_cvt_f32_i32_dpp v30, v30 row_shl:2 row_mask:0xf bank_mask:0xf bound_ctrl:1
	;; [unrolled: 1-line block ×3, first 2 shown]
	v_cvt_i32_f32_e32 v26, v26
	v_add_f32_e32 v28, v28, v29
	v_add_f32_e32 v28, v28, v30
	;; [unrolled: 1-line block ×3, first 2 shown]
	v_cvt_i32_f32_e32 v29, v28
	v_cvt_i32_f32_e32 v27, v27
	v_cvt_f32_i32_dpp v25, v25 row_shl:1 row_mask:0xf bank_mask:0xf bound_ctrl:1
	v_cvt_f32_i32_dpp v26, v26 row_shl:2 row_mask:0xf bank_mask:0xf bound_ctrl:1
	;; [unrolled: 1-line block ×4, first 2 shown]
	v_add_f32_e32 v24, v24, v25
	v_cvt_i32_f32_e32 v21, v21
	v_add_f32_e32 v28, v28, v29
	v_cvt_i32_f32_e32 v29, v28
	;; [unrolled: 2-line block ×3, first 2 shown]
	v_add_f32_e32 v24, v24, v27
	v_cvt_f32_i32_dpp v25, v29 row_shl:8 row_mask:0xf bank_mask:0xf bound_ctrl:1
	v_cvt_i32_f32_e32 v23, v23
	v_cvt_i32_f32_e32 v26, v24
	v_cvt_f32_i32_dpp v21, v21 row_shl:1 row_mask:0xf bank_mask:0xf bound_ctrl:1
	v_add_f32_e32 v25, v28, v25
	v_cvt_i32_f32_e32 v25, v25
	v_cvt_f32_i32_dpp v22, v22 row_shl:2 row_mask:0xf bank_mask:0xf bound_ctrl:1
	v_cvt_f32_i32_dpp v26, v26 row_shl:4 row_mask:0xf bank_mask:0xf bound_ctrl:1
	;; [unrolled: 1-line block ×3, first 2 shown]
	v_cvt_f32_i32_dpp v25, v25 row_shr:15 row_mask:0xf bank_mask:0xf bound_ctrl:1
	v_add_f32_e32 v20, v20, v21
	v_add_f32_e32 v20, v20, v22
	;; [unrolled: 1-line block ×4, first 2 shown]
	v_cvt_i32_f32_e32 v24, v21
	v_cvt_i32_f32_e32 v26, v25
	v_cvt_i32_f32_e32 v20, v22
	v_cvt_i32_f32_e32 v17, v17
	v_cvt_f32_i32_dpp v23, v24 row_shl:8 row_mask:0xf bank_mask:0xf bound_ctrl:1
	v_cvt_f32_i32_dpp v24, v26 row_bcast:15 row_mask:0xf bank_mask:0xf bound_ctrl:1
	v_cvt_f32_i32_dpp v26, v20 row_shl:4 row_mask:0xf bank_mask:0xf bound_ctrl:1
	v_cvt_i32_f32_e32 v18, v18
	v_add_f32_e32 v21, v21, v23
	v_cvt_i32_f32_e32 v19, v19
	v_add_f32_e32 v22, v22, v26
	v_cvt_i32_f32_e32 v23, v22
	v_cvt_f32_i32_dpp v17, v17 row_shl:1 row_mask:0xf bank_mask:0xf bound_ctrl:1
	v_cvt_f32_i32_dpp v18, v18 row_shl:2 row_mask:0xf bank_mask:0xf bound_ctrl:1
	;; [unrolled: 1-line block ×4, first 2 shown]
	v_add_f32_e32 v16, v16, v17
	v_add_f32_e32 v16, v16, v18
	;; [unrolled: 1-line block ×4, first 2 shown]
	v_cvt_i32_f32_e32 v21, v21
	v_cvt_i32_f32_e32 v17, v16
	;; [unrolled: 1-line block ×5, first 2 shown]
	v_add_f32_e32 v20, v25, v24
	v_cvt_i32_f32_e32 v15, v15
	v_cvt_f32_i32_dpp v18, v21 row_shr:15 row_mask:0xf bank_mask:0xf bound_ctrl:1
	v_cvt_f32_i32_dpp v17, v17 row_shl:4 row_mask:0xf bank_mask:0xf bound_ctrl:1
	v_cvt_i32_f32_e32 v21, v20
	v_cvt_f32_i32_dpp v19, v19 row_shr:15 row_mask:0xf bank_mask:0xf bound_ctrl:1
	v_cvt_f32_i32_dpp v13, v13 row_shl:1 row_mask:0xf bank_mask:0xf bound_ctrl:1
	v_cvt_i32_f32_e32 v9, v9
	v_cvt_f32_i32_dpp v14, v14 row_shl:2 row_mask:0xf bank_mask:0xf bound_ctrl:1
	v_cvt_i32_f32_e32 v10, v10
	;; [unrolled: 2-line block ×3, first 2 shown]
	v_cvt_i32_f32_e32 v5, v5
	v_add_f32_e32 v23, v16, v17
	v_mov_b32_dpp v17, v21 row_bcast:31 row_mask:0xf bank_mask:0xf bound_ctrl:1
	v_cvt_i32_f32_e32 v21, v19
	v_add_f32_e32 v12, v12, v13
	v_cvt_f32_i32_dpp v9, v9 row_shl:1 row_mask:0xf bank_mask:0xf bound_ctrl:1
	v_cvt_i32_f32_e32 v1, v1
	v_add_f32_e32 v12, v12, v14
	v_cvt_f32_i32_dpp v10, v10 row_shl:2 row_mask:0xf bank_mask:0xf bound_ctrl:1
	v_cvt_i32_f32_e32 v6, v6
	v_cvt_i32_f32_e32 v2, v2
	v_add_f32_e32 v14, v12, v15
	v_cvt_f32_i32_dpp v11, v11 row_shl:3 row_mask:0xf bank_mask:0xf bound_ctrl:1
	v_cvt_f32_i32_dpp v5, v5 row_shl:1 row_mask:0xf bank_mask:0xf bound_ctrl:1
	v_cvt_i32_f32_e32 v7, v7
	v_cvt_i32_f32_e32 v3, v3
	v_cvt_f32_i32_dpp v21, v21 row_bcast:15 row_mask:0xf bank_mask:0xf bound_ctrl:1
	v_cvt_i32_f32_e32 v12, v14
	v_add_f32_e32 v8, v8, v9
	v_cvt_f32_i32_dpp v1, v1 row_shl:1 row_mask:0xf bank_mask:0xf bound_ctrl:1
	v_add_f32_e32 v8, v8, v10
	v_cvt_f32_i32_dpp v6, v6 row_shl:2 row_mask:0xf bank_mask:0xf bound_ctrl:1
	v_cvt_f32_i32_dpp v2, v2 row_shl:2 row_mask:0xf bank_mask:0xf bound_ctrl:1
	v_add_f32_e32 v9, v8, v11
	v_add_f32_e32 v4, v4, v5
	v_cvt_f32_i32_dpp v5, v7 row_shl:3 row_mask:0xf bank_mask:0xf bound_ctrl:1
	v_cvt_f32_i32_dpp v3, v3 row_shl:3 row_mask:0xf bank_mask:0xf bound_ctrl:1
	v_add_f32_e32 v13, v19, v21
	v_cvt_f32_i32_dpp v19, v12 row_shl:4 row_mask:0xf bank_mask:0xf bound_ctrl:1
	v_cvt_i32_f32_e32 v10, v9
	v_add_f32_e32 v0, v0, v1
	v_add_f32_e32 v4, v4, v6
	;; [unrolled: 1-line block ×6, first 2 shown]
	v_cvt_f32_i32_dpp v10, v10 row_shl:4 row_mask:0xf bank_mask:0xf bound_ctrl:1
	v_cvt_i32_f32_e32 v5, v4
	v_cvt_i32_f32_e32 v1, v0
	;; [unrolled: 1-line block ×3, first 2 shown]
	v_add_f32_e32 v9, v9, v10
	v_cvt_f32_i32_dpp v3, v5 row_shl:4 row_mask:0xf bank_mask:0xf bound_ctrl:1
	v_cvt_f32_i32_dpp v1, v1 row_shl:4 row_mask:0xf bank_mask:0xf bound_ctrl:1
	;; [unrolled: 1-line block ×3, first 2 shown]
	v_cvt_i32_f32_e32 v10, v9
	v_add_f32_e32 v3, v4, v3
	v_add_f32_e32 v0, v0, v1
	v_cvt_i32_f32_e32 v22, v18
	v_cvt_i32_f32_e32 v16, v23
	v_add_f32_e32 v14, v14, v19
	v_cvt_f32_i32_dpp v2, v10 row_shl:8 row_mask:0xf bank_mask:0xf bound_ctrl:1
	v_cvt_i32_f32_e32 v4, v3
	v_cvt_i32_f32_e32 v1, v0
	;; [unrolled: 1-line block ×3, first 2 shown]
	v_cvt_f32_i32_dpp v22, v22 row_bcast:15 row_mask:0xf bank_mask:0xf bound_ctrl:1
	v_cvt_f32_i32_dpp v24, v16 row_shl:8 row_mask:0xf bank_mask:0xf bound_ctrl:1
	v_add_f32_e32 v2, v9, v2
	v_cvt_f32_i32_dpp v4, v4 row_shl:8 row_mask:0xf bank_mask:0xf bound_ctrl:1
	v_cvt_f32_i32_dpp v1, v1 row_shl:8 row_mask:0xf bank_mask:0xf bound_ctrl:1
	v_cvt_f32_i32_dpp v5, v14 row_shr:15 row_mask:0xf bank_mask:0xf bound_ctrl:1
	v_cvt_i32_f32_e32 v2, v2
	v_add_f32_e32 v16, v18, v22
	v_add_f32_e32 v22, v23, v24
	;; [unrolled: 1-line block ×4, first 2 shown]
	v_cvt_i32_f32_e32 v22, v22
	v_cvt_i32_f32_e32 v6, v5
	v_cvt_f32_i32_dpp v2, v2 row_shr:15 row_mask:0xf bank_mask:0xf bound_ctrl:1
	v_cvt_i32_f32_e32 v3, v3
	v_cvt_i32_f32_e32 v0, v0
	v_cvt_f32_i32_dpp v22, v22 row_shr:15 row_mask:0xf bank_mask:0xf bound_ctrl:1
	v_cvt_f32_i32_dpp v1, v6 row_bcast:15 row_mask:0xf bank_mask:0xf bound_ctrl:1
	v_cvt_f32_i32_dpp v3, v3 row_shr:15 row_mask:0xf bank_mask:0xf bound_ctrl:1
	v_cvt_i32_f32_e32 v4, v2
	v_cvt_f32_i32_dpp v0, v0 row_shr:15 row_mask:0xf bank_mask:0xf bound_ctrl:1
	v_cvt_i32_f32_e32 v18, v16
	v_cvt_i32_f32_e32 v23, v22
	v_add_f32_e32 v9, v5, v1
	v_cvt_i32_f32_e32 v1, v3
	v_cvt_f32_i32_dpp v4, v4 row_bcast:15 row_mask:0xf bank_mask:0xf bound_ctrl:1
	v_cvt_i32_f32_e32 v6, v0
	v_mov_b32_dpp v15, v18 row_bcast:31 row_mask:0xf bank_mask:0xf bound_ctrl:1
	v_cvt_f32_i32_dpp v18, v23 row_bcast:15 row_mask:0xf bank_mask:0xf bound_ctrl:1
	v_cvt_f32_i32_dpp v1, v1 row_bcast:15 row_mask:0xf bank_mask:0xf bound_ctrl:1
	v_add_f32_e32 v5, v2, v4
	v_cvt_f32_i32_dpp v4, v6 row_bcast:15 row_mask:0xf bank_mask:0xf bound_ctrl:1
	v_add_f32_e32 v12, v22, v18
	v_add_f32_e32 v2, v3, v1
	v_cvt_i32_f32_e32 v21, v13
	v_add_f32_e32 v0, v0, v4
	v_cvt_i32_f32_e32 v18, v12
	v_cvt_i32_f32_e32 v7, v9
	v_cvt_i32_f32_e32 v6, v5
	v_cvt_i32_f32_e32 v1, v2
	v_cvt_i32_f32_e32 v4, v0
	v_mov_b32_dpp v11, v21 row_bcast:31 row_mask:0xf bank_mask:0xf bound_ctrl:1
	v_mov_b32_dpp v8, v18 row_bcast:31 row_mask:0xf bank_mask:0xf bound_ctrl:1
	;; [unrolled: 1-line block ×6, first 2 shown]
	s_and_saveexec_b64 s[34:35], s[0:1]
	s_cbranch_execz .LBB268_83
; %bb.33:                               ;   in Loop: Header=BB268_12 Depth=1
	s_andn2_b64 vcc, exec, s[26:27]
	v_mov_b32_e32 v23, 0
	v_mov_b32_e32 v22, 0
	;; [unrolled: 1-line block ×8, first 2 shown]
	s_cbranch_vccnz .LBB268_35
; %bb.34:                               ;   in Loop: Header=BB268_12 Depth=1
	v_mul_hi_u32 v4, v82, v94
	v_mul_lo_u32 v4, v4, s12
	v_sub_u32_e32 v4, v82, v4
	v_subrev_u32_e32 v7, s12, v4
	v_cmp_le_u32_e32 vcc, s12, v4
	v_mov_b32_e32 v23, v85
	v_mov_b32_e32 v19, v85
	v_cndmask_b32_e32 v4, v4, v7, vcc
	v_subrev_u32_e32 v7, s12, v4
	v_cmp_le_u32_e32 vcc, s12, v4
	s_nop 1
	v_cndmask_b32_e32 v84, v4, v7, vcc
	v_add_u32_e32 v4, 1, v82
	v_mul_hi_u32 v7, v4, v94
	v_mul_lo_u32 v7, v7, s12
	v_sub_u32_e32 v4, v4, v7
	v_subrev_u32_e32 v7, s12, v4
	v_cmp_le_u32_e32 vcc, s12, v4
	v_add_u32_e32 v22, s45, v84
	v_lshl_add_u64 v[28:29], v[22:23], 1, s[18:19]
	v_cndmask_b32_e32 v4, v4, v7, vcc
	v_subrev_u32_e32 v7, s12, v4
	v_cmp_le_u32_e32 vcc, s12, v4
	v_lshl_add_u64 v[24:25], v[84:85], 1, s[18:19]
	s_nop 0
	v_cndmask_b32_e32 v18, v4, v7, vcc
	v_add_u32_e32 v22, s45, v18
	v_lshl_add_u64 v[30:31], v[22:23], 1, s[18:19]
	v_add_u32_e32 v22, s46, v84
	v_add_u32_e32 v84, s47, v84
	v_lshl_add_u64 v[32:33], v[22:23], 1, s[18:19]
	v_add_u32_e32 v22, s46, v18
	v_lshl_add_u64 v[36:37], v[84:85], 1, s[18:19]
	;; [unrolled: 2-line block ×3, first 2 shown]
	v_lshl_add_u64 v[34:35], v[22:23], 1, s[18:19]
	v_lshl_add_u64 v[38:39], v[84:85], 1, s[18:19]
	global_load_ushort v23, v[24:25], off
	global_load_ushort v22, v[26:27], off
	;; [unrolled: 1-line block ×8, first 2 shown]
.LBB268_35:                             ;   in Loop: Header=BB268_12 Depth=1
	v_cmp_ne_u32_e32 vcc, 0, v80
	s_and_saveexec_b64 s[8:9], vcc
	s_cbranch_execnz .LBB268_43
; %bb.36:                               ;   in Loop: Header=BB268_12 Depth=1
	s_or_b64 exec, exec, s[8:9]
	v_cmp_ne_u32_e64 s[6:7], 0, v81
	s_and_saveexec_b64 s[36:37], s[6:7]
	s_cbranch_execnz .LBB268_48
.LBB268_37:                             ;   in Loop: Header=BB268_12 Depth=1
	s_or_b64 exec, exec, s[36:37]
	v_add_u32_e32 v84, s23, v82
	s_and_saveexec_b64 s[36:37], vcc
	s_cbranch_execnz .LBB268_53
.LBB268_38:                             ;   in Loop: Header=BB268_12 Depth=1
	s_or_b64 exec, exec, s[36:37]
	s_and_saveexec_b64 s[36:37], s[6:7]
	s_cbranch_execnz .LBB268_58
.LBB268_39:                             ;   in Loop: Header=BB268_12 Depth=1
	s_or_b64 exec, exec, s[36:37]
	v_add_u32_e32 v84, s23, v84
	s_and_saveexec_b64 s[36:37], vcc
	s_cbranch_execnz .LBB268_63
.LBB268_40:                             ;   in Loop: Header=BB268_12 Depth=1
	s_or_b64 exec, exec, s[36:37]
	s_and_saveexec_b64 s[36:37], s[6:7]
	s_cbranch_execnz .LBB268_68
.LBB268_41:                             ;   in Loop: Header=BB268_12 Depth=1
	s_or_b64 exec, exec, s[36:37]
	v_add_u32_e32 v84, s23, v84
	s_and_saveexec_b64 s[8:9], vcc
	s_cbranch_execnz .LBB268_73
.LBB268_42:                             ;   in Loop: Header=BB268_12 Depth=1
	s_or_b64 exec, exec, s[8:9]
	s_and_b64 exec, exec, s[6:7]
	s_cbranch_execnz .LBB268_78
	s_branch .LBB268_83
.LBB268_43:                             ;   in Loop: Header=BB268_12 Depth=1
	v_cvt_f32_i32_e32 v17, v17
	v_add_f32_e32 v17, v20, v17
	s_waitcnt vmcnt(7)
	v_lshlrev_b32_e32 v20, 16, v23
	v_add_f32_e32 v20, v17, v20
	v_and_b32_e32 v17, 0x7f800000, v20
	v_cmp_ne_u32_e64 s[6:7], s52, v17
                                        ; implicit-def: $vgpr17
	s_and_saveexec_b64 s[36:37], s[6:7]
	s_xor_b64 s[6:7], exec, s[36:37]
; %bb.44:                               ;   in Loop: Header=BB268_12 Depth=1
	v_bfe_u32 v17, v20, 16, 1
	v_add3_u32 v17, v20, v17, s53
                                        ; implicit-def: $vgpr20
; %bb.45:                               ;   in Loop: Header=BB268_12 Depth=1
	s_andn2_saveexec_b64 s[36:37], s[6:7]
; %bb.46:                               ;   in Loop: Header=BB268_12 Depth=1
	v_or_b32_e32 v17, 0x10000, v20
	v_cmp_eq_u32_sdwa s[6:7], v20, v85 src0_sel:WORD_0 src1_sel:DWORD
	s_nop 1
	v_cndmask_b32_e64 v17, v17, v20, s[6:7]
; %bb.47:                               ;   in Loop: Header=BB268_12 Depth=1
	s_or_b64 exec, exec, s[36:37]
	v_mov_b32_e32 v83, v85
	v_lshl_add_u64 v[24:25], v[82:83], 1, s[10:11]
	global_store_short_d16_hi v[24:25], v17, off
	s_or_b64 exec, exec, s[8:9]
	v_cmp_ne_u32_e64 s[6:7], 0, v81
	s_and_saveexec_b64 s[36:37], s[6:7]
	s_cbranch_execz .LBB268_37
.LBB268_48:                             ;   in Loop: Header=BB268_12 Depth=1
	v_cvt_f32_i32_e32 v15, v15
	v_add_f32_e32 v15, v16, v15
	s_waitcnt vmcnt(6)
	v_lshlrev_b32_e32 v16, 16, v22
	v_add_f32_e32 v16, v15, v16
	v_and_b32_e32 v15, 0x7f800000, v16
	v_cmp_ne_u32_e64 s[8:9], s52, v15
                                        ; implicit-def: $vgpr15
	s_and_saveexec_b64 s[38:39], s[8:9]
	s_xor_b64 s[8:9], exec, s[38:39]
; %bb.49:                               ;   in Loop: Header=BB268_12 Depth=1
	v_bfe_u32 v15, v16, 16, 1
	v_add3_u32 v15, v16, v15, s53
                                        ; implicit-def: $vgpr16
; %bb.50:                               ;   in Loop: Header=BB268_12 Depth=1
	s_andn2_saveexec_b64 s[38:39], s[8:9]
; %bb.51:                               ;   in Loop: Header=BB268_12 Depth=1
	v_or_b32_e32 v15, 0x10000, v16
	v_cmp_eq_u32_sdwa s[8:9], v16, v85 src0_sel:WORD_0 src1_sel:DWORD
	s_nop 1
	v_cndmask_b32_e64 v15, v15, v16, s[8:9]
; %bb.52:                               ;   in Loop: Header=BB268_12 Depth=1
	s_or_b64 exec, exec, s[38:39]
	v_mov_b32_e32 v83, v85
	v_lshl_add_u64 v[16:17], v[82:83], 1, s[28:29]
	global_store_short_d16_hi v[16:17], v15, off
	s_or_b64 exec, exec, s[36:37]
	v_add_u32_e32 v84, s23, v82
	s_and_saveexec_b64 s[36:37], vcc
	s_cbranch_execz .LBB268_38
.LBB268_53:                             ;   in Loop: Header=BB268_12 Depth=1
	v_cvt_f32_i32_e32 v11, v11
	v_add_f32_e32 v11, v13, v11
	s_waitcnt vmcnt(5)
	v_lshlrev_b32_e32 v13, 16, v21
	v_add_f32_e32 v13, v11, v13
	v_and_b32_e32 v11, 0x7f800000, v13
	v_cmp_ne_u32_e64 s[8:9], s52, v11
                                        ; implicit-def: $vgpr11
	s_and_saveexec_b64 s[38:39], s[8:9]
	s_xor_b64 s[8:9], exec, s[38:39]
; %bb.54:                               ;   in Loop: Header=BB268_12 Depth=1
	v_bfe_u32 v11, v13, 16, 1
	v_add3_u32 v11, v13, v11, s53
                                        ; implicit-def: $vgpr13
; %bb.55:                               ;   in Loop: Header=BB268_12 Depth=1
	s_andn2_saveexec_b64 s[38:39], s[8:9]
; %bb.56:                               ;   in Loop: Header=BB268_12 Depth=1
	v_or_b32_e32 v11, 0x10000, v13
	v_cmp_eq_u32_sdwa s[8:9], v13, v85 src0_sel:WORD_0 src1_sel:DWORD
	s_nop 1
	v_cndmask_b32_e64 v11, v11, v13, s[8:9]
; %bb.57:                               ;   in Loop: Header=BB268_12 Depth=1
	s_or_b64 exec, exec, s[38:39]
	v_lshl_add_u64 v[16:17], v[84:85], 1, s[10:11]
	global_store_short_d16_hi v[16:17], v11, off
	s_or_b64 exec, exec, s[36:37]
	s_and_saveexec_b64 s[36:37], s[6:7]
	s_cbranch_execz .LBB268_39
.LBB268_58:                             ;   in Loop: Header=BB268_12 Depth=1
	v_cvt_f32_i32_e32 v8, v8
	s_waitcnt vmcnt(4)
	v_lshlrev_b32_e32 v11, 16, v19
	v_add_f32_e32 v8, v12, v8
	v_add_f32_e32 v11, v8, v11
	v_and_b32_e32 v8, 0x7f800000, v11
	v_cmp_ne_u32_e64 s[8:9], s52, v8
                                        ; implicit-def: $vgpr8
	s_and_saveexec_b64 s[38:39], s[8:9]
	s_xor_b64 s[8:9], exec, s[38:39]
; %bb.59:                               ;   in Loop: Header=BB268_12 Depth=1
	v_bfe_u32 v8, v11, 16, 1
	v_add3_u32 v8, v11, v8, s53
                                        ; implicit-def: $vgpr11
; %bb.60:                               ;   in Loop: Header=BB268_12 Depth=1
	s_andn2_saveexec_b64 s[38:39], s[8:9]
; %bb.61:                               ;   in Loop: Header=BB268_12 Depth=1
	v_or_b32_e32 v8, 0x10000, v11
	v_cmp_eq_u32_sdwa s[8:9], v11, v85 src0_sel:WORD_0 src1_sel:DWORD
	s_nop 1
	v_cndmask_b32_e64 v8, v8, v11, s[8:9]
; %bb.62:                               ;   in Loop: Header=BB268_12 Depth=1
	s_or_b64 exec, exec, s[38:39]
	v_add_u32_e32 v12, 1, v84
	v_mov_b32_e32 v13, v85
	v_lshl_add_u64 v[12:13], v[12:13], 1, s[10:11]
	global_store_short_d16_hi v[12:13], v8, off
	s_or_b64 exec, exec, s[36:37]
	v_add_u32_e32 v84, s23, v84
	s_and_saveexec_b64 s[36:37], vcc
	s_cbranch_execz .LBB268_40
.LBB268_63:                             ;   in Loop: Header=BB268_12 Depth=1
	v_cvt_f32_i32_e32 v8, v10
	v_add_f32_e32 v8, v9, v8
	s_waitcnt vmcnt(3)
	v_lshlrev_b32_e32 v9, 16, v18
	v_add_f32_e32 v9, v8, v9
	v_and_b32_e32 v8, 0x7f800000, v9
	v_cmp_ne_u32_e64 s[8:9], s52, v8
                                        ; implicit-def: $vgpr8
	s_and_saveexec_b64 s[38:39], s[8:9]
	s_xor_b64 s[8:9], exec, s[38:39]
; %bb.64:                               ;   in Loop: Header=BB268_12 Depth=1
	v_bfe_u32 v8, v9, 16, 1
	v_add3_u32 v8, v9, v8, s53
                                        ; implicit-def: $vgpr9
; %bb.65:                               ;   in Loop: Header=BB268_12 Depth=1
	s_andn2_saveexec_b64 s[38:39], s[8:9]
; %bb.66:                               ;   in Loop: Header=BB268_12 Depth=1
	v_or_b32_e32 v8, 0x10000, v9
	v_cmp_eq_u32_sdwa s[8:9], v9, v85 src0_sel:WORD_0 src1_sel:DWORD
	s_nop 1
	v_cndmask_b32_e64 v8, v8, v9, s[8:9]
; %bb.67:                               ;   in Loop: Header=BB268_12 Depth=1
	s_or_b64 exec, exec, s[38:39]
	v_lshl_add_u64 v[10:11], v[84:85], 1, s[10:11]
	global_store_short_d16_hi v[10:11], v8, off
	s_or_b64 exec, exec, s[36:37]
	s_and_saveexec_b64 s[36:37], s[6:7]
	s_cbranch_execz .LBB268_41
.LBB268_68:                             ;   in Loop: Header=BB268_12 Depth=1
	v_cvt_f32_i32_e32 v6, v6
	v_add_f32_e32 v5, v5, v6
	s_waitcnt vmcnt(2)
	v_lshlrev_b32_e32 v6, 16, v14
	v_add_f32_e32 v6, v5, v6
	v_and_b32_e32 v5, 0x7f800000, v6
	v_cmp_ne_u32_e64 s[8:9], s52, v5
                                        ; implicit-def: $vgpr5
	s_and_saveexec_b64 s[38:39], s[8:9]
	s_xor_b64 s[8:9], exec, s[38:39]
; %bb.69:                               ;   in Loop: Header=BB268_12 Depth=1
	v_bfe_u32 v5, v6, 16, 1
	v_add3_u32 v5, v6, v5, s53
                                        ; implicit-def: $vgpr6
; %bb.70:                               ;   in Loop: Header=BB268_12 Depth=1
	s_andn2_saveexec_b64 s[38:39], s[8:9]
; %bb.71:                               ;   in Loop: Header=BB268_12 Depth=1
	v_or_b32_e32 v5, 0x10000, v6
	v_cmp_eq_u32_sdwa s[8:9], v6, v85 src0_sel:WORD_0 src1_sel:DWORD
	s_nop 1
	v_cndmask_b32_e64 v5, v5, v6, s[8:9]
; %bb.72:                               ;   in Loop: Header=BB268_12 Depth=1
	s_or_b64 exec, exec, s[38:39]
	v_add_u32_e32 v8, 1, v84
	v_mov_b32_e32 v9, v85
	v_lshl_add_u64 v[8:9], v[8:9], 1, s[10:11]
	global_store_short_d16_hi v[8:9], v5, off
	s_or_b64 exec, exec, s[36:37]
	v_add_u32_e32 v84, s23, v84
	s_and_saveexec_b64 s[8:9], vcc
	s_cbranch_execz .LBB268_42
.LBB268_73:                             ;   in Loop: Header=BB268_12 Depth=1
	v_cvt_f32_i32_e32 v3, v3
	v_add_f32_e32 v2, v2, v3
	s_waitcnt vmcnt(1)
	v_lshlrev_b32_e32 v3, 16, v7
	v_add_f32_e32 v3, v2, v3
	v_and_b32_e32 v2, 0x7f800000, v3
	v_cmp_ne_u32_e32 vcc, s52, v2
                                        ; implicit-def: $vgpr2
	s_and_saveexec_b64 s[36:37], vcc
	s_xor_b64 s[36:37], exec, s[36:37]
; %bb.74:                               ;   in Loop: Header=BB268_12 Depth=1
	v_bfe_u32 v2, v3, 16, 1
	v_add3_u32 v2, v3, v2, s53
                                        ; implicit-def: $vgpr3
; %bb.75:                               ;   in Loop: Header=BB268_12 Depth=1
	s_andn2_saveexec_b64 s[36:37], s[36:37]
; %bb.76:                               ;   in Loop: Header=BB268_12 Depth=1
	v_or_b32_e32 v2, 0x10000, v3
	v_cmp_eq_u32_sdwa vcc, v3, v85 src0_sel:WORD_0 src1_sel:DWORD
	s_nop 1
	v_cndmask_b32_e32 v2, v2, v3, vcc
; %bb.77:                               ;   in Loop: Header=BB268_12 Depth=1
	s_or_b64 exec, exec, s[36:37]
	v_lshl_add_u64 v[6:7], v[84:85], 1, s[10:11]
	global_store_short_d16_hi v[6:7], v2, off
	s_or_b64 exec, exec, s[8:9]
	s_and_b64 exec, exec, s[6:7]
	s_cbranch_execz .LBB268_83
.LBB268_78:                             ;   in Loop: Header=BB268_12 Depth=1
	v_cvt_f32_i32_e32 v1, v1
	v_add_f32_e32 v0, v0, v1
	s_waitcnt vmcnt(0)
	v_lshlrev_b32_e32 v1, 16, v4
	v_add_f32_e32 v1, v0, v1
	v_and_b32_e32 v0, 0x7f800000, v1
	v_cmp_ne_u32_e32 vcc, s52, v0
                                        ; implicit-def: $vgpr0
	s_and_saveexec_b64 s[6:7], vcc
	s_xor_b64 s[6:7], exec, s[6:7]
; %bb.79:                               ;   in Loop: Header=BB268_12 Depth=1
	v_bfe_u32 v0, v1, 16, 1
	v_add3_u32 v0, v1, v0, s53
                                        ; implicit-def: $vgpr1
; %bb.80:                               ;   in Loop: Header=BB268_12 Depth=1
	s_andn2_saveexec_b64 s[6:7], s[6:7]
; %bb.81:                               ;   in Loop: Header=BB268_12 Depth=1
	v_or_b32_e32 v0, 0x10000, v1
	v_cmp_eq_u32_sdwa vcc, v1, v85 src0_sel:WORD_0 src1_sel:DWORD
	s_nop 1
	v_cndmask_b32_e32 v0, v0, v1, vcc
; %bb.82:                               ;   in Loop: Header=BB268_12 Depth=1
	s_or_b64 exec, exec, s[6:7]
	v_add_u32_e32 v84, 1, v84
	v_lshl_add_u64 v[2:3], v[84:85], 1, s[10:11]
	global_store_short_d16_hi v[2:3], v0, off
.LBB268_83:                             ;   in Loop: Header=BB268_12 Depth=1
	s_or_b64 exec, exec, s[34:35]
	v_add_u32_e32 v82, s44, v82
	v_add_u32_e32 v0, 2, v82
	v_cmp_gt_u32_e32 vcc, s23, v82
	v_cmp_le_u32_e64 s[6:7], s23, v0
	s_and_b64 s[6:7], vcc, s[6:7]
	s_and_saveexec_b64 s[8:9], s[6:7]
	s_cbranch_execz .LBB268_10
; %bb.84:                               ;   in Loop: Header=BB268_12 Depth=1
	v_cmp_ne_u32_e32 vcc, s13, v82
	s_and_saveexec_b64 s[34:35], vcc
	s_cbranch_execz .LBB268_9
; %bb.85:                               ;   in Loop: Header=BB268_12 Depth=1
	v_subrev_u32_e32 v0, s13, v82
	v_cmp_lt_u32_e32 vcc, 1, v0
	s_mov_b64 s[36:37], 0
	s_mov_b64 s[38:39], 0
	v_cndmask_b32_e32 v0, 1, v0, vcc
.LBB268_86:                             ;   Parent Loop BB268_12 Depth=1
                                        ; =>  This Inner Loop Header: Depth=2
	s_cmp_lg_u32 s38, 1
	s_cselect_b64 vcc, -1, 0
	s_cmp_lg_u32 s38, 0
	v_cndmask_b32_e32 v81, 0, v81, vcc
	s_cselect_b64 vcc, -1, 0
	s_add_u32 s38, s38, 1
	s_addc_u32 s39, s39, 0
	v_cmp_eq_u32_e64 s[6:7], s38, v0
	s_or_b64 s[36:37], s[6:7], s[36:37]
	v_cndmask_b32_e32 v80, 0, v80, vcc
	s_andn2_b64 exec, exec, s[36:37]
	s_cbranch_execnz .LBB268_86
; %bb.87:                               ;   in Loop: Header=BB268_12 Depth=1
	s_or_b64 exec, exec, s[36:37]
	s_branch .LBB268_9
.LBB268_88:
	s_endpgm
	.section	.rodata,"a",@progbits
	.p2align	6, 0x0
	.amdhsa_kernel _Z16wvSplitK_hf_big_I14__hip_bfloat16Li64ELi2ELi16ELi8ELi2ELi4EEviiiiiiPKT_S3_S3_PS1_ii
		.amdhsa_group_segment_fixed_size 65536
		.amdhsa_private_segment_fixed_size 0
		.amdhsa_kernarg_size 64
		.amdhsa_user_sgpr_count 2
		.amdhsa_user_sgpr_dispatch_ptr 0
		.amdhsa_user_sgpr_queue_ptr 0
		.amdhsa_user_sgpr_kernarg_segment_ptr 1
		.amdhsa_user_sgpr_dispatch_id 0
		.amdhsa_user_sgpr_kernarg_preload_length 0
		.amdhsa_user_sgpr_kernarg_preload_offset 0
		.amdhsa_user_sgpr_private_segment_size 0
		.amdhsa_uses_dynamic_stack 0
		.amdhsa_enable_private_segment 0
		.amdhsa_system_sgpr_workgroup_id_x 1
		.amdhsa_system_sgpr_workgroup_id_y 0
		.amdhsa_system_sgpr_workgroup_id_z 0
		.amdhsa_system_sgpr_workgroup_info 0
		.amdhsa_system_vgpr_workitem_id 1
		.amdhsa_next_free_vgpr 100
		.amdhsa_next_free_sgpr 56
		.amdhsa_accum_offset 100
		.amdhsa_reserve_vcc 1
		.amdhsa_float_round_mode_32 0
		.amdhsa_float_round_mode_16_64 0
		.amdhsa_float_denorm_mode_32 3
		.amdhsa_float_denorm_mode_16_64 3
		.amdhsa_dx10_clamp 1
		.amdhsa_ieee_mode 1
		.amdhsa_fp16_overflow 0
		.amdhsa_tg_split 0
		.amdhsa_exception_fp_ieee_invalid_op 0
		.amdhsa_exception_fp_denorm_src 0
		.amdhsa_exception_fp_ieee_div_zero 0
		.amdhsa_exception_fp_ieee_overflow 0
		.amdhsa_exception_fp_ieee_underflow 0
		.amdhsa_exception_fp_ieee_inexact 0
		.amdhsa_exception_int_div_zero 0
	.end_amdhsa_kernel
	.section	.text._Z16wvSplitK_hf_big_I14__hip_bfloat16Li64ELi2ELi16ELi8ELi2ELi4EEviiiiiiPKT_S3_S3_PS1_ii,"axG",@progbits,_Z16wvSplitK_hf_big_I14__hip_bfloat16Li64ELi2ELi16ELi8ELi2ELi4EEviiiiiiPKT_S3_S3_PS1_ii,comdat
.Lfunc_end268:
	.size	_Z16wvSplitK_hf_big_I14__hip_bfloat16Li64ELi2ELi16ELi8ELi2ELi4EEviiiiiiPKT_S3_S3_PS1_ii, .Lfunc_end268-_Z16wvSplitK_hf_big_I14__hip_bfloat16Li64ELi2ELi16ELi8ELi2ELi4EEviiiiiiPKT_S3_S3_PS1_ii
                                        ; -- End function
	.section	.AMDGPU.csdata,"",@progbits
; Kernel info:
; codeLenInByte = 4748
; NumSgprs: 62
; NumVgprs: 100
; NumAgprs: 0
; TotalNumVgprs: 100
; ScratchSize: 0
; MemoryBound: 0
; FloatMode: 240
; IeeeMode: 1
; LDSByteSize: 65536 bytes/workgroup (compile time only)
; SGPRBlocks: 7
; VGPRBlocks: 12
; NumSGPRsForWavesPerEU: 62
; NumVGPRsForWavesPerEU: 100
; AccumOffset: 100
; Occupancy: 4
; WaveLimiterHint : 0
; COMPUTE_PGM_RSRC2:SCRATCH_EN: 0
; COMPUTE_PGM_RSRC2:USER_SGPR: 2
; COMPUTE_PGM_RSRC2:TRAP_HANDLER: 0
; COMPUTE_PGM_RSRC2:TGID_X_EN: 1
; COMPUTE_PGM_RSRC2:TGID_Y_EN: 0
; COMPUTE_PGM_RSRC2:TGID_Z_EN: 0
; COMPUTE_PGM_RSRC2:TIDIG_COMP_CNT: 1
; COMPUTE_PGM_RSRC3_GFX90A:ACCUM_OFFSET: 24
; COMPUTE_PGM_RSRC3_GFX90A:TG_SPLIT: 0
	.section	.text._Z16wvSplitK_hf_sml_I14__hip_bfloat16Li64ELi3ELi16ELi8ELi2ELi4EEviiiiiiPKT_S3_S3_PS1_ii,"axG",@progbits,_Z16wvSplitK_hf_sml_I14__hip_bfloat16Li64ELi3ELi16ELi8ELi2ELi4EEviiiiiiPKT_S3_S3_PS1_ii,comdat
	.protected	_Z16wvSplitK_hf_sml_I14__hip_bfloat16Li64ELi3ELi16ELi8ELi2ELi4EEviiiiiiPKT_S3_S3_PS1_ii ; -- Begin function _Z16wvSplitK_hf_sml_I14__hip_bfloat16Li64ELi3ELi16ELi8ELi2ELi4EEviiiiiiPKT_S3_S3_PS1_ii
	.globl	_Z16wvSplitK_hf_sml_I14__hip_bfloat16Li64ELi3ELi16ELi8ELi2ELi4EEviiiiiiPKT_S3_S3_PS1_ii
	.p2align	8
	.type	_Z16wvSplitK_hf_sml_I14__hip_bfloat16Li64ELi3ELi16ELi8ELi2ELi4EEviiiiiiPKT_S3_S3_PS1_ii,@function
_Z16wvSplitK_hf_sml_I14__hip_bfloat16Li64ELi3ELi16ELi8ELi2ELi4EEviiiiiiPKT_S3_S3_PS1_ii: ; @_Z16wvSplitK_hf_sml_I14__hip_bfloat16Li64ELi3ELi16ELi8ELi2ELi4EEviiiiiiPKT_S3_S3_PS1_ii
; %bb.0:
	s_load_dwordx4 s[4:7], s[0:1], 0x0
	s_load_dwordx2 s[8:9], s[0:1], 0x10
	s_load_dwordx2 s[10:11], s[0:1], 0x28
	v_and_b32_e32 v2, 0x3ff, v0
	v_bfe_u32 v3, v0, 10, 10
	v_lshlrev_b32_e32 v116, 3, v2
	s_waitcnt lgkmcnt(0)
	s_lshl_b32 s24, s6, 2
	v_lshl_add_u32 v4, v3, 9, v116
	s_min_u32 s3, s24, 0x8000
	v_cmp_gt_u32_e32 vcc, s3, v4
	s_and_saveexec_b64 s[12:13], vcc
	s_cbranch_execz .LBB269_3
; %bb.1:
	s_load_dwordx2 s[14:15], s[0:1], 0x20
	v_mov_b32_e32 v7, 0
	v_lshlrev_b32_e32 v6, 10, v3
	v_lshlrev_b32_e32 v8, 4, v2
	v_mov_b32_e32 v9, v7
	v_lshl_add_u64 v[0:1], v[6:7], 0, v[8:9]
	s_waitcnt lgkmcnt(0)
	v_lshl_add_u64 v[0:1], s[14:15], 0, v[0:1]
	v_add_u32_e32 v5, v6, v8
	s_mov_b64 s[14:15], 0
	s_mov_b64 s[16:17], 0x4000
.LBB269_2:                              ; =>This Inner Loop Header: Depth=1
	global_load_dwordx4 v[6:9], v[0:1], off
	v_add_u32_e32 v4, 0x2000, v4
	v_cmp_le_u32_e32 vcc, s3, v4
	v_lshl_add_u64 v[0:1], v[0:1], 0, s[16:17]
	s_or_b64 s[14:15], vcc, s[14:15]
	s_waitcnt vmcnt(0)
	ds_write_b128 v5, v[6:9]
	v_add_u32_e32 v5, 0x4000, v5
	s_andn2_b64 exec, exec, s[14:15]
	s_cbranch_execnz .LBB269_2
.LBB269_3:
	s_or_b64 exec, exec, s[12:13]
	s_load_dwordx2 s[16:17], s[0:1], 0x38
	s_waitcnt lgkmcnt(0)
	s_barrier
	v_cmp_gt_u32_e32 vcc, s16, v3
	s_and_saveexec_b64 s[12:13], vcc
	s_cbranch_execz .LBB269_66
; %bb.4:
	s_mul_i32 s2, s2, s16
	v_add_u32_e32 v0, s2, v3
	v_lshl_add_u32 v96, v0, 1, v0
	v_cmp_gt_u32_e32 vcc, s7, v96
	s_and_b64 exec, exec, vcc
	s_cbranch_execz .LBB269_66
; %bb.5:
	s_cmp_lg_u32 s4, 0
	s_cselect_b64 s[2:3], -1, 0
	s_add_i32 s25, s4, -8
	s_add_i32 s26, s7, -1
	s_cmp_lg_u64 s[10:11], 0
	s_cselect_b64 s[18:19], -1, 0
	s_abs_i32 s21, s9
	v_cvt_f32_u32_e32 v0, s8
	v_cvt_f32_u32_e32 v1, s21
	s_mul_i32 s20, s16, s17
	s_mul_i32 s9, s20, 3
	v_rcp_iflag_f32_e32 v0, v0
	v_rcp_iflag_f32_e32 v1, v1
	s_sub_i32 s20, 0, s8
	s_load_dwordx2 s[12:13], s[0:1], 0x18
	s_load_dwordx2 s[14:15], s[0:1], 0x30
	v_mul_f32_e32 v0, 0x4f7ffffe, v0
	v_mul_f32_e32 v1, 0x4f7ffffe, v1
	v_cvt_u32_f32_e32 v0, v0
	v_cvt_u32_f32_e32 v1, v1
	v_cmp_eq_u32_e64 s[0:1], 63, v2
	s_mov_b64 s[16:17], 0
	v_mul_lo_u32 v3, s20, v0
	s_sub_i32 s20, 0, s21
	v_readfirstlane_b32 s22, v1
	s_mul_i32 s20, s20, s22
	s_mul_hi_u32 s20, s22, s20
	s_add_i32 s22, s22, s20
	s_sub_i32 s20, 1, s21
	s_cmp_lt_u32 s21, 2
	s_cselect_b32 s20, s20, 1
	s_sub_i32 s23, s20, s21
	s_cmp_ge_u32 s20, s21
	s_cselect_b32 s27, s23, s20
	s_lshr_b32 s20, s22, 31
	s_mul_i32 s20, s20, s21
	s_sub_i32 s20, 2, s20
	s_sub_i32 s23, s20, s21
	s_cmp_ge_u32 s20, s21
	s_cselect_b32 s20, s23, s20
	s_sub_i32 s23, s20, s21
	s_cmp_ge_u32 s20, s21
	s_cselect_b32 s28, s23, s20
	s_mul_hi_u32 s20, s22, 3
	s_mul_i32 s20, s20, s21
	s_sub_i32 s20, 3, s20
	s_sub_i32 s22, s20, s21
	s_cmp_ge_u32 s20, s21
	s_cselect_b32 s20, s22, s20
	s_sub_i32 s22, s20, s21
	v_mul_hi_u32 v3, v0, v3
	s_cmp_ge_u32 s20, s21
	v_add_u32_e32 v117, v0, v3
	s_cselect_b32 s29, s22, s20
	v_cndmask_b32_e64 v0, 0, 1, s[2:3]
	v_mov_b32_e32 v99, 0
	s_mul_i32 s27, s27, s8
	s_mul_i32 s28, s28, s8
	;; [unrolled: 1-line block ×4, first 2 shown]
	v_lshlrev_b32_e32 v118, 4, v2
	s_lshl_b32 s6, s6, 1
	v_cmp_ne_u32_e64 s[2:3], 1, v0
	s_mov_b32 s31, 0x7f800000
	s_movk_i32 s33, 0x7fff
	s_branch .LBB269_8
.LBB269_6:                              ;   in Loop: Header=BB269_8 Depth=1
	s_or_b64 exec, exec, s[22:23]
	v_add_u32_e32 v98, 2, v98
	v_lshl_add_u64 v[2:3], v[98:99], 1, s[14:15]
	global_store_short_d16_hi v[2:3], v0, off
.LBB269_7:                              ;   in Loop: Header=BB269_8 Depth=1
	s_or_b64 exec, exec, s[20:21]
	v_add_u32_e32 v96, s9, v96
	v_cmp_le_u32_e32 vcc, s7, v96
	s_or_b64 s[16:17], vcc, s[16:17]
	s_andn2_b64 exec, exec, s[16:17]
	s_cbranch_execz .LBB269_66
.LBB269_8:                              ; =>This Loop Header: Depth=1
                                        ;     Child Loop BB269_12 Depth 2
	s_and_b64 vcc, exec, s[2:3]
	v_add_u32_e32 v100, 2, v96
	v_mov_b32_e32 v7, v99
	v_mov_b32_e32 v6, v99
	;; [unrolled: 1-line block ×48, first 2 shown]
	s_cbranch_vccnz .LBB269_15
; %bb.9:                                ;   in Loop: Header=BB269_8 Depth=1
	v_min_u32_e32 v0, s26, v96
	v_mul_lo_u32 v98, v0, s5
	v_add_u32_e32 v0, 1, v96
	v_min_u32_e32 v0, s26, v0
	v_min_u32_e32 v2, s26, v100
	v_mul_lo_u32 v0, v0, s5
	v_mov_b32_e32 v1, v99
	v_mul_lo_u32 v2, v2, s5
	v_mov_b32_e32 v3, v99
	v_mov_b32_e32 v24, 0
	s_mov_b32 s34, 0
	v_lshlrev_b64 v[102:103], 1, v[98:99]
	v_lshlrev_b64 v[104:105], 1, v[0:1]
	;; [unrolled: 1-line block ×3, first 2 shown]
	v_mov_b32_e32 v97, v118
	v_mov_b32_e32 v25, v24
	;; [unrolled: 1-line block ×48, first 2 shown]
	s_branch .LBB269_12
.LBB269_10:                             ;   in Loop: Header=BB269_12 Depth=2
	s_or_b64 exec, exec, s[22:23]
.LBB269_11:                             ;   in Loop: Header=BB269_12 Depth=2
	s_or_b64 exec, exec, s[20:21]
	s_waitcnt vmcnt(5) lgkmcnt(4)
	v_mfma_f32_4x4x4_16b_bf16 v[44:47], v[92:93], v[68:69], v[44:47]
	s_addk_i32 s34, 0x400
	s_waitcnt vmcnt(4)
	v_mfma_f32_4x4x4_16b_bf16 v[40:43], v[92:93], v[64:65], v[40:43]
	v_add_u32_e32 v97, 0x800, v97
	s_waitcnt vmcnt(3)
	v_mfma_f32_4x4x4_16b_bf16 v[36:39], v[92:93], v[72:73], v[36:39]
	s_cmp_ge_u32 s34, s4
	s_waitcnt lgkmcnt(3)
	v_mfma_f32_4x4x4_16b_bf16 v[32:35], v[88:89], v[68:69], v[32:35]
	v_mfma_f32_4x4x4_16b_bf16 v[28:31], v[88:89], v[64:65], v[28:31]
	v_mfma_f32_4x4x4_16b_bf16 v[24:27], v[88:89], v[72:73], v[24:27]
	s_waitcnt lgkmcnt(2)
	v_mfma_f32_4x4x4_16b_bf16 v[20:23], v[114:115], v[68:69], v[20:23]
	v_mfma_f32_4x4x4_16b_bf16 v[16:19], v[114:115], v[64:65], v[16:19]
	v_mfma_f32_4x4x4_16b_bf16 v[12:15], v[114:115], v[72:73], v[12:15]
	;; [unrolled: 4-line block ×3, first 2 shown]
	v_mfma_f32_4x4x4_16b_bf16 v[44:47], v[94:95], v[70:71], v[44:47]
	v_mfma_f32_4x4x4_16b_bf16 v[40:43], v[94:95], v[66:67], v[40:43]
	;; [unrolled: 1-line block ×12, first 2 shown]
	s_waitcnt vmcnt(2)
	v_mfma_f32_4x4x4_16b_bf16 v[44:47], v[76:77], v[56:57], v[44:47]
	s_waitcnt vmcnt(1)
	v_mfma_f32_4x4x4_16b_bf16 v[40:43], v[76:77], v[60:61], v[40:43]
	;; [unrolled: 2-line block ×3, first 2 shown]
	v_mfma_f32_4x4x4_16b_bf16 v[32:35], v[80:81], v[56:57], v[32:35]
	v_mfma_f32_4x4x4_16b_bf16 v[28:31], v[80:81], v[60:61], v[28:31]
	;; [unrolled: 1-line block ×21, first 2 shown]
	s_cbranch_scc1 .LBB269_15
.LBB269_12:                             ;   Parent Loop BB269_8 Depth=1
                                        ; =>  This Inner Loop Header: Depth=2
	v_add_u32_e32 v54, s34, v116
	v_min_u32_e32 v98, s25, v54
	s_waitcnt lgkmcnt(0)
	v_lshl_add_u64 v[48:49], v[98:99], 1, s[12:13]
	v_add_u32_e32 v101, 0x200, v54
	v_lshl_add_u64 v[50:51], v[48:49], 0, v[102:103]
	v_min_u32_e32 v98, s25, v101
	v_lshl_add_u64 v[52:53], v[48:49], 0, v[104:105]
	global_load_dwordx4 v[68:71], v[50:51], off nt
	global_load_dwordx4 v[64:67], v[52:53], off nt
	v_lshl_add_u64 v[48:49], v[48:49], 0, v[106:107]
	v_lshl_add_u64 v[50:51], v[98:99], 1, s[12:13]
	;; [unrolled: 1-line block ×3, first 2 shown]
	global_load_dwordx4 v[72:75], v[48:49], off nt
	global_load_dwordx4 v[56:59], v[52:53], off nt
	v_lshl_add_u64 v[48:49], v[50:51], 0, v[104:105]
	v_lshl_add_u64 v[50:51], v[50:51], 0, v[106:107]
	global_load_dwordx4 v[60:63], v[48:49], off nt
	s_nop 0
	global_load_dwordx4 v[48:51], v[50:51], off nt
	v_cmp_gt_u32_e32 vcc, s4, v54
	v_mov_b32_e32 v54, 0
	v_mov_b32_e32 v55, 0
	;; [unrolled: 1-line block ×32, first 2 shown]
	s_and_saveexec_b64 s[20:21], vcc
	s_cbranch_execz .LBB269_11
; %bb.13:                               ;   in Loop: Header=BB269_12 Depth=2
	v_add_u32_e32 v98, s6, v97
	v_add_u32_e32 v119, s24, v97
	ds_read_b128 v[92:95], v97
	ds_read_b128 v[88:91], v98
	ds_read2_b32 v[114:115], v119 offset1:1
	v_add_u32_e32 v120, s30, v97
	ds_read2_b32 v[112:113], v119 offset0:2 offset1:3
	ds_read_b128 v[84:87], v120
	v_cmp_gt_u32_e32 vcc, s4, v101
	v_mov_b32_e32 v77, 0
	v_mov_b32_e32 v76, 0
	;; [unrolled: 1-line block ×16, first 2 shown]
	s_and_saveexec_b64 s[22:23], vcc
	s_cbranch_execz .LBB269_10
; %bb.14:                               ;   in Loop: Header=BB269_12 Depth=2
	v_add_u32_e32 v52, 0x400, v119
	v_add_u32_e32 v53, 0x408, v119
	ds_read_b128 v[76:79], v97 offset:1024
	ds_read2_b32 v[110:111], v52 offset1:1
	ds_read2_b32 v[108:109], v53 offset1:1
	ds_read_b128 v[80:83], v98 offset:1024
	ds_read_b128 v[52:55], v120 offset:1024
	s_branch .LBB269_10
.LBB269_15:                             ;   in Loop: Header=BB269_8 Depth=1
	; sched_barrier mask(0x00000000)
	v_cvt_i32_f32_e32 v41, v41
	v_cvt_i32_f32_e32 v42, v42
	;; [unrolled: 1-line block ×6, first 2 shown]
	v_cvt_f32_i32_dpp v41, v41 row_shl:1 row_mask:0xf bank_mask:0xf bound_ctrl:1
	v_cvt_f32_i32_dpp v42, v42 row_shl:2 row_mask:0xf bank_mask:0xf bound_ctrl:1
	;; [unrolled: 1-line block ×6, first 2 shown]
	v_add_f32_e32 v40, v40, v41
	v_add_f32_e32 v40, v40, v42
	;; [unrolled: 1-line block ×5, first 2 shown]
	v_cvt_i32_f32_e32 v41, v40
	v_add_f32_e32 v44, v44, v47
	v_cvt_i32_f32_e32 v45, v44
	v_cvt_i32_f32_e32 v37, v37
	v_cvt_f32_i32_dpp v41, v41 row_shl:4 row_mask:0xf bank_mask:0xf bound_ctrl:1
	v_cvt_i32_f32_e32 v38, v38
	v_cvt_f32_i32_dpp v45, v45 row_shl:4 row_mask:0xf bank_mask:0xf bound_ctrl:1
	v_cvt_i32_f32_e32 v39, v39
	v_add_f32_e32 v40, v40, v41
	v_cvt_i32_f32_e32 v41, v40
	v_add_f32_e32 v42, v44, v45
	v_cvt_i32_f32_e32 v43, v42
	v_cvt_f32_i32_dpp v37, v37 row_shl:1 row_mask:0xf bank_mask:0xf bound_ctrl:1
	v_cvt_f32_i32_dpp v38, v38 row_shl:2 row_mask:0xf bank_mask:0xf bound_ctrl:1
	;; [unrolled: 1-line block ×5, first 2 shown]
	v_add_f32_e32 v36, v36, v37
	v_add_f32_e32 v36, v36, v38
	;; [unrolled: 1-line block ×4, first 2 shown]
	v_cvt_i32_f32_e32 v40, v40
	v_cvt_i32_f32_e32 v36, v37
	v_add_f32_e32 v42, v42, v43
	v_cvt_i32_f32_e32 v42, v42
	v_cvt_i32_f32_e32 v33, v33
	;; [unrolled: 1-line block ×3, first 2 shown]
	v_cvt_f32_i32_dpp v39, v40 row_shr:15 row_mask:0xf bank_mask:0xf bound_ctrl:1
	v_cvt_f32_i32_dpp v40, v36 row_shl:4 row_mask:0xf bank_mask:0xf bound_ctrl:1
	v_cvt_i32_f32_e32 v35, v35
	v_cvt_f32_i32_dpp v42, v42 row_shr:15 row_mask:0xf bank_mask:0xf bound_ctrl:1
	v_cvt_f32_i32_dpp v33, v33 row_shl:1 row_mask:0xf bank_mask:0xf bound_ctrl:1
	v_cvt_f32_i32_dpp v34, v34 row_shl:2 row_mask:0xf bank_mask:0xf bound_ctrl:1
	v_add_f32_e32 v37, v37, v40
	v_cvt_f32_i32_dpp v35, v35 row_shl:3 row_mask:0xf bank_mask:0xf bound_ctrl:1
	v_cvt_i32_f32_e32 v40, v37
	v_cvt_i32_f32_e32 v41, v42
	v_add_f32_e32 v32, v32, v33
	v_add_f32_e32 v32, v32, v34
	;; [unrolled: 1-line block ×3, first 2 shown]
	v_cvt_i32_f32_e32 v29, v29
	v_cvt_f32_i32_dpp v40, v40 row_shl:8 row_mask:0xf bank_mask:0xf bound_ctrl:1
	v_cvt_i32_f32_e32 v32, v34
	v_cvt_i32_f32_e32 v30, v30
	v_cvt_f32_i32_dpp v38, v41 row_bcast:15 row_mask:0xf bank_mask:0xf bound_ctrl:1
	v_cvt_i32_f32_e32 v41, v39
	v_cvt_i32_f32_e32 v31, v31
	v_cvt_f32_i32_dpp v29, v29 row_shl:1 row_mask:0xf bank_mask:0xf bound_ctrl:1
	v_add_f32_e32 v33, v37, v40
	v_cvt_f32_i32_dpp v40, v32 row_shl:4 row_mask:0xf bank_mask:0xf bound_ctrl:1
	v_cvt_f32_i32_dpp v30, v30 row_shl:2 row_mask:0xf bank_mask:0xf bound_ctrl:1
	v_cvt_f32_i32_dpp v35, v41 row_bcast:15 row_mask:0xf bank_mask:0xf bound_ctrl:1
	v_cvt_i32_f32_e32 v37, v33
	v_cvt_f32_i32_dpp v31, v31 row_shl:3 row_mask:0xf bank_mask:0xf bound_ctrl:1
	v_add_f32_e32 v28, v28, v29
	v_add_f32_e32 v34, v34, v40
	;; [unrolled: 1-line block ×4, first 2 shown]
	v_cvt_f32_i32_dpp v35, v37 row_shr:15 row_mask:0xf bank_mask:0xf bound_ctrl:1
	v_cvt_i32_f32_e32 v37, v34
	v_add_f32_e32 v28, v28, v31
	v_cvt_i32_f32_e32 v29, v28
	v_cvt_i32_f32_e32 v30, v35
	v_cvt_f32_i32_dpp v37, v37 row_shl:8 row_mask:0xf bank_mask:0xf bound_ctrl:1
	v_cvt_i32_f32_e32 v25, v25
	v_cvt_f32_i32_dpp v29, v29 row_shl:4 row_mask:0xf bank_mask:0xf bound_ctrl:1
	v_cvt_i32_f32_e32 v26, v26
	v_add_f32_e32 v31, v34, v37
	v_cvt_i32_f32_e32 v31, v31
	v_cvt_f32_i32_dpp v30, v30 row_bcast:15 row_mask:0xf bank_mask:0xf bound_ctrl:1
	v_add_f32_e32 v37, v28, v29
	v_cvt_i32_f32_e32 v27, v27
	v_cvt_i32_f32_e32 v29, v37
	v_cvt_f32_i32_dpp v25, v25 row_shl:1 row_mask:0xf bank_mask:0xf bound_ctrl:1
	v_add_f32_e32 v36, v42, v38
	v_cvt_f32_i32_dpp v26, v26 row_shl:2 row_mask:0xf bank_mask:0xf bound_ctrl:1
	v_cvt_i32_f32_e32 v38, v36
	v_cvt_f32_i32_dpp v31, v31 row_shr:15 row_mask:0xf bank_mask:0xf bound_ctrl:1
	v_add_f32_e32 v28, v35, v30
	v_cvt_f32_i32_dpp v27, v27 row_shl:3 row_mask:0xf bank_mask:0xf bound_ctrl:1
	v_cvt_i32_f32_e32 v35, v28
	v_cvt_f32_i32_dpp v39, v29 row_shl:8 row_mask:0xf bank_mask:0xf bound_ctrl:1
	v_add_f32_e32 v24, v24, v25
	v_cvt_i32_f32_e32 v21, v21
	v_add_f32_e32 v24, v24, v26
	v_cvt_i32_f32_e32 v22, v22
	v_mov_b32_dpp v33, v38 row_bcast:31 row_mask:0xf bank_mask:0xf bound_ctrl:1
	v_cvt_i32_f32_e32 v34, v32
	v_cvt_i32_f32_e32 v38, v31
	v_add_f32_e32 v25, v24, v27
	v_cvt_i32_f32_e32 v23, v23
	v_mov_b32_dpp v29, v35 row_bcast:31 row_mask:0xf bank_mask:0xf bound_ctrl:1
	v_add_f32_e32 v35, v37, v39
	v_cvt_i32_f32_e32 v26, v25
	v_cvt_i32_f32_e32 v35, v35
	v_cvt_f32_i32_dpp v21, v21 row_shl:1 row_mask:0xf bank_mask:0xf bound_ctrl:1
	v_cvt_f32_i32_dpp v22, v22 row_shl:2 row_mask:0xf bank_mask:0xf bound_ctrl:1
	v_mov_b32_dpp v30, v34 row_bcast:31 row_mask:0xf bank_mask:0xf bound_ctrl:1
	v_cvt_f32_i32_dpp v34, v38 row_bcast:15 row_mask:0xf bank_mask:0xf bound_ctrl:1
	v_cvt_f32_i32_dpp v23, v23 row_shl:3 row_mask:0xf bank_mask:0xf bound_ctrl:1
	v_cvt_f32_i32_dpp v26, v26 row_shl:4 row_mask:0xf bank_mask:0xf bound_ctrl:1
	v_cvt_f32_i32_dpp v35, v35 row_shr:15 row_mask:0xf bank_mask:0xf bound_ctrl:1
	v_add_f32_e32 v20, v20, v21
	v_add_f32_e32 v20, v20, v22
	;; [unrolled: 1-line block ×4, first 2 shown]
	v_cvt_i32_f32_e32 v27, v24
	v_add_f32_e32 v25, v25, v26
	v_cvt_i32_f32_e32 v20, v22
	v_cvt_i32_f32_e32 v31, v35
	v_cvt_i32_f32_e32 v26, v25
	v_mov_b32_dpp v21, v27 row_bcast:31 row_mask:0xf bank_mask:0xf bound_ctrl:1
	v_cvt_f32_i32_dpp v27, v20 row_shl:4 row_mask:0xf bank_mask:0xf bound_ctrl:1
	v_cvt_f32_i32_dpp v23, v31 row_bcast:15 row_mask:0xf bank_mask:0xf bound_ctrl:1
	v_cvt_f32_i32_dpp v26, v26 row_shl:8 row_mask:0xf bank_mask:0xf bound_ctrl:1
	v_cvt_i32_f32_e32 v17, v17
	v_add_f32_e32 v22, v22, v27
	v_cvt_i32_f32_e32 v18, v18
	v_add_f32_e32 v20, v35, v23
	v_add_f32_e32 v23, v25, v26
	v_cvt_i32_f32_e32 v19, v19
	v_cvt_i32_f32_e32 v25, v22
	v_cvt_f32_i32_dpp v17, v17 row_shl:1 row_mask:0xf bank_mask:0xf bound_ctrl:1
	v_cvt_f32_i32_dpp v18, v18 row_shl:2 row_mask:0xf bank_mask:0xf bound_ctrl:1
	;; [unrolled: 1-line block ×4, first 2 shown]
	v_add_f32_e32 v16, v16, v17
	v_add_f32_e32 v16, v16, v18
	;; [unrolled: 1-line block ×4, first 2 shown]
	v_cvt_i32_f32_e32 v17, v16
	v_cvt_i32_f32_e32 v19, v19
	;; [unrolled: 1-line block ×7, first 2 shown]
	v_cvt_f32_i32_dpp v17, v17 row_shl:4 row_mask:0xf bank_mask:0xf bound_ctrl:1
	v_cvt_i32_f32_e32 v22, v20
	v_cvt_f32_i32_dpp v19, v19 row_shr:15 row_mask:0xf bank_mask:0xf bound_ctrl:1
	v_cvt_f32_i32_dpp v1, v1 row_shl:1 row_mask:0xf bank_mask:0xf bound_ctrl:1
	v_cvt_f32_i32_dpp v13, v13 row_shl:1 row_mask:0xf bank_mask:0xf bound_ctrl:1
	v_cvt_i32_f32_e32 v9, v9
	v_cvt_f32_i32_dpp v2, v2 row_shl:2 row_mask:0xf bank_mask:0xf bound_ctrl:1
	v_cvt_i32_f32_e32 v3, v3
	;; [unrolled: 2-line block ×4, first 2 shown]
	v_add_f32_e32 v25, v16, v17
	v_mov_b32_dpp v17, v22 row_bcast:31 row_mask:0xf bank_mask:0xf bound_ctrl:1
	v_cvt_i32_f32_e32 v22, v19
	v_add_f32_e32 v0, v0, v1
	v_add_f32_e32 v12, v12, v13
	v_cvt_f32_i32_dpp v9, v9 row_shl:1 row_mask:0xf bank_mask:0xf bound_ctrl:1
	v_add_f32_e32 v0, v0, v2
	v_cvt_f32_i32_dpp v1, v3 row_shl:3 row_mask:0xf bank_mask:0xf bound_ctrl:1
	v_cvt_i32_f32_e32 v2, v5
	v_add_f32_e32 v12, v12, v14
	v_cvt_f32_i32_dpp v10, v10 row_shl:2 row_mask:0xf bank_mask:0xf bound_ctrl:1
	v_cvt_i32_f32_e32 v3, v6
	;; [unrolled: 3-line block ×3, first 2 shown]
	v_cvt_f32_i32_dpp v22, v22 row_bcast:15 row_mask:0xf bank_mask:0xf bound_ctrl:1
	v_cvt_i32_f32_e32 v12, v14
	v_add_f32_e32 v8, v8, v9
	v_add_f32_e32 v0, v0, v1
	v_cvt_f32_i32_dpp v1, v2 row_shl:1 row_mask:0xf bank_mask:0xf bound_ctrl:1
	v_add_f32_e32 v8, v8, v10
	v_cvt_f32_i32_dpp v2, v3 row_shl:2 row_mask:0xf bank_mask:0xf bound_ctrl:1
	;; [unrolled: 2-line block ×4, first 2 shown]
	v_cvt_i32_f32_e32 v11, v9
	v_add_f32_e32 v1, v4, v1
	v_add_f32_e32 v1, v1, v2
	;; [unrolled: 1-line block ×4, first 2 shown]
	v_cvt_f32_i32_dpp v11, v11 row_shl:4 row_mask:0xf bank_mask:0xf bound_ctrl:1
	v_cvt_i32_f32_e32 v5, v0
	v_cvt_i32_f32_e32 v2, v1
	;; [unrolled: 1-line block ×4, first 2 shown]
	v_add_f32_e32 v9, v9, v11
	v_cvt_f32_i32_dpp v4, v5 row_shl:4 row_mask:0xf bank_mask:0xf bound_ctrl:1
	v_cvt_f32_i32_dpp v2, v2 row_shl:4 row_mask:0xf bank_mask:0xf bound_ctrl:1
	v_cvt_f32_i32_dpp v18, v23 row_shr:15 row_mask:0xf bank_mask:0xf bound_ctrl:1
	v_cvt_f32_i32_dpp v19, v19 row_shl:8 row_mask:0xf bank_mask:0xf bound_ctrl:1
	v_cvt_i32_f32_e32 v11, v9
	v_add_f32_e32 v0, v0, v4
	v_add_f32_e32 v1, v1, v2
	v_cvt_i32_f32_e32 v23, v18
	v_cvt_i32_f32_e32 v16, v25
	v_add_f32_e32 v14, v14, v19
	v_cvt_f32_i32_dpp v3, v11 row_shl:8 row_mask:0xf bank_mask:0xf bound_ctrl:1
	v_cvt_i32_f32_e32 v4, v0
	v_cvt_i32_f32_e32 v2, v1
	;; [unrolled: 1-line block ×3, first 2 shown]
	v_cvt_f32_i32_dpp v23, v23 row_bcast:15 row_mask:0xf bank_mask:0xf bound_ctrl:1
	v_cvt_f32_i32_dpp v26, v16 row_shl:8 row_mask:0xf bank_mask:0xf bound_ctrl:1
	v_add_f32_e32 v3, v9, v3
	v_cvt_f32_i32_dpp v4, v4 row_shl:8 row_mask:0xf bank_mask:0xf bound_ctrl:1
	v_cvt_f32_i32_dpp v2, v2 row_shl:8 row_mask:0xf bank_mask:0xf bound_ctrl:1
	v_cvt_f32_i32_dpp v5, v14 row_shr:15 row_mask:0xf bank_mask:0xf bound_ctrl:1
	v_cvt_i32_f32_e32 v3, v3
	v_add_f32_e32 v16, v18, v23
	v_add_f32_e32 v23, v25, v26
	;; [unrolled: 1-line block ×4, first 2 shown]
	v_cvt_i32_f32_e32 v23, v23
	v_cvt_i32_f32_e32 v6, v5
	v_cvt_f32_i32_dpp v3, v3 row_shr:15 row_mask:0xf bank_mask:0xf bound_ctrl:1
	v_cvt_i32_f32_e32 v0, v0
	v_cvt_i32_f32_e32 v1, v1
	v_cvt_f32_i32_dpp v23, v23 row_shr:15 row_mask:0xf bank_mask:0xf bound_ctrl:1
	v_cvt_f32_i32_dpp v2, v6 row_bcast:15 row_mask:0xf bank_mask:0xf bound_ctrl:1
	v_cvt_f32_i32_dpp v0, v0 row_shr:15 row_mask:0xf bank_mask:0xf bound_ctrl:1
	v_cvt_i32_f32_e32 v4, v3
	v_cvt_f32_i32_dpp v1, v1 row_shr:15 row_mask:0xf bank_mask:0xf bound_ctrl:1
	v_cvt_i32_f32_e32 v18, v16
	v_cvt_i32_f32_e32 v25, v23
	v_add_f32_e32 v9, v5, v2
	v_cvt_i32_f32_e32 v2, v0
	v_cvt_f32_i32_dpp v4, v4 row_bcast:15 row_mask:0xf bank_mask:0xf bound_ctrl:1
	v_cvt_i32_f32_e32 v5, v1
	v_mov_b32_dpp v15, v18 row_bcast:31 row_mask:0xf bank_mask:0xf bound_ctrl:1
	v_cvt_f32_i32_dpp v18, v25 row_bcast:15 row_mask:0xf bank_mask:0xf bound_ctrl:1
	v_cvt_f32_i32_dpp v2, v2 row_bcast:15 row_mask:0xf bank_mask:0xf bound_ctrl:1
	v_add_f32_e32 v6, v3, v4
	v_cvt_f32_i32_dpp v3, v5 row_bcast:15 row_mask:0xf bank_mask:0xf bound_ctrl:1
	v_add_f32_e32 v12, v23, v18
	v_add_f32_e32 v4, v0, v2
	v_cvt_i32_f32_e32 v22, v13
	v_add_f32_e32 v2, v1, v3
	v_cvt_i32_f32_e32 v18, v12
	v_cvt_i32_f32_e32 v7, v9
	;; [unrolled: 1-line block ×5, first 2 shown]
	v_mov_b32_dpp v10, v22 row_bcast:31 row_mask:0xf bank_mask:0xf bound_ctrl:1
	v_mov_b32_dpp v8, v18 row_bcast:31 row_mask:0xf bank_mask:0xf bound_ctrl:1
	;; [unrolled: 1-line block ×6, first 2 shown]
	s_and_saveexec_b64 s[20:21], s[0:1]
	s_cbranch_execz .LBB269_7
; %bb.16:                               ;   in Loop: Header=BB269_8 Depth=1
	s_andn2_b64 vcc, exec, s[18:19]
	v_mov_b32_e32 v0, 0
	v_mov_b32_e32 v35, 0
	;; [unrolled: 1-line block ×12, first 2 shown]
	s_cbranch_vccnz .LBB269_18
; %bb.17:                               ;   in Loop: Header=BB269_8 Depth=1
	v_mul_hi_u32 v0, v96, v117
	v_mul_lo_u32 v0, v0, s8
	v_sub_u32_e32 v0, v96, v0
	v_subrev_u32_e32 v1, s8, v0
	v_cmp_le_u32_e32 vcc, s8, v0
	v_mov_b32_e32 v23, v99
	v_mov_b32_e32 v41, v99
	v_cndmask_b32_e32 v0, v0, v1, vcc
	v_subrev_u32_e32 v1, s8, v0
	v_cmp_le_u32_e32 vcc, s8, v0
	s_nop 1
	v_cndmask_b32_e32 v98, v0, v1, vcc
	v_add_u32_e32 v0, 1, v96
	v_mul_hi_u32 v1, v0, v117
	v_mul_lo_u32 v1, v1, s8
	v_sub_u32_e32 v0, v0, v1
	v_subrev_u32_e32 v1, s8, v0
	v_cmp_le_u32_e32 vcc, s8, v0
	v_lshl_add_u64 v[18:19], v[98:99], 1, s[10:11]
	s_nop 0
	v_cndmask_b32_e32 v0, v0, v1, vcc
	v_subrev_u32_e32 v1, s8, v0
	v_cmp_le_u32_e32 vcc, s8, v0
	s_nop 1
	v_cndmask_b32_e32 v22, v0, v1, vcc
	v_mul_hi_u32 v0, v100, v117
	v_mul_lo_u32 v0, v0, s8
	v_sub_u32_e32 v0, v100, v0
	v_subrev_u32_e32 v1, s8, v0
	v_cmp_le_u32_e32 vcc, s8, v0
	v_lshl_add_u64 v[38:39], v[22:23], 1, s[10:11]
	s_nop 0
	v_cndmask_b32_e32 v0, v0, v1, vcc
	v_subrev_u32_e32 v1, s8, v0
	v_cmp_le_u32_e32 vcc, s8, v0
	s_nop 1
	v_cndmask_b32_e32 v40, v0, v1, vcc
	v_add_u32_e32 v0, s27, v98
	v_mov_b32_e32 v1, v99
	v_lshl_add_u64 v[44:45], v[0:1], 1, s[10:11]
	v_add_u32_e32 v0, s27, v22
	v_lshl_add_u64 v[46:47], v[0:1], 1, s[10:11]
	v_add_u32_e32 v0, s27, v40
	;; [unrolled: 2-line block ×4, first 2 shown]
	v_lshl_add_u64 v[42:43], v[40:41], 1, s[10:11]
	v_lshl_add_u64 v[52:53], v[0:1], 1, s[10:11]
	global_load_ushort v0, v[18:19], off
	global_load_ushort v35, v[38:39], off
	;; [unrolled: 1-line block ×8, first 2 shown]
	v_add_u32_e32 v98, s29, v98
	v_add_u32_e32 v18, s28, v40
	v_mov_b32_e32 v19, v99
	v_lshl_add_u64 v[42:43], v[98:99], 1, s[10:11]
	v_add_u32_e32 v98, s29, v22
	v_lshl_add_u64 v[38:39], v[18:19], 1, s[10:11]
	v_lshl_add_u64 v[44:45], v[98:99], 1, s[10:11]
	v_add_u32_e32 v98, s29, v40
	v_lshl_add_u64 v[40:41], v[98:99], 1, s[10:11]
	global_load_ushort v22, v[38:39], off
	global_load_ushort v19, v[42:43], off
	;; [unrolled: 1-line block ×4, first 2 shown]
.LBB269_18:                             ;   in Loop: Header=BB269_8 Depth=1
	v_cvt_f32_i32_e32 v1, v33
	s_waitcnt vmcnt(11)
	v_lshlrev_b32_e32 v0, 16, v0
                                        ; implicit-def: $vgpr33
	v_add_f32_e32 v1, v36, v1
	v_add_f32_e32 v0, v1, v0
	v_and_b32_e32 v1, 0x7f800000, v0
	v_cmp_ne_u32_e32 vcc, s31, v1
	s_and_saveexec_b64 s[22:23], vcc
	s_xor_b64 s[22:23], exec, s[22:23]
; %bb.19:                               ;   in Loop: Header=BB269_8 Depth=1
	v_bfe_u32 v1, v0, 16, 1
	v_add3_u32 v33, v0, v1, s33
                                        ; implicit-def: $vgpr0
; %bb.20:                               ;   in Loop: Header=BB269_8 Depth=1
	s_andn2_saveexec_b64 s[22:23], s[22:23]
; %bb.21:                               ;   in Loop: Header=BB269_8 Depth=1
	v_or_b32_e32 v1, 0x10000, v0
	v_cmp_eq_u32_sdwa vcc, v0, v99 src0_sel:WORD_0 src1_sel:DWORD
	s_nop 1
	v_cndmask_b32_e32 v33, v1, v0, vcc
; %bb.22:                               ;   in Loop: Header=BB269_8 Depth=1
	s_or_b64 exec, exec, s[22:23]
	v_cvt_f32_i32_e32 v30, v30
	v_mov_b32_e32 v97, v99
	s_waitcnt lgkmcnt(0)
	v_lshl_add_u64 v[0:1], v[96:97], 1, s[14:15]
	global_store_short_d16_hi v[0:1], v33, off
	v_add_f32_e32 v30, v32, v30
	s_waitcnt vmcnt(11)
	v_lshlrev_b32_e32 v32, 16, v35
	v_add_f32_e32 v30, v30, v32
	v_and_b32_e32 v32, 0x7f800000, v30
	v_cmp_ne_u32_e32 vcc, s31, v32
                                        ; implicit-def: $vgpr32
	s_and_saveexec_b64 s[22:23], vcc
	s_xor_b64 s[22:23], exec, s[22:23]
; %bb.23:                               ;   in Loop: Header=BB269_8 Depth=1
	v_bfe_u32 v32, v30, 16, 1
	v_add3_u32 v32, v30, v32, s33
                                        ; implicit-def: $vgpr30
; %bb.24:                               ;   in Loop: Header=BB269_8 Depth=1
	s_andn2_saveexec_b64 s[22:23], s[22:23]
; %bb.25:                               ;   in Loop: Header=BB269_8 Depth=1
	v_or_b32_e32 v32, 0x10000, v30
	v_cmp_eq_u32_sdwa vcc, v30, v99 src0_sel:WORD_0 src1_sel:DWORD
	s_nop 1
	v_cndmask_b32_e32 v32, v32, v30, vcc
; %bb.26:                               ;   in Loop: Header=BB269_8 Depth=1
	s_or_b64 exec, exec, s[22:23]
	v_cvt_f32_i32_e32 v29, v29
	global_store_short_d16_hi v[0:1], v32, off offset:2
	s_waitcnt vmcnt(11)
	v_lshlrev_b32_e32 v1, 16, v34
	v_add_f32_e32 v0, v28, v29
	v_add_f32_e32 v1, v0, v1
	v_and_b32_e32 v0, 0x7f800000, v1
	v_cmp_ne_u32_e32 vcc, s31, v0
                                        ; implicit-def: $vgpr0
	s_and_saveexec_b64 s[22:23], vcc
	s_xor_b64 s[22:23], exec, s[22:23]
; %bb.27:                               ;   in Loop: Header=BB269_8 Depth=1
	v_bfe_u32 v0, v1, 16, 1
	v_add3_u32 v0, v1, v0, s33
                                        ; implicit-def: $vgpr1
; %bb.28:                               ;   in Loop: Header=BB269_8 Depth=1
	s_andn2_saveexec_b64 s[22:23], s[22:23]
; %bb.29:                               ;   in Loop: Header=BB269_8 Depth=1
	v_or_b32_e32 v0, 0x10000, v1
	v_cmp_eq_u32_sdwa vcc, v1, v99 src0_sel:WORD_0 src1_sel:DWORD
	s_nop 1
	v_cndmask_b32_e32 v0, v0, v1, vcc
; %bb.30:                               ;   in Loop: Header=BB269_8 Depth=1
	s_or_b64 exec, exec, s[22:23]
	v_cvt_f32_i32_e32 v1, v21
	v_mov_b32_e32 v101, v99
	v_lshl_add_u64 v[28:29], v[100:101], 1, s[14:15]
	global_store_short_d16_hi v[28:29], v0, off
	v_add_f32_e32 v0, v24, v1
	s_waitcnt vmcnt(11)
	v_lshlrev_b32_e32 v1, 16, v31
	v_add_f32_e32 v1, v0, v1
	v_and_b32_e32 v0, 0x7f800000, v1
	v_cmp_ne_u32_e32 vcc, s31, v0
                                        ; implicit-def: $vgpr0
	s_and_saveexec_b64 s[22:23], vcc
	s_xor_b64 s[22:23], exec, s[22:23]
; %bb.31:                               ;   in Loop: Header=BB269_8 Depth=1
	v_bfe_u32 v0, v1, 16, 1
	v_add3_u32 v0, v1, v0, s33
                                        ; implicit-def: $vgpr1
; %bb.32:                               ;   in Loop: Header=BB269_8 Depth=1
	s_andn2_saveexec_b64 s[22:23], s[22:23]
; %bb.33:                               ;   in Loop: Header=BB269_8 Depth=1
	v_or_b32_e32 v0, 0x10000, v1
	v_cmp_eq_u32_sdwa vcc, v1, v99 src0_sel:WORD_0 src1_sel:DWORD
	s_nop 1
	v_cndmask_b32_e32 v0, v0, v1, vcc
; %bb.34:                               ;   in Loop: Header=BB269_8 Depth=1
	s_or_b64 exec, exec, s[22:23]
	v_cvt_f32_i32_e32 v1, v17
	v_add_u32_e32 v98, s7, v96
	v_lshl_add_u64 v[28:29], v[98:99], 1, s[14:15]
	global_store_short_d16_hi v[28:29], v0, off
	v_add_f32_e32 v0, v20, v1
	s_waitcnt vmcnt(11)
	v_lshlrev_b32_e32 v1, 16, v27
	v_add_f32_e32 v1, v0, v1
	v_and_b32_e32 v0, 0x7f800000, v1
	v_cmp_ne_u32_e32 vcc, s31, v0
                                        ; implicit-def: $vgpr0
	s_and_saveexec_b64 s[22:23], vcc
	s_xor_b64 s[22:23], exec, s[22:23]
; %bb.35:                               ;   in Loop: Header=BB269_8 Depth=1
	v_bfe_u32 v0, v1, 16, 1
	v_add3_u32 v0, v1, v0, s33
                                        ; implicit-def: $vgpr1
; %bb.36:                               ;   in Loop: Header=BB269_8 Depth=1
	s_andn2_saveexec_b64 s[22:23], s[22:23]
; %bb.37:                               ;   in Loop: Header=BB269_8 Depth=1
	v_or_b32_e32 v0, 0x10000, v1
	v_cmp_eq_u32_sdwa vcc, v1, v99 src0_sel:WORD_0 src1_sel:DWORD
	s_nop 1
	v_cndmask_b32_e32 v0, v0, v1, vcc
; %bb.38:                               ;   in Loop: Header=BB269_8 Depth=1
	s_or_b64 exec, exec, s[22:23]
	v_cvt_f32_i32_e32 v1, v15
	v_add_u32_e32 v20, 1, v98
	v_mov_b32_e32 v21, v99
	v_lshl_add_u64 v[20:21], v[20:21], 1, s[14:15]
	v_add_f32_e32 v1, v16, v1
	global_store_short_d16_hi v[20:21], v0, off
	s_waitcnt vmcnt(11)
	v_lshlrev_b32_e32 v0, 16, v26
	v_add_f32_e32 v1, v1, v0
	v_and_b32_e32 v0, 0x7f800000, v1
	v_cmp_ne_u32_e32 vcc, s31, v0
                                        ; implicit-def: $vgpr0
	s_and_saveexec_b64 s[22:23], vcc
	s_xor_b64 s[22:23], exec, s[22:23]
; %bb.39:                               ;   in Loop: Header=BB269_8 Depth=1
	v_bfe_u32 v0, v1, 16, 1
	v_add3_u32 v0, v1, v0, s33
                                        ; implicit-def: $vgpr1
; %bb.40:                               ;   in Loop: Header=BB269_8 Depth=1
	s_andn2_saveexec_b64 s[22:23], s[22:23]
; %bb.41:                               ;   in Loop: Header=BB269_8 Depth=1
	v_or_b32_e32 v0, 0x10000, v1
	v_cmp_eq_u32_sdwa vcc, v1, v99 src0_sel:WORD_0 src1_sel:DWORD
	s_nop 1
	v_cndmask_b32_e32 v0, v0, v1, vcc
; %bb.42:                               ;   in Loop: Header=BB269_8 Depth=1
	s_or_b64 exec, exec, s[22:23]
	v_cvt_f32_i32_e32 v1, v10
	v_add_u32_e32 v16, 2, v98
	v_mov_b32_e32 v17, v99
	v_lshl_add_u64 v[16:17], v[16:17], 1, s[14:15]
	v_add_f32_e32 v1, v13, v1
	global_store_short_d16_hi v[16:17], v0, off
	s_waitcnt vmcnt(11)
	v_lshlrev_b32_e32 v0, 16, v25
	v_add_f32_e32 v1, v1, v0
	v_and_b32_e32 v0, 0x7f800000, v1
	v_cmp_ne_u32_e32 vcc, s31, v0
                                        ; implicit-def: $vgpr0
	s_and_saveexec_b64 s[22:23], vcc
	s_xor_b64 s[22:23], exec, s[22:23]
; %bb.43:                               ;   in Loop: Header=BB269_8 Depth=1
	v_bfe_u32 v0, v1, 16, 1
	v_add3_u32 v0, v1, v0, s33
                                        ; implicit-def: $vgpr1
; %bb.44:                               ;   in Loop: Header=BB269_8 Depth=1
	s_andn2_saveexec_b64 s[22:23], s[22:23]
; %bb.45:                               ;   in Loop: Header=BB269_8 Depth=1
	v_or_b32_e32 v0, 0x10000, v1
	v_cmp_eq_u32_sdwa vcc, v1, v99 src0_sel:WORD_0 src1_sel:DWORD
	s_nop 1
	v_cndmask_b32_e32 v0, v0, v1, vcc
; %bb.46:                               ;   in Loop: Header=BB269_8 Depth=1
	s_or_b64 exec, exec, s[22:23]
	v_cvt_f32_i32_e32 v1, v8
	v_add_u32_e32 v98, s7, v98
	v_lshl_add_u64 v[16:17], v[98:99], 1, s[14:15]
	global_store_short_d16_hi v[16:17], v0, off
	v_add_f32_e32 v0, v12, v1
	s_waitcnt vmcnt(11)
	v_lshlrev_b32_e32 v1, 16, v23
	v_add_f32_e32 v1, v0, v1
	v_and_b32_e32 v0, 0x7f800000, v1
	v_cmp_ne_u32_e32 vcc, s31, v0
                                        ; implicit-def: $vgpr0
	s_and_saveexec_b64 s[22:23], vcc
	s_xor_b64 s[22:23], exec, s[22:23]
; %bb.47:                               ;   in Loop: Header=BB269_8 Depth=1
	v_bfe_u32 v0, v1, 16, 1
	v_add3_u32 v0, v1, v0, s33
                                        ; implicit-def: $vgpr1
; %bb.48:                               ;   in Loop: Header=BB269_8 Depth=1
	s_andn2_saveexec_b64 s[22:23], s[22:23]
; %bb.49:                               ;   in Loop: Header=BB269_8 Depth=1
	v_or_b32_e32 v0, 0x10000, v1
	v_cmp_eq_u32_sdwa vcc, v1, v99 src0_sel:WORD_0 src1_sel:DWORD
	s_nop 1
	v_cndmask_b32_e32 v0, v0, v1, vcc
; %bb.50:                               ;   in Loop: Header=BB269_8 Depth=1
	s_or_b64 exec, exec, s[22:23]
	v_cvt_f32_i32_e32 v1, v14
	v_add_u32_e32 v12, 1, v98
	v_mov_b32_e32 v13, v99
	v_lshl_add_u64 v[12:13], v[12:13], 1, s[14:15]
	v_add_f32_e32 v1, v9, v1
	global_store_short_d16_hi v[12:13], v0, off
	s_waitcnt vmcnt(11)
	v_lshlrev_b32_e32 v0, 16, v22
	v_add_f32_e32 v1, v1, v0
	v_and_b32_e32 v0, 0x7f800000, v1
	v_cmp_ne_u32_e32 vcc, s31, v0
                                        ; implicit-def: $vgpr0
	s_and_saveexec_b64 s[22:23], vcc
	s_xor_b64 s[22:23], exec, s[22:23]
; %bb.51:                               ;   in Loop: Header=BB269_8 Depth=1
	v_bfe_u32 v0, v1, 16, 1
	v_add3_u32 v0, v1, v0, s33
                                        ; implicit-def: $vgpr1
; %bb.52:                               ;   in Loop: Header=BB269_8 Depth=1
	s_andn2_saveexec_b64 s[22:23], s[22:23]
; %bb.53:                               ;   in Loop: Header=BB269_8 Depth=1
	v_or_b32_e32 v0, 0x10000, v1
	v_cmp_eq_u32_sdwa vcc, v1, v99 src0_sel:WORD_0 src1_sel:DWORD
	s_nop 1
	v_cndmask_b32_e32 v0, v0, v1, vcc
; %bb.54:                               ;   in Loop: Header=BB269_8 Depth=1
	s_or_b64 exec, exec, s[22:23]
	v_cvt_f32_i32_e32 v1, v7
	v_add_u32_e32 v8, 2, v98
	v_mov_b32_e32 v9, v99
	v_lshl_add_u64 v[8:9], v[8:9], 1, s[14:15]
	v_add_f32_e32 v1, v6, v1
	global_store_short_d16_hi v[8:9], v0, off
	s_waitcnt vmcnt(11)
	v_lshlrev_b32_e32 v0, 16, v19
	v_add_f32_e32 v1, v1, v0
	v_and_b32_e32 v0, 0x7f800000, v1
	v_cmp_ne_u32_e32 vcc, s31, v0
                                        ; implicit-def: $vgpr0
	s_and_saveexec_b64 s[22:23], vcc
	s_xor_b64 s[22:23], exec, s[22:23]
; %bb.55:                               ;   in Loop: Header=BB269_8 Depth=1
	v_bfe_u32 v0, v1, 16, 1
	v_add3_u32 v0, v1, v0, s33
                                        ; implicit-def: $vgpr1
; %bb.56:                               ;   in Loop: Header=BB269_8 Depth=1
	s_andn2_saveexec_b64 s[22:23], s[22:23]
; %bb.57:                               ;   in Loop: Header=BB269_8 Depth=1
	v_or_b32_e32 v0, 0x10000, v1
	v_cmp_eq_u32_sdwa vcc, v1, v99 src0_sel:WORD_0 src1_sel:DWORD
	s_nop 1
	v_cndmask_b32_e32 v0, v0, v1, vcc
; %bb.58:                               ;   in Loop: Header=BB269_8 Depth=1
	s_or_b64 exec, exec, s[22:23]
	v_cvt_f32_i32_e32 v1, v5
	v_add_u32_e32 v98, s7, v98
	v_lshl_add_u64 v[6:7], v[98:99], 1, s[14:15]
	global_store_short_d16_hi v[6:7], v0, off
	v_add_f32_e32 v0, v4, v1
	s_waitcnt vmcnt(11)
	v_lshlrev_b32_e32 v1, 16, v18
	v_add_f32_e32 v1, v0, v1
	v_and_b32_e32 v0, 0x7f800000, v1
	v_cmp_ne_u32_e32 vcc, s31, v0
                                        ; implicit-def: $vgpr0
	s_and_saveexec_b64 s[22:23], vcc
	s_xor_b64 s[22:23], exec, s[22:23]
; %bb.59:                               ;   in Loop: Header=BB269_8 Depth=1
	v_bfe_u32 v0, v1, 16, 1
	v_add3_u32 v0, v1, v0, s33
                                        ; implicit-def: $vgpr1
; %bb.60:                               ;   in Loop: Header=BB269_8 Depth=1
	s_andn2_saveexec_b64 s[22:23], s[22:23]
; %bb.61:                               ;   in Loop: Header=BB269_8 Depth=1
	v_or_b32_e32 v0, 0x10000, v1
	v_cmp_eq_u32_sdwa vcc, v1, v99 src0_sel:WORD_0 src1_sel:DWORD
	s_nop 1
	v_cndmask_b32_e32 v0, v0, v1, vcc
; %bb.62:                               ;   in Loop: Header=BB269_8 Depth=1
	s_or_b64 exec, exec, s[22:23]
	v_cvt_f32_i32_e32 v1, v3
	v_add_u32_e32 v4, 1, v98
	v_mov_b32_e32 v5, v99
	v_lshl_add_u64 v[4:5], v[4:5], 1, s[14:15]
	v_add_f32_e32 v1, v2, v1
	global_store_short_d16_hi v[4:5], v0, off
	s_waitcnt vmcnt(11)
	v_lshlrev_b32_e32 v0, 16, v11
	v_add_f32_e32 v1, v1, v0
	v_and_b32_e32 v0, 0x7f800000, v1
	v_cmp_ne_u32_e32 vcc, s31, v0
                                        ; implicit-def: $vgpr0
	s_and_saveexec_b64 s[22:23], vcc
	s_xor_b64 s[22:23], exec, s[22:23]
; %bb.63:                               ;   in Loop: Header=BB269_8 Depth=1
	v_bfe_u32 v0, v1, 16, 1
	v_add3_u32 v0, v1, v0, s33
                                        ; implicit-def: $vgpr1
; %bb.64:                               ;   in Loop: Header=BB269_8 Depth=1
	s_andn2_saveexec_b64 s[22:23], s[22:23]
	s_cbranch_execz .LBB269_6
; %bb.65:                               ;   in Loop: Header=BB269_8 Depth=1
	v_or_b32_e32 v0, 0x10000, v1
	v_cmp_eq_u32_sdwa vcc, v1, v99 src0_sel:WORD_0 src1_sel:DWORD
	s_nop 1
	v_cndmask_b32_e32 v0, v0, v1, vcc
	s_branch .LBB269_6
.LBB269_66:
	s_endpgm
	.section	.rodata,"a",@progbits
	.p2align	6, 0x0
	.amdhsa_kernel _Z16wvSplitK_hf_sml_I14__hip_bfloat16Li64ELi3ELi16ELi8ELi2ELi4EEviiiiiiPKT_S3_S3_PS1_ii
		.amdhsa_group_segment_fixed_size 65536
		.amdhsa_private_segment_fixed_size 0
		.amdhsa_kernarg_size 64
		.amdhsa_user_sgpr_count 2
		.amdhsa_user_sgpr_dispatch_ptr 0
		.amdhsa_user_sgpr_queue_ptr 0
		.amdhsa_user_sgpr_kernarg_segment_ptr 1
		.amdhsa_user_sgpr_dispatch_id 0
		.amdhsa_user_sgpr_kernarg_preload_length 0
		.amdhsa_user_sgpr_kernarg_preload_offset 0
		.amdhsa_user_sgpr_private_segment_size 0
		.amdhsa_uses_dynamic_stack 0
		.amdhsa_enable_private_segment 0
		.amdhsa_system_sgpr_workgroup_id_x 1
		.amdhsa_system_sgpr_workgroup_id_y 0
		.amdhsa_system_sgpr_workgroup_id_z 0
		.amdhsa_system_sgpr_workgroup_info 0
		.amdhsa_system_vgpr_workitem_id 1
		.amdhsa_next_free_vgpr 121
		.amdhsa_next_free_sgpr 35
		.amdhsa_accum_offset 124
		.amdhsa_reserve_vcc 1
		.amdhsa_float_round_mode_32 0
		.amdhsa_float_round_mode_16_64 0
		.amdhsa_float_denorm_mode_32 3
		.amdhsa_float_denorm_mode_16_64 3
		.amdhsa_dx10_clamp 1
		.amdhsa_ieee_mode 1
		.amdhsa_fp16_overflow 0
		.amdhsa_tg_split 0
		.amdhsa_exception_fp_ieee_invalid_op 0
		.amdhsa_exception_fp_denorm_src 0
		.amdhsa_exception_fp_ieee_div_zero 0
		.amdhsa_exception_fp_ieee_overflow 0
		.amdhsa_exception_fp_ieee_underflow 0
		.amdhsa_exception_fp_ieee_inexact 0
		.amdhsa_exception_int_div_zero 0
	.end_amdhsa_kernel
	.section	.text._Z16wvSplitK_hf_sml_I14__hip_bfloat16Li64ELi3ELi16ELi8ELi2ELi4EEviiiiiiPKT_S3_S3_PS1_ii,"axG",@progbits,_Z16wvSplitK_hf_sml_I14__hip_bfloat16Li64ELi3ELi16ELi8ELi2ELi4EEviiiiiiPKT_S3_S3_PS1_ii,comdat
.Lfunc_end269:
	.size	_Z16wvSplitK_hf_sml_I14__hip_bfloat16Li64ELi3ELi16ELi8ELi2ELi4EEviiiiiiPKT_S3_S3_PS1_ii, .Lfunc_end269-_Z16wvSplitK_hf_sml_I14__hip_bfloat16Li64ELi3ELi16ELi8ELi2ELi4EEviiiiiiPKT_S3_S3_PS1_ii
                                        ; -- End function
	.section	.AMDGPU.csdata,"",@progbits
; Kernel info:
; codeLenInByte = 5208
; NumSgprs: 41
; NumVgprs: 121
; NumAgprs: 0
; TotalNumVgprs: 121
; ScratchSize: 0
; MemoryBound: 0
; FloatMode: 240
; IeeeMode: 1
; LDSByteSize: 65536 bytes/workgroup (compile time only)
; SGPRBlocks: 5
; VGPRBlocks: 15
; NumSGPRsForWavesPerEU: 41
; NumVGPRsForWavesPerEU: 121
; AccumOffset: 124
; Occupancy: 4
; WaveLimiterHint : 0
; COMPUTE_PGM_RSRC2:SCRATCH_EN: 0
; COMPUTE_PGM_RSRC2:USER_SGPR: 2
; COMPUTE_PGM_RSRC2:TRAP_HANDLER: 0
; COMPUTE_PGM_RSRC2:TGID_X_EN: 1
; COMPUTE_PGM_RSRC2:TGID_Y_EN: 0
; COMPUTE_PGM_RSRC2:TGID_Z_EN: 0
; COMPUTE_PGM_RSRC2:TIDIG_COMP_CNT: 1
; COMPUTE_PGM_RSRC3_GFX90A:ACCUM_OFFSET: 30
; COMPUTE_PGM_RSRC3_GFX90A:TG_SPLIT: 0
	.section	.text._Z12wvSplitK_hf_I14__hip_bfloat16Li64ELi3ELi16ELi8ELi2ELi4EEviiiiiiPKT_S3_S3_PS1_ii,"axG",@progbits,_Z12wvSplitK_hf_I14__hip_bfloat16Li64ELi3ELi16ELi8ELi2ELi4EEviiiiiiPKT_S3_S3_PS1_ii,comdat
	.protected	_Z12wvSplitK_hf_I14__hip_bfloat16Li64ELi3ELi16ELi8ELi2ELi4EEviiiiiiPKT_S3_S3_PS1_ii ; -- Begin function _Z12wvSplitK_hf_I14__hip_bfloat16Li64ELi3ELi16ELi8ELi2ELi4EEviiiiiiPKT_S3_S3_PS1_ii
	.globl	_Z12wvSplitK_hf_I14__hip_bfloat16Li64ELi3ELi16ELi8ELi2ELi4EEviiiiiiPKT_S3_S3_PS1_ii
	.p2align	8
	.type	_Z12wvSplitK_hf_I14__hip_bfloat16Li64ELi3ELi16ELi8ELi2ELi4EEviiiiiiPKT_S3_S3_PS1_ii,@function
_Z12wvSplitK_hf_I14__hip_bfloat16Li64ELi3ELi16ELi8ELi2ELi4EEviiiiiiPKT_S3_S3_PS1_ii: ; @_Z12wvSplitK_hf_I14__hip_bfloat16Li64ELi3ELi16ELi8ELi2ELi4EEviiiiiiPKT_S3_S3_PS1_ii
; %bb.0:
	s_load_dwordx2 s[8:9], s[0:1], 0x38
	s_load_dwordx4 s[12:15], s[0:1], 0x0
	s_load_dwordx2 s[10:11], s[0:1], 0x10
	v_bfe_u32 v3, v0, 10, 10
	s_mov_b32 s4, 1
	s_waitcnt lgkmcnt(0)
	s_mul_i32 s2, s2, s8
	v_add_u32_e32 v1, s2, v3
	v_lshl_add_u32 v108, v1, 1, v1
	v_add_u32_e32 v1, 3, v108
	s_mov_b32 s6, s4
	v_cmp_gt_u32_e32 vcc, s15, v108
	v_cmp_le_u32_e64 s[2:3], s15, v1
	s_mov_b32 s5, s4
	v_mov_b32_e32 v106, s6
	s_and_b64 s[16:17], vcc, s[2:3]
	v_mov_b32_e32 v105, s5
	v_mov_b32_e32 v104, s4
	s_and_saveexec_b64 s[2:3], s[16:17]
	s_cbranch_execz .LBB270_6
; %bb.1:
	s_add_i32 s7, s15, -3
	v_mov_b32_e32 v106, s6
	v_cmp_ne_u32_e32 vcc, s7, v108
	v_mov_b32_e32 v105, s5
	v_mov_b32_e32 v104, s4
	s_and_saveexec_b64 s[16:17], vcc
	s_cbranch_execz .LBB270_5
; %bb.2:
	v_subrev_u32_e32 v1, s7, v108
	v_cmp_lt_u32_e32 vcc, 1, v1
	s_mov_b64 s[18:19], 0
	s_mov_b64 s[20:21], 0
	v_cndmask_b32_e32 v2, 1, v1, vcc
	s_mov_b32 s5, s4
	s_mov_b32 s6, s4
.LBB270_3:                              ; =>This Inner Loop Header: Depth=1
	s_cmp_lg_u32 s20, 2
	s_cselect_b32 s6, s6, 0
	s_cmp_lg_u32 s20, 1
	s_cselect_b32 s5, s5, 0
	s_cmp_lg_u32 s20, 0
	s_cselect_b32 s4, s4, 0
	s_add_u32 s20, s20, 1
	s_addc_u32 s21, s21, 0
	v_cmp_eq_u32_e32 vcc, s20, v2
	v_mov_b32_e32 v106, s6
	s_or_b64 s[18:19], vcc, s[18:19]
	v_mov_b32_e32 v105, s5
	v_mov_b32_e32 v104, s4
	s_andn2_b64 exec, exec, s[18:19]
	s_cbranch_execnz .LBB270_3
; %bb.4:
	s_or_b64 exec, exec, s[18:19]
	v_mov_b32_e32 v108, s7
.LBB270_5:
	s_or_b64 exec, exec, s[16:17]
.LBB270_6:
	s_or_b64 exec, exec, s[2:3]
	s_load_dwordx4 s[16:19], s[0:1], 0x20
	v_and_b32_e32 v2, 0x3ff, v0
	v_lshlrev_b32_e32 v110, 3, v2
	s_lshl_b32 s33, s14, 2
	v_lshl_add_u32 v4, v3, 9, v110
	s_min_u32 s20, s33, 0x8000
	v_cmp_gt_u32_e32 vcc, s20, v4
	s_and_saveexec_b64 s[2:3], vcc
	s_cbranch_execz .LBB270_9
; %bb.7:
	v_mov_b32_e32 v7, 0
	v_lshlrev_b32_e32 v6, 10, v3
	v_lshlrev_b32_e32 v8, 4, v2
	v_mov_b32_e32 v9, v7
	v_lshl_add_u64 v[0:1], v[6:7], 0, v[8:9]
	s_waitcnt lgkmcnt(0)
	v_lshl_add_u64 v[0:1], s[16:17], 0, v[0:1]
	v_add_u32_e32 v5, v6, v8
	s_mov_b64 s[4:5], 0
	s_mov_b64 s[6:7], 0x4000
.LBB270_8:                              ; =>This Inner Loop Header: Depth=1
	global_load_dwordx4 v[6:9], v[0:1], off
	v_add_u32_e32 v4, 0x2000, v4
	v_cmp_le_u32_e32 vcc, s20, v4
	v_lshl_add_u64 v[0:1], v[0:1], 0, s[6:7]
	s_or_b64 s[4:5], vcc, s[4:5]
	s_waitcnt vmcnt(0)
	ds_write_b128 v5, v[6:9]
	v_add_u32_e32 v5, 0x4000, v5
	s_andn2_b64 exec, exec, s[4:5]
	s_cbranch_execnz .LBB270_8
.LBB270_9:
	s_or_b64 exec, exec, s[2:3]
	v_cmp_gt_u32_e32 vcc, s8, v3
	v_cmp_gt_u32_e64 s[2:3], s15, v108
	s_and_b64 s[2:3], vcc, s[2:3]
	s_waitcnt lgkmcnt(0)
	s_barrier
	s_and_saveexec_b64 s[4:5], s[2:3]
	s_cbranch_execz .LBB270_133
; %bb.10:
	s_cmp_lg_u32 s12, 0
	s_cselect_b64 s[2:3], -1, 0
	s_add_i32 s38, s12, -8
	s_add_i32 s39, s15, -1
	s_cmp_lg_u64 s[18:19], 0
	s_cselect_b64 s[26:27], -1, 0
	s_abs_i32 s4, s11
	v_cvt_f32_u32_e32 v0, s10
	v_cvt_f32_u32_e32 v1, s4
	s_sub_i32 s5, 0, s10
	s_add_i32 s11, s15, -3
	v_rcp_iflag_f32_e32 v0, v0
	v_rcp_iflag_f32_e32 v1, v1
	s_load_dwordx2 s[20:21], s[0:1], 0x18
	s_load_dwordx2 s[22:23], s[0:1], 0x30
	s_mul_i32 s40, s8, s9
	v_mul_f32_e32 v0, 0x4f7ffffe, v0
	v_mul_f32_e32 v1, 0x4f7ffffe, v1
	v_cvt_u32_f32_e32 v0, v0
	v_cvt_u32_f32_e32 v1, v1
	v_cmp_eq_u32_e64 s[0:1], 63, v2
	s_mov_b64 s[24:25], 0
	v_mul_lo_u32 v3, s5, v0
	s_sub_i32 s5, 0, s4
	v_readfirstlane_b32 s6, v1
	s_mul_i32 s5, s5, s6
	s_mul_hi_u32 s5, s6, s5
	s_add_i32 s6, s6, s5
	s_sub_i32 s5, 1, s4
	s_cmp_lt_u32 s4, 2
	s_cselect_b32 s5, s5, 1
	s_sub_i32 s7, s5, s4
	s_cmp_ge_u32 s5, s4
	s_cselect_b32 s41, s7, s5
	s_lshr_b32 s5, s6, 31
	s_mul_i32 s5, s5, s4
	s_sub_i32 s5, 2, s5
	s_sub_i32 s7, s5, s4
	s_cmp_ge_u32 s5, s4
	s_cselect_b32 s5, s7, s5
	s_sub_i32 s7, s5, s4
	s_cmp_ge_u32 s5, s4
	s_cselect_b32 s42, s7, s5
	s_mul_hi_u32 s5, s6, 3
	s_mul_i32 s5, s5, s4
	s_sub_i32 s5, 3, s5
	s_sub_i32 s6, s5, s4
	s_cmp_ge_u32 s5, s4
	s_cselect_b32 s5, s6, s5
	s_sub_i32 s6, s5, s4
	s_cmp_ge_u32 s5, s4
	v_mul_hi_u32 v3, v0, v3
	s_cselect_b32 s43, s6, s5
	s_lshl_b32 s44, s14, 1
	v_add_u32_e32 v107, v0, v3
	v_lshlrev_b32_e32 v0, 4, v2
	v_add_u32_e32 v111, s44, v110
	scratch_store_dword off, v0, off        ; 4-byte Folded Spill
	v_mad_u64_u32 v[114:115], s[4:5], s14, 3, v[110:111]
	v_cndmask_b32_e64 v0, 0, 1, s[2:3]
	s_mul_i32 s40, s40, 3
	v_mov_b32_e32 v119, 0
	s_mul_i32 s41, s41, s10
	s_mul_i32 s42, s42, s10
	;; [unrolled: 1-line block ×4, first 2 shown]
	v_add_u32_e32 v115, s14, v110
	v_cmp_ne_u32_e64 s[2:3], 1, v0
	s_movk_i32 s14, 0x7fff
	s_mov_b32 s46, 0x7f800000
	s_mov_b32 s28, 0
	s_branch .LBB270_13
.LBB270_11:                             ;   in Loop: Header=BB270_13 Depth=1
	s_or_b64 exec, exec, s[8:9]
	v_mov_b32_e32 v108, s11
.LBB270_12:                             ;   in Loop: Header=BB270_13 Depth=1
	s_or_b64 exec, exec, s[6:7]
	v_cmp_le_u32_e32 vcc, s15, v108
	s_or_b64 s[24:25], vcc, s[24:25]
	s_andn2_b64 exec, exec, s[24:25]
	s_cbranch_execz .LBB270_133
.LBB270_13:                             ; =>This Loop Header: Depth=1
                                        ;     Child Loop BB270_18 Depth 2
                                        ;     Child Loop BB270_131 Depth 2
	s_and_b64 vcc, exec, s[2:3]
	v_add_u32_e32 v58, 1, v108
	v_add_u32_e32 v56, 2, v108
	v_mov_b32_e32 v7, v119
	s_waitcnt vmcnt(0)
	v_mov_b32_e32 v6, v119
	v_mov_b32_e32 v5, v119
	;; [unrolled: 1-line block ×47, first 2 shown]
	s_cbranch_vccnz .LBB270_53
; %bb.14:                               ;   in Loop: Header=BB270_13 Depth=1
	scratch_load_dword v109, off, off       ; 4-byte Folded Reload
	v_min_u32_e32 v0, s39, v108
	v_mul_lo_u32 v118, v0, s13
	v_min_u32_e32 v0, s39, v58
	v_min_u32_e32 v2, s39, v56
	v_mul_lo_u32 v0, v0, s13
	v_mov_b32_e32 v1, v119
	v_mul_lo_u32 v2, v2, s13
	v_mov_b32_e32 v3, v119
	v_mov_b32_e32 v24, 0
	s_mov_b32 s4, 0
	v_lshlrev_b64 v[120:121], 1, v[118:119]
	v_lshlrev_b64 v[122:123], 1, v[0:1]
	;; [unrolled: 1-line block ×3, first 2 shown]
	s_mov_b32 s34, 0
	v_mov_b32_e32 v25, v24
	v_mov_b32_e32 v26, v24
	;; [unrolled: 1-line block ×47, first 2 shown]
	s_branch .LBB270_18
.LBB270_15:                             ;   in Loop: Header=BB270_18 Depth=2
	s_or_b64 exec, exec, s[30:31]
.LBB270_16:                             ;   in Loop: Header=BB270_18 Depth=2
	s_or_b64 exec, exec, s[8:9]
.LBB270_17:                             ;   in Loop: Header=BB270_18 Depth=2
	s_or_b64 exec, exec, s[6:7]
	s_waitcnt vmcnt(0) lgkmcnt(0)
	v_mfma_f32_4x4x4_16b_bf16 v[44:47], v[72:73], v[56:57], v[44:47]
	s_addk_i32 s34, 0x400
	v_mfma_f32_4x4x4_16b_bf16 v[40:43], v[72:73], v[52:53], v[40:43]
	v_add_u32_e32 v109, 0x800, v109
	v_mfma_f32_4x4x4_16b_bf16 v[36:39], v[72:73], v[64:65], v[36:39]
	s_cmp_ge_u32 s34, s12
	v_mfma_f32_4x4x4_16b_bf16 v[32:35], v[76:77], v[56:57], v[32:35]
	v_mfma_f32_4x4x4_16b_bf16 v[28:31], v[76:77], v[52:53], v[28:31]
	;; [unrolled: 1-line block ×45, first 2 shown]
	s_cbranch_scc1 .LBB270_52
.LBB270_18:                             ;   Parent Loop BB270_13 Depth=1
                                        ; =>  This Inner Loop Header: Depth=2
	v_add_u32_e32 v112, s34, v110
	v_min_u32_e32 v118, s38, v112
	s_waitcnt lgkmcnt(0)
	v_lshl_add_u64 v[48:49], v[118:119], 1, s[20:21]
	v_add_u32_e32 v126, 0x200, v112
	v_lshl_add_u64 v[50:51], v[48:49], 0, v[120:121]
	v_lshl_add_u64 v[52:53], v[48:49], 0, v[122:123]
	v_min_u32_e32 v118, s38, v126
	global_load_dwordx4 v[56:59], v[50:51], off nt
	s_nop 0
	global_load_dwordx4 v[52:55], v[52:53], off nt
	v_lshl_add_u64 v[50:51], v[118:119], 1, s[20:21]
	v_lshl_add_u64 v[48:49], v[48:49], 0, v[124:125]
	;; [unrolled: 1-line block ×3, first 2 shown]
	global_load_dwordx4 v[64:67], v[48:49], off nt
	s_nop 0
	global_load_dwordx4 v[60:63], v[60:61], off nt
	v_lshl_add_u64 v[48:49], v[50:51], 0, v[122:123]
	v_lshl_add_u64 v[50:51], v[50:51], 0, v[124:125]
	global_load_dwordx4 v[68:71], v[48:49], off nt
	s_nop 0
	global_load_dwordx4 v[48:51], v[50:51], off nt
	s_mov_b32 s5, s4
	v_cmp_gt_u32_e32 vcc, s12, v112
	v_mov_b64_e32 v[72:73], s[4:5]
	v_mov_b32_e32 v97, 0
	v_mov_b32_e32 v96, 0
	;; [unrolled: 1-line block ×4, first 2 shown]
	v_mov_b64_e32 v[74:75], s[4:5]
	v_mov_b64_e32 v[88:89], s[4:5]
	;; [unrolled: 1-line block ×13, first 2 shown]
	s_and_saveexec_b64 s[6:7], vcc
	s_cbranch_execz .LBB270_17
; %bb.19:                               ;   in Loop: Header=BB270_18 Depth=2
	v_cmp_lt_u32_e32 vcc, s14, v112
                                        ; implicit-def: $vgpr72_vgpr73
	s_and_saveexec_b64 s[8:9], vcc
	s_xor_b64 s[8:9], exec, s[8:9]
	s_cbranch_execz .LBB270_21
; %bb.20:                               ;   in Loop: Header=BB270_18 Depth=2
	v_mov_b32_e32 v113, v119
	v_lshl_add_u64 v[72:73], v[112:113], 1, s[16:17]
	global_load_dwordx4 v[72:75], v[72:73], off
.LBB270_21:                             ;   in Loop: Header=BB270_18 Depth=2
	s_andn2_saveexec_b64 s[8:9], s[8:9]
	s_cbranch_execz .LBB270_23
; %bb.22:                               ;   in Loop: Header=BB270_18 Depth=2
	s_waitcnt vmcnt(0)
	ds_read_b128 v[72:75], v109
.LBB270_23:                             ;   in Loop: Header=BB270_18 Depth=2
	s_or_b64 exec, exec, s[8:9]
	v_add_u32_e32 v118, s34, v115
	v_cmp_lt_u32_e32 vcc, s14, v118
                                        ; implicit-def: $vgpr76_vgpr77
	s_and_saveexec_b64 s[8:9], vcc
	s_xor_b64 s[8:9], exec, s[8:9]
	s_cbranch_execz .LBB270_25
; %bb.24:                               ;   in Loop: Header=BB270_18 Depth=2
	v_lshl_add_u64 v[76:77], v[118:119], 1, s[16:17]
	global_load_dwordx4 v[76:79], v[76:77], off
.LBB270_25:                             ;   in Loop: Header=BB270_18 Depth=2
	s_andn2_saveexec_b64 s[8:9], s[8:9]
	s_cbranch_execz .LBB270_27
; %bb.26:                               ;   in Loop: Header=BB270_18 Depth=2
	s_waitcnt vmcnt(0)
	v_add_u32_e32 v76, s44, v109
	ds_read_b128 v[76:79], v76
.LBB270_27:                             ;   in Loop: Header=BB270_18 Depth=2
	s_or_b64 exec, exec, s[8:9]
	v_add_u32_e32 v116, s34, v111
	v_cmp_lt_u32_e32 vcc, s14, v116
                                        ; implicit-def: $vgpr80_vgpr81
	s_and_saveexec_b64 s[8:9], vcc
	s_xor_b64 s[8:9], exec, s[8:9]
	s_cbranch_execz .LBB270_29
; %bb.28:                               ;   in Loop: Header=BB270_18 Depth=2
	v_mov_b32_e32 v117, v119
	v_lshl_add_u64 v[80:81], v[116:117], 1, s[16:17]
	global_load_dwordx4 v[80:83], v[80:81], off
.LBB270_29:                             ;   in Loop: Header=BB270_18 Depth=2
	s_andn2_saveexec_b64 s[8:9], s[8:9]
	s_cbranch_execz .LBB270_31
; %bb.30:                               ;   in Loop: Header=BB270_18 Depth=2
	s_waitcnt vmcnt(0)
	v_add_u32_e32 v82, s33, v109
	ds_read2_b32 v[80:81], v82 offset1:1
	ds_read2_b32 v[82:83], v82 offset0:2 offset1:3
.LBB270_31:                             ;   in Loop: Header=BB270_18 Depth=2
	s_or_b64 exec, exec, s[8:9]
	v_add_u32_e32 v112, s34, v114
	v_cmp_lt_u32_e32 vcc, s14, v112
                                        ; implicit-def: $vgpr84_vgpr85
	s_and_saveexec_b64 s[8:9], vcc
	s_xor_b64 s[8:9], exec, s[8:9]
	s_cbranch_execz .LBB270_33
; %bb.32:                               ;   in Loop: Header=BB270_18 Depth=2
	v_mov_b32_e32 v113, v119
	v_lshl_add_u64 v[84:85], v[112:113], 1, s[16:17]
	global_load_dwordx4 v[84:87], v[84:85], off
.LBB270_33:                             ;   in Loop: Header=BB270_18 Depth=2
	s_andn2_saveexec_b64 s[8:9], s[8:9]
	s_cbranch_execz .LBB270_35
; %bb.34:                               ;   in Loop: Header=BB270_18 Depth=2
	s_waitcnt vmcnt(0)
	v_add_u32_e32 v84, s45, v109
	ds_read_b128 v[84:87], v84
.LBB270_35:                             ;   in Loop: Header=BB270_18 Depth=2
	s_or_b64 exec, exec, s[8:9]
	s_mov_b32 s29, s28
	v_cmp_gt_u32_e32 vcc, s12, v126
	v_mov_b32_e32 v97, 0
	v_mov_b64_e32 v[88:89], s[28:29]
	v_mov_b32_e32 v96, 0
	v_mov_b32_e32 v99, 0
	v_mov_b32_e32 v98, 0
	v_mov_b64_e32 v[90:91], s[28:29]
	v_mov_b64_e32 v[92:93], s[28:29]
	;; [unrolled: 1-line block ×5, first 2 shown]
	s_and_saveexec_b64 s[8:9], vcc
	s_cbranch_execz .LBB270_16
; %bb.36:                               ;   in Loop: Header=BB270_18 Depth=2
	v_cmp_lt_u32_e32 vcc, s14, v126
                                        ; implicit-def: $vgpr88_vgpr89
	s_and_saveexec_b64 s[30:31], vcc
	s_xor_b64 s[30:31], exec, s[30:31]
	s_cbranch_execz .LBB270_38
; %bb.37:                               ;   in Loop: Header=BB270_18 Depth=2
	v_mov_b32_e32 v127, v119
	v_lshl_add_u64 v[88:89], v[126:127], 1, s[16:17]
	global_load_dwordx4 v[88:91], v[88:89], off
.LBB270_38:                             ;   in Loop: Header=BB270_18 Depth=2
	s_andn2_saveexec_b64 s[30:31], s[30:31]
	s_cbranch_execz .LBB270_40
; %bb.39:                               ;   in Loop: Header=BB270_18 Depth=2
	s_waitcnt vmcnt(0)
	ds_read_b128 v[88:91], v109 offset:1024
.LBB270_40:                             ;   in Loop: Header=BB270_18 Depth=2
	s_or_b64 exec, exec, s[30:31]
	v_add_u32_e32 v118, 0x200, v118
	v_cmp_lt_u32_e32 vcc, s14, v118
                                        ; implicit-def: $vgpr92_vgpr93
	s_and_saveexec_b64 s[30:31], vcc
	s_xor_b64 s[30:31], exec, s[30:31]
	s_cbranch_execz .LBB270_42
; %bb.41:                               ;   in Loop: Header=BB270_18 Depth=2
	v_lshl_add_u64 v[92:93], v[118:119], 1, s[16:17]
	global_load_dwordx4 v[92:95], v[92:93], off
.LBB270_42:                             ;   in Loop: Header=BB270_18 Depth=2
	s_andn2_saveexec_b64 s[30:31], s[30:31]
	s_cbranch_execz .LBB270_44
; %bb.43:                               ;   in Loop: Header=BB270_18 Depth=2
	s_waitcnt vmcnt(0)
	v_add_u32_e32 v92, s44, v109
	ds_read_b128 v[92:95], v92 offset:1024
.LBB270_44:                             ;   in Loop: Header=BB270_18 Depth=2
	s_or_b64 exec, exec, s[30:31]
	v_add_u32_e32 v118, 0x200, v116
	v_cmp_lt_u32_e32 vcc, s14, v118
                                        ; implicit-def: $vgpr100_vgpr101
	s_and_saveexec_b64 s[30:31], vcc
	s_xor_b64 s[30:31], exec, s[30:31]
	s_cbranch_execz .LBB270_46
; %bb.45:                               ;   in Loop: Header=BB270_18 Depth=2
	v_lshl_add_u64 v[96:97], v[118:119], 1, s[16:17]
	global_load_dwordx4 v[100:103], v[96:97], off
.LBB270_46:                             ;   in Loop: Header=BB270_18 Depth=2
	s_andn2_saveexec_b64 s[30:31], s[30:31]
	s_cbranch_execz .LBB270_48
; %bb.47:                               ;   in Loop: Header=BB270_18 Depth=2
	s_waitcnt vmcnt(6)
	v_add_u32_e32 v96, s33, v109
	v_add_u32_e32 v97, 0x400, v96
	;; [unrolled: 1-line block ×3, first 2 shown]
	s_waitcnt vmcnt(0)
	ds_read2_b32 v[100:101], v97 offset1:1
	ds_read2_b32 v[102:103], v96 offset1:1
.LBB270_48:                             ;   in Loop: Header=BB270_18 Depth=2
	s_or_b64 exec, exec, s[30:31]
	v_add_u32_e32 v118, 0x200, v112
	v_cmp_lt_u32_e32 vcc, s14, v118
                                        ; implicit-def: $vgpr97
	s_and_saveexec_b64 s[30:31], vcc
	s_xor_b64 s[30:31], exec, s[30:31]
	s_cbranch_execz .LBB270_50
; %bb.49:                               ;   in Loop: Header=BB270_18 Depth=2
	v_lshl_add_u64 v[96:97], v[118:119], 1, s[16:17]
	global_load_dwordx4 v[96:99], v[96:97], off
.LBB270_50:                             ;   in Loop: Header=BB270_18 Depth=2
	s_andn2_saveexec_b64 s[30:31], s[30:31]
	s_cbranch_execz .LBB270_15
; %bb.51:                               ;   in Loop: Header=BB270_18 Depth=2
	s_waitcnt vmcnt(0)
	v_add_u32_e32 v96, s45, v109
	ds_read_b128 v[96:99], v96 offset:1024
	s_branch .LBB270_15
.LBB270_52:                             ;   in Loop: Header=BB270_13 Depth=1
	v_add_u32_e32 v56, 2, v108
	v_add_u32_e32 v58, 1, v108
.LBB270_53:                             ;   in Loop: Header=BB270_13 Depth=1
	v_cvt_i32_f32_e32 v41, v41
	v_cvt_i32_f32_e32 v42, v42
	;; [unrolled: 1-line block ×6, first 2 shown]
	v_cvt_f32_i32_dpp v41, v41 row_shl:1 row_mask:0xf bank_mask:0xf bound_ctrl:1
	v_cvt_f32_i32_dpp v42, v42 row_shl:2 row_mask:0xf bank_mask:0xf bound_ctrl:1
	;; [unrolled: 1-line block ×6, first 2 shown]
	v_add_f32_e32 v40, v40, v41
	v_add_f32_e32 v40, v40, v42
	v_add_f32_e32 v44, v44, v45
	v_add_f32_e32 v40, v40, v43
	v_add_f32_e32 v44, v44, v46
	v_cvt_i32_f32_e32 v41, v40
	v_add_f32_e32 v44, v44, v47
	v_cvt_i32_f32_e32 v45, v44
	v_cvt_i32_f32_e32 v37, v37
	v_cvt_f32_i32_dpp v41, v41 row_shl:4 row_mask:0xf bank_mask:0xf bound_ctrl:1
	v_cvt_i32_f32_e32 v38, v38
	v_cvt_f32_i32_dpp v45, v45 row_shl:4 row_mask:0xf bank_mask:0xf bound_ctrl:1
	v_cvt_i32_f32_e32 v39, v39
	v_add_f32_e32 v40, v40, v41
	v_cvt_i32_f32_e32 v41, v40
	v_add_f32_e32 v42, v44, v45
	v_cvt_i32_f32_e32 v43, v42
	v_cvt_f32_i32_dpp v37, v37 row_shl:1 row_mask:0xf bank_mask:0xf bound_ctrl:1
	v_cvt_f32_i32_dpp v38, v38 row_shl:2 row_mask:0xf bank_mask:0xf bound_ctrl:1
	;; [unrolled: 1-line block ×5, first 2 shown]
	v_add_f32_e32 v36, v36, v37
	v_add_f32_e32 v36, v36, v38
	;; [unrolled: 1-line block ×4, first 2 shown]
	v_cvt_i32_f32_e32 v40, v40
	v_cvt_i32_f32_e32 v36, v37
	v_add_f32_e32 v42, v42, v43
	v_cvt_i32_f32_e32 v42, v42
	v_cvt_i32_f32_e32 v33, v33
	;; [unrolled: 1-line block ×3, first 2 shown]
	v_cvt_f32_i32_dpp v39, v40 row_shr:15 row_mask:0xf bank_mask:0xf bound_ctrl:1
	v_cvt_f32_i32_dpp v40, v36 row_shl:4 row_mask:0xf bank_mask:0xf bound_ctrl:1
	v_cvt_i32_f32_e32 v35, v35
	v_cvt_f32_i32_dpp v42, v42 row_shr:15 row_mask:0xf bank_mask:0xf bound_ctrl:1
	v_cvt_f32_i32_dpp v33, v33 row_shl:1 row_mask:0xf bank_mask:0xf bound_ctrl:1
	v_cvt_f32_i32_dpp v34, v34 row_shl:2 row_mask:0xf bank_mask:0xf bound_ctrl:1
	v_add_f32_e32 v37, v37, v40
	v_cvt_f32_i32_dpp v35, v35 row_shl:3 row_mask:0xf bank_mask:0xf bound_ctrl:1
	v_cvt_i32_f32_e32 v40, v37
	v_cvt_i32_f32_e32 v41, v42
	v_add_f32_e32 v32, v32, v33
	v_add_f32_e32 v32, v32, v34
	v_add_f32_e32 v34, v32, v35
	v_cvt_i32_f32_e32 v29, v29
	v_cvt_f32_i32_dpp v40, v40 row_shl:8 row_mask:0xf bank_mask:0xf bound_ctrl:1
	v_cvt_i32_f32_e32 v32, v34
	v_cvt_i32_f32_e32 v30, v30
	v_cvt_f32_i32_dpp v38, v41 row_bcast:15 row_mask:0xf bank_mask:0xf bound_ctrl:1
	v_cvt_i32_f32_e32 v41, v39
	v_cvt_i32_f32_e32 v31, v31
	v_cvt_f32_i32_dpp v29, v29 row_shl:1 row_mask:0xf bank_mask:0xf bound_ctrl:1
	v_add_f32_e32 v33, v37, v40
	v_cvt_f32_i32_dpp v40, v32 row_shl:4 row_mask:0xf bank_mask:0xf bound_ctrl:1
	v_cvt_f32_i32_dpp v30, v30 row_shl:2 row_mask:0xf bank_mask:0xf bound_ctrl:1
	v_cvt_f32_i32_dpp v35, v41 row_bcast:15 row_mask:0xf bank_mask:0xf bound_ctrl:1
	v_cvt_i32_f32_e32 v37, v33
	v_cvt_f32_i32_dpp v31, v31 row_shl:3 row_mask:0xf bank_mask:0xf bound_ctrl:1
	v_add_f32_e32 v28, v28, v29
	v_add_f32_e32 v34, v34, v40
	;; [unrolled: 1-line block ×4, first 2 shown]
	v_cvt_f32_i32_dpp v35, v37 row_shr:15 row_mask:0xf bank_mask:0xf bound_ctrl:1
	v_cvt_i32_f32_e32 v37, v34
	v_add_f32_e32 v28, v28, v31
	v_cvt_i32_f32_e32 v29, v28
	v_cvt_i32_f32_e32 v30, v35
	v_cvt_f32_i32_dpp v37, v37 row_shl:8 row_mask:0xf bank_mask:0xf bound_ctrl:1
	v_cvt_i32_f32_e32 v25, v25
	v_cvt_f32_i32_dpp v29, v29 row_shl:4 row_mask:0xf bank_mask:0xf bound_ctrl:1
	v_cvt_i32_f32_e32 v26, v26
	v_add_f32_e32 v31, v34, v37
	v_cvt_i32_f32_e32 v31, v31
	v_cvt_f32_i32_dpp v30, v30 row_bcast:15 row_mask:0xf bank_mask:0xf bound_ctrl:1
	v_add_f32_e32 v37, v28, v29
	v_cvt_i32_f32_e32 v27, v27
	v_cvt_i32_f32_e32 v29, v37
	v_cvt_f32_i32_dpp v25, v25 row_shl:1 row_mask:0xf bank_mask:0xf bound_ctrl:1
	v_add_f32_e32 v36, v42, v38
	v_cvt_f32_i32_dpp v26, v26 row_shl:2 row_mask:0xf bank_mask:0xf bound_ctrl:1
	v_cvt_i32_f32_e32 v38, v36
	v_cvt_f32_i32_dpp v31, v31 row_shr:15 row_mask:0xf bank_mask:0xf bound_ctrl:1
	v_add_f32_e32 v28, v35, v30
	v_cvt_f32_i32_dpp v27, v27 row_shl:3 row_mask:0xf bank_mask:0xf bound_ctrl:1
	v_cvt_i32_f32_e32 v35, v28
	v_cvt_f32_i32_dpp v39, v29 row_shl:8 row_mask:0xf bank_mask:0xf bound_ctrl:1
	v_add_f32_e32 v24, v24, v25
	v_cvt_i32_f32_e32 v21, v21
	v_add_f32_e32 v24, v24, v26
	v_cvt_i32_f32_e32 v22, v22
	v_mov_b32_dpp v33, v38 row_bcast:31 row_mask:0xf bank_mask:0xf bound_ctrl:1
	v_cvt_i32_f32_e32 v34, v32
	v_cvt_i32_f32_e32 v38, v31
	v_add_f32_e32 v25, v24, v27
	v_cvt_i32_f32_e32 v23, v23
	v_mov_b32_dpp v29, v35 row_bcast:31 row_mask:0xf bank_mask:0xf bound_ctrl:1
	v_add_f32_e32 v35, v37, v39
	v_cvt_i32_f32_e32 v26, v25
	v_cvt_i32_f32_e32 v35, v35
	v_cvt_f32_i32_dpp v21, v21 row_shl:1 row_mask:0xf bank_mask:0xf bound_ctrl:1
	v_cvt_f32_i32_dpp v22, v22 row_shl:2 row_mask:0xf bank_mask:0xf bound_ctrl:1
	v_mov_b32_dpp v30, v34 row_bcast:31 row_mask:0xf bank_mask:0xf bound_ctrl:1
	v_cvt_f32_i32_dpp v34, v38 row_bcast:15 row_mask:0xf bank_mask:0xf bound_ctrl:1
	v_cvt_f32_i32_dpp v23, v23 row_shl:3 row_mask:0xf bank_mask:0xf bound_ctrl:1
	v_cvt_f32_i32_dpp v26, v26 row_shl:4 row_mask:0xf bank_mask:0xf bound_ctrl:1
	v_cvt_f32_i32_dpp v35, v35 row_shr:15 row_mask:0xf bank_mask:0xf bound_ctrl:1
	v_add_f32_e32 v20, v20, v21
	v_add_f32_e32 v20, v20, v22
	;; [unrolled: 1-line block ×4, first 2 shown]
	v_cvt_i32_f32_e32 v27, v24
	v_add_f32_e32 v25, v25, v26
	v_cvt_i32_f32_e32 v20, v22
	v_cvt_i32_f32_e32 v31, v35
	;; [unrolled: 1-line block ×3, first 2 shown]
	v_mov_b32_dpp v21, v27 row_bcast:31 row_mask:0xf bank_mask:0xf bound_ctrl:1
	v_cvt_f32_i32_dpp v27, v20 row_shl:4 row_mask:0xf bank_mask:0xf bound_ctrl:1
	v_cvt_f32_i32_dpp v23, v31 row_bcast:15 row_mask:0xf bank_mask:0xf bound_ctrl:1
	v_cvt_f32_i32_dpp v26, v26 row_shl:8 row_mask:0xf bank_mask:0xf bound_ctrl:1
	v_cvt_i32_f32_e32 v17, v17
	v_add_f32_e32 v22, v22, v27
	v_cvt_i32_f32_e32 v18, v18
	v_add_f32_e32 v20, v35, v23
	v_add_f32_e32 v23, v25, v26
	v_cvt_i32_f32_e32 v19, v19
	v_cvt_i32_f32_e32 v25, v22
	v_cvt_f32_i32_dpp v17, v17 row_shl:1 row_mask:0xf bank_mask:0xf bound_ctrl:1
	v_cvt_f32_i32_dpp v18, v18 row_shl:2 row_mask:0xf bank_mask:0xf bound_ctrl:1
	v_cvt_f32_i32_dpp v19, v19 row_shl:3 row_mask:0xf bank_mask:0xf bound_ctrl:1
	v_cvt_f32_i32_dpp v25, v25 row_shl:8 row_mask:0xf bank_mask:0xf bound_ctrl:1
	v_add_f32_e32 v16, v16, v17
	v_add_f32_e32 v16, v16, v18
	;; [unrolled: 1-line block ×4, first 2 shown]
	v_cvt_i32_f32_e32 v17, v16
	v_cvt_i32_f32_e32 v19, v19
	v_cvt_i32_f32_e32 v1, v1
	v_cvt_i32_f32_e32 v13, v13
	v_cvt_i32_f32_e32 v2, v2
	v_cvt_i32_f32_e32 v14, v14
	v_cvt_i32_f32_e32 v15, v15
	v_cvt_f32_i32_dpp v17, v17 row_shl:4 row_mask:0xf bank_mask:0xf bound_ctrl:1
	v_cvt_i32_f32_e32 v22, v20
	v_cvt_f32_i32_dpp v19, v19 row_shr:15 row_mask:0xf bank_mask:0xf bound_ctrl:1
	v_cvt_f32_i32_dpp v1, v1 row_shl:1 row_mask:0xf bank_mask:0xf bound_ctrl:1
	v_cvt_f32_i32_dpp v13, v13 row_shl:1 row_mask:0xf bank_mask:0xf bound_ctrl:1
	v_cvt_i32_f32_e32 v9, v9
	v_cvt_f32_i32_dpp v2, v2 row_shl:2 row_mask:0xf bank_mask:0xf bound_ctrl:1
	v_cvt_i32_f32_e32 v3, v3
	;; [unrolled: 2-line block ×4, first 2 shown]
	v_add_f32_e32 v25, v16, v17
	v_mov_b32_dpp v17, v22 row_bcast:31 row_mask:0xf bank_mask:0xf bound_ctrl:1
	v_cvt_i32_f32_e32 v22, v19
	v_add_f32_e32 v0, v0, v1
	v_add_f32_e32 v12, v12, v13
	v_cvt_f32_i32_dpp v9, v9 row_shl:1 row_mask:0xf bank_mask:0xf bound_ctrl:1
	v_add_f32_e32 v0, v0, v2
	v_cvt_f32_i32_dpp v1, v3 row_shl:3 row_mask:0xf bank_mask:0xf bound_ctrl:1
	v_cvt_i32_f32_e32 v2, v5
	v_add_f32_e32 v12, v12, v14
	v_cvt_f32_i32_dpp v10, v10 row_shl:2 row_mask:0xf bank_mask:0xf bound_ctrl:1
	v_cvt_i32_f32_e32 v3, v6
	;; [unrolled: 3-line block ×3, first 2 shown]
	v_cvt_f32_i32_dpp v22, v22 row_bcast:15 row_mask:0xf bank_mask:0xf bound_ctrl:1
	v_cvt_i32_f32_e32 v12, v15
	v_add_f32_e32 v8, v8, v9
	v_add_f32_e32 v0, v0, v1
	v_cvt_f32_i32_dpp v1, v2 row_shl:1 row_mask:0xf bank_mask:0xf bound_ctrl:1
	v_add_f32_e32 v8, v8, v10
	v_cvt_f32_i32_dpp v2, v3 row_shl:2 row_mask:0xf bank_mask:0xf bound_ctrl:1
	;; [unrolled: 2-line block ×4, first 2 shown]
	v_cvt_i32_f32_e32 v11, v9
	v_add_f32_e32 v1, v4, v1
	v_add_f32_e32 v1, v1, v2
	;; [unrolled: 1-line block ×4, first 2 shown]
	v_cvt_f32_i32_dpp v11, v11 row_shl:4 row_mask:0xf bank_mask:0xf bound_ctrl:1
	v_cvt_i32_f32_e32 v5, v0
	v_cvt_i32_f32_e32 v2, v1
	;; [unrolled: 1-line block ×4, first 2 shown]
	v_add_f32_e32 v9, v9, v11
	v_cvt_f32_i32_dpp v4, v5 row_shl:4 row_mask:0xf bank_mask:0xf bound_ctrl:1
	v_cvt_f32_i32_dpp v2, v2 row_shl:4 row_mask:0xf bank_mask:0xf bound_ctrl:1
	v_cvt_f32_i32_dpp v18, v23 row_shr:15 row_mask:0xf bank_mask:0xf bound_ctrl:1
	v_cvt_f32_i32_dpp v19, v19 row_shl:8 row_mask:0xf bank_mask:0xf bound_ctrl:1
	v_cvt_i32_f32_e32 v11, v9
	v_add_f32_e32 v0, v0, v4
	v_add_f32_e32 v1, v1, v2
	v_cvt_i32_f32_e32 v23, v18
	v_cvt_i32_f32_e32 v16, v25
	v_add_f32_e32 v15, v15, v19
	v_cvt_f32_i32_dpp v3, v11 row_shl:8 row_mask:0xf bank_mask:0xf bound_ctrl:1
	v_cvt_i32_f32_e32 v4, v0
	v_cvt_i32_f32_e32 v2, v1
	;; [unrolled: 1-line block ×3, first 2 shown]
	v_cvt_f32_i32_dpp v23, v23 row_bcast:15 row_mask:0xf bank_mask:0xf bound_ctrl:1
	v_cvt_f32_i32_dpp v26, v16 row_shl:8 row_mask:0xf bank_mask:0xf bound_ctrl:1
	v_add_f32_e32 v3, v9, v3
	v_cvt_f32_i32_dpp v4, v4 row_shl:8 row_mask:0xf bank_mask:0xf bound_ctrl:1
	v_cvt_f32_i32_dpp v2, v2 row_shl:8 row_mask:0xf bank_mask:0xf bound_ctrl:1
	v_cvt_f32_i32_dpp v5, v15 row_shr:15 row_mask:0xf bank_mask:0xf bound_ctrl:1
	v_cvt_i32_f32_e32 v3, v3
	v_add_f32_e32 v16, v18, v23
	v_add_f32_e32 v23, v25, v26
	;; [unrolled: 1-line block ×4, first 2 shown]
	v_cvt_i32_f32_e32 v23, v23
	v_cvt_i32_f32_e32 v6, v5
	v_cvt_f32_i32_dpp v3, v3 row_shr:15 row_mask:0xf bank_mask:0xf bound_ctrl:1
	v_cvt_i32_f32_e32 v0, v0
	v_cvt_i32_f32_e32 v1, v1
	v_cvt_f32_i32_dpp v23, v23 row_shr:15 row_mask:0xf bank_mask:0xf bound_ctrl:1
	v_cvt_f32_i32_dpp v2, v6 row_bcast:15 row_mask:0xf bank_mask:0xf bound_ctrl:1
	v_cvt_f32_i32_dpp v0, v0 row_shr:15 row_mask:0xf bank_mask:0xf bound_ctrl:1
	v_cvt_i32_f32_e32 v4, v3
	v_cvt_f32_i32_dpp v1, v1 row_shr:15 row_mask:0xf bank_mask:0xf bound_ctrl:1
	v_cvt_i32_f32_e32 v18, v16
	v_cvt_i32_f32_e32 v25, v23
	v_add_f32_e32 v7, v5, v2
	v_cvt_i32_f32_e32 v2, v0
	v_cvt_f32_i32_dpp v4, v4 row_bcast:15 row_mask:0xf bank_mask:0xf bound_ctrl:1
	v_cvt_i32_f32_e32 v5, v1
	v_mov_b32_dpp v14, v18 row_bcast:31 row_mask:0xf bank_mask:0xf bound_ctrl:1
	v_cvt_f32_i32_dpp v18, v25 row_bcast:15 row_mask:0xf bank_mask:0xf bound_ctrl:1
	v_cvt_f32_i32_dpp v2, v2 row_bcast:15 row_mask:0xf bank_mask:0xf bound_ctrl:1
	v_add_f32_e32 v4, v3, v4
	v_cvt_f32_i32_dpp v3, v5 row_bcast:15 row_mask:0xf bank_mask:0xf bound_ctrl:1
	v_add_f32_e32 v12, v23, v18
	v_add_f32_e32 v2, v0, v2
	v_cvt_i32_f32_e32 v22, v13
	v_add_f32_e32 v0, v1, v3
	v_cvt_i32_f32_e32 v18, v12
	v_cvt_i32_f32_e32 v6, v7
	;; [unrolled: 1-line block ×5, first 2 shown]
	v_mov_b32_dpp v10, v22 row_bcast:31 row_mask:0xf bank_mask:0xf bound_ctrl:1
	v_mov_b32_dpp v8, v18 row_bcast:31 row_mask:0xf bank_mask:0xf bound_ctrl:1
	;; [unrolled: 1-line block ×6, first 2 shown]
	s_and_saveexec_b64 s[30:31], s[0:1]
	s_cbranch_execz .LBB270_128
; %bb.54:                               ;   in Loop: Header=BB270_13 Depth=1
	s_andn2_b64 vcc, exec, s[26:27]
	v_mov_b32_e32 v34, 0
	v_mov_b32_e32 v31, 0
	v_mov_b32_e32 v27, 0
	v_mov_b32_e32 v26, 0
	v_mov_b32_e32 v25, 0
	v_mov_b32_e32 v23, 0
	v_mov_b32_e32 v22, 0
	v_mov_b32_e32 v19, 0
	v_mov_b32_e32 v18, 0
	v_mov_b32_e32 v15, 0
	v_mov_b32_e32 v11, 0
	v_mov_b32_e32 v6, 0
	s_cbranch_vccnz .LBB270_56
; %bb.55:                               ;   in Loop: Header=BB270_13 Depth=1
	v_mul_hi_u32 v6, v108, v107
	v_mul_lo_u32 v6, v6, s10
	v_sub_u32_e32 v6, v108, v6
	v_subrev_u32_e32 v11, s10, v6
	v_cmp_le_u32_e32 vcc, s10, v6
	v_mov_b32_e32 v23, v119
	v_mov_b32_e32 v19, v119
	v_cndmask_b32_e32 v6, v6, v11, vcc
	v_subrev_u32_e32 v11, s10, v6
	v_cmp_le_u32_e32 vcc, s10, v6
	v_mov_b32_e32 v43, v119
	s_nop 0
	v_cndmask_b32_e32 v118, v6, v11, vcc
	v_mul_hi_u32 v6, v58, v107
	v_mul_lo_u32 v6, v6, s10
	v_sub_u32_e32 v6, v58, v6
	v_subrev_u32_e32 v11, s10, v6
	v_cmp_le_u32_e32 vcc, s10, v6
	v_add_u32_e32 v22, s41, v118
	v_lshl_add_u64 v[46:47], v[22:23], 1, s[18:19]
	v_cndmask_b32_e32 v6, v6, v11, vcc
	v_subrev_u32_e32 v11, s10, v6
	v_cmp_le_u32_e32 vcc, s10, v6
	v_lshl_add_u64 v[38:39], v[118:119], 1, s[18:19]
	s_nop 0
	v_cndmask_b32_e32 v18, v6, v11, vcc
	v_mul_hi_u32 v6, v56, v107
	v_mul_lo_u32 v6, v6, s10
	v_sub_u32_e32 v6, v56, v6
	v_subrev_u32_e32 v11, s10, v6
	v_cmp_le_u32_e32 vcc, s10, v6
	v_add_u32_e32 v22, s41, v18
	v_lshl_add_u64 v[48:49], v[22:23], 1, s[18:19]
	v_cndmask_b32_e32 v6, v6, v11, vcc
	v_subrev_u32_e32 v11, s10, v6
	v_cmp_le_u32_e32 vcc, s10, v6
	v_lshl_add_u64 v[40:41], v[18:19], 1, s[18:19]
	s_nop 0
	v_cndmask_b32_e32 v42, v6, v11, vcc
	v_add_u32_e32 v22, s41, v42
	v_lshl_add_u64 v[50:51], v[22:23], 1, s[18:19]
	v_add_u32_e32 v22, s42, v118
	v_lshl_add_u64 v[52:53], v[22:23], 1, s[18:19]
	;; [unrolled: 2-line block ×3, first 2 shown]
	v_lshl_add_u64 v[54:55], v[22:23], 1, s[18:19]
	global_load_ushort v34, v[38:39], off
	global_load_ushort v31, v[40:41], off
	;; [unrolled: 1-line block ×8, first 2 shown]
	v_add_u32_e32 v118, s43, v118
	v_add_u32_e32 v38, s42, v42
	v_mov_b32_e32 v39, v119
	v_lshl_add_u64 v[40:41], v[118:119], 1, s[18:19]
	v_add_u32_e32 v118, s43, v18
	v_lshl_add_u64 v[38:39], v[38:39], 1, s[18:19]
	v_lshl_add_u64 v[44:45], v[118:119], 1, s[18:19]
	v_add_u32_e32 v118, s43, v42
	v_lshl_add_u64 v[42:43], v[118:119], 1, s[18:19]
	global_load_ushort v18, v[38:39], off
	global_load_ushort v15, v[40:41], off
	global_load_ushort v11, v[44:45], off
	global_load_ushort v6, v[42:43], off
.LBB270_56:                             ;   in Loop: Header=BB270_13 Depth=1
	v_cmp_ne_u32_e32 vcc, 0, v104
	s_and_saveexec_b64 s[6:7], vcc
	s_cbranch_execnz .LBB270_68
; %bb.57:                               ;   in Loop: Header=BB270_13 Depth=1
	s_or_b64 exec, exec, s[6:7]
	v_cmp_ne_u32_e64 s[4:5], 0, v105
	s_and_saveexec_b64 s[8:9], s[4:5]
	s_cbranch_execnz .LBB270_73
.LBB270_58:                             ;   in Loop: Header=BB270_13 Depth=1
	s_or_b64 exec, exec, s[8:9]
	v_cmp_ne_u32_e64 s[6:7], 0, v106
	s_and_saveexec_b64 s[34:35], s[6:7]
	s_cbranch_execnz .LBB270_78
.LBB270_59:                             ;   in Loop: Header=BB270_13 Depth=1
	s_or_b64 exec, exec, s[34:35]
	v_add_u32_e32 v118, s15, v108
	s_and_saveexec_b64 s[34:35], vcc
	s_cbranch_execnz .LBB270_83
.LBB270_60:                             ;   in Loop: Header=BB270_13 Depth=1
	s_or_b64 exec, exec, s[34:35]
	s_and_saveexec_b64 s[34:35], s[4:5]
	s_cbranch_execnz .LBB270_88
.LBB270_61:                             ;   in Loop: Header=BB270_13 Depth=1
	s_or_b64 exec, exec, s[34:35]
	s_and_saveexec_b64 s[34:35], s[6:7]
	s_cbranch_execnz .LBB270_93
.LBB270_62:                             ;   in Loop: Header=BB270_13 Depth=1
	s_or_b64 exec, exec, s[34:35]
	v_add_u32_e32 v118, s15, v118
	s_and_saveexec_b64 s[34:35], vcc
	s_cbranch_execnz .LBB270_98
.LBB270_63:                             ;   in Loop: Header=BB270_13 Depth=1
	s_or_b64 exec, exec, s[34:35]
	s_and_saveexec_b64 s[34:35], s[4:5]
	s_cbranch_execnz .LBB270_103
.LBB270_64:                             ;   in Loop: Header=BB270_13 Depth=1
	s_or_b64 exec, exec, s[34:35]
	s_and_saveexec_b64 s[34:35], s[6:7]
	s_cbranch_execnz .LBB270_108
.LBB270_65:                             ;   in Loop: Header=BB270_13 Depth=1
	s_or_b64 exec, exec, s[34:35]
	v_add_u32_e32 v118, s15, v118
	s_and_saveexec_b64 s[8:9], vcc
	s_cbranch_execnz .LBB270_113
.LBB270_66:                             ;   in Loop: Header=BB270_13 Depth=1
	s_or_b64 exec, exec, s[8:9]
	s_and_saveexec_b64 s[8:9], s[4:5]
	s_cbranch_execnz .LBB270_118
.LBB270_67:                             ;   in Loop: Header=BB270_13 Depth=1
	s_or_b64 exec, exec, s[8:9]
	s_and_b64 exec, exec, s[6:7]
	s_cbranch_execnz .LBB270_123
	s_branch .LBB270_128
.LBB270_68:                             ;   in Loop: Header=BB270_13 Depth=1
	v_cvt_f32_i32_e32 v33, v33
	s_waitcnt vmcnt(11)
	v_lshlrev_b32_e32 v34, 16, v34
	v_add_f32_e32 v33, v36, v33
	v_add_f32_e32 v34, v33, v34
	v_and_b32_e32 v33, 0x7f800000, v34
	v_cmp_ne_u32_e64 s[4:5], s46, v33
                                        ; implicit-def: $vgpr33
	s_and_saveexec_b64 s[8:9], s[4:5]
	s_xor_b64 s[4:5], exec, s[8:9]
; %bb.69:                               ;   in Loop: Header=BB270_13 Depth=1
	v_bfe_u32 v33, v34, 16, 1
	v_add3_u32 v33, v34, v33, s14
                                        ; implicit-def: $vgpr34
; %bb.70:                               ;   in Loop: Header=BB270_13 Depth=1
	s_andn2_saveexec_b64 s[8:9], s[4:5]
; %bb.71:                               ;   in Loop: Header=BB270_13 Depth=1
	v_or_b32_e32 v33, 0x10000, v34
	v_cmp_eq_u32_sdwa s[4:5], v34, v119 src0_sel:WORD_0 src1_sel:DWORD
	s_nop 1
	v_cndmask_b32_e64 v33, v33, v34, s[4:5]
; %bb.72:                               ;   in Loop: Header=BB270_13 Depth=1
	s_or_b64 exec, exec, s[8:9]
	v_mov_b32_e32 v109, v119
	s_waitcnt lgkmcnt(0)
	v_lshl_add_u64 v[34:35], v[108:109], 1, s[22:23]
	global_store_short_d16_hi v[34:35], v33, off
	s_or_b64 exec, exec, s[6:7]
	v_cmp_ne_u32_e64 s[4:5], 0, v105
	s_and_saveexec_b64 s[8:9], s[4:5]
	s_cbranch_execz .LBB270_58
.LBB270_73:                             ;   in Loop: Header=BB270_13 Depth=1
	v_cvt_f32_i32_e32 v30, v30
	s_waitcnt vmcnt(10)
	v_lshlrev_b32_e32 v31, 16, v31
	v_add_f32_e32 v30, v32, v30
	v_add_f32_e32 v31, v30, v31
	v_and_b32_e32 v30, 0x7f800000, v31
	v_cmp_ne_u32_e64 s[6:7], s46, v30
                                        ; implicit-def: $vgpr30
	s_and_saveexec_b64 s[34:35], s[6:7]
	s_xor_b64 s[6:7], exec, s[34:35]
; %bb.74:                               ;   in Loop: Header=BB270_13 Depth=1
	v_bfe_u32 v30, v31, 16, 1
	v_add3_u32 v30, v31, v30, s14
                                        ; implicit-def: $vgpr31
; %bb.75:                               ;   in Loop: Header=BB270_13 Depth=1
	s_andn2_saveexec_b64 s[34:35], s[6:7]
; %bb.76:                               ;   in Loop: Header=BB270_13 Depth=1
	v_or_b32_e32 v30, 0x10000, v31
	v_cmp_eq_u32_sdwa s[6:7], v31, v119 src0_sel:WORD_0 src1_sel:DWORD
	s_nop 1
	v_cndmask_b32_e64 v30, v30, v31, s[6:7]
; %bb.77:                               ;   in Loop: Header=BB270_13 Depth=1
	s_or_b64 exec, exec, s[34:35]
	v_mov_b32_e32 v59, v119
	s_waitcnt lgkmcnt(0)
	v_lshl_add_u64 v[32:33], v[58:59], 1, s[22:23]
	global_store_short_d16_hi v[32:33], v30, off
	s_or_b64 exec, exec, s[8:9]
	v_cmp_ne_u32_e64 s[6:7], 0, v106
	s_and_saveexec_b64 s[34:35], s[6:7]
	s_cbranch_execz .LBB270_59
.LBB270_78:                             ;   in Loop: Header=BB270_13 Depth=1
	v_cvt_f32_i32_e32 v29, v29
	s_waitcnt vmcnt(9)
	v_lshlrev_b32_e32 v27, 16, v27
	v_add_f32_e32 v28, v28, v29
	v_add_f32_e32 v28, v28, v27
	v_and_b32_e32 v27, 0x7f800000, v28
	v_cmp_ne_u32_e64 s[8:9], s46, v27
                                        ; implicit-def: $vgpr27
	s_and_saveexec_b64 s[36:37], s[8:9]
	s_xor_b64 s[8:9], exec, s[36:37]
; %bb.79:                               ;   in Loop: Header=BB270_13 Depth=1
	v_bfe_u32 v27, v28, 16, 1
	v_add3_u32 v27, v28, v27, s14
                                        ; implicit-def: $vgpr28
; %bb.80:                               ;   in Loop: Header=BB270_13 Depth=1
	s_andn2_saveexec_b64 s[36:37], s[8:9]
; %bb.81:                               ;   in Loop: Header=BB270_13 Depth=1
	v_or_b32_e32 v27, 0x10000, v28
	v_cmp_eq_u32_sdwa s[8:9], v28, v119 src0_sel:WORD_0 src1_sel:DWORD
	s_nop 1
	v_cndmask_b32_e64 v27, v27, v28, s[8:9]
; %bb.82:                               ;   in Loop: Header=BB270_13 Depth=1
	s_or_b64 exec, exec, s[36:37]
	v_mov_b32_e32 v57, v119
	s_waitcnt lgkmcnt(0)
	v_lshl_add_u64 v[28:29], v[56:57], 1, s[22:23]
	global_store_short_d16_hi v[28:29], v27, off
	s_or_b64 exec, exec, s[34:35]
	v_add_u32_e32 v118, s15, v108
	s_and_saveexec_b64 s[34:35], vcc
	s_cbranch_execz .LBB270_60
.LBB270_83:                             ;   in Loop: Header=BB270_13 Depth=1
	v_cvt_f32_i32_e32 v21, v21
	v_add_f32_e32 v21, v24, v21
	s_waitcnt vmcnt(8)
	v_lshlrev_b32_e32 v24, 16, v26
	v_add_f32_e32 v24, v21, v24
	v_and_b32_e32 v21, 0x7f800000, v24
	v_cmp_ne_u32_e64 s[8:9], s46, v21
                                        ; implicit-def: $vgpr21
	s_and_saveexec_b64 s[36:37], s[8:9]
	s_xor_b64 s[8:9], exec, s[36:37]
; %bb.84:                               ;   in Loop: Header=BB270_13 Depth=1
	v_bfe_u32 v21, v24, 16, 1
	v_add3_u32 v21, v24, v21, s14
                                        ; implicit-def: $vgpr24
; %bb.85:                               ;   in Loop: Header=BB270_13 Depth=1
	s_andn2_saveexec_b64 s[36:37], s[8:9]
; %bb.86:                               ;   in Loop: Header=BB270_13 Depth=1
	v_or_b32_e32 v21, 0x10000, v24
	v_cmp_eq_u32_sdwa s[8:9], v24, v119 src0_sel:WORD_0 src1_sel:DWORD
	s_nop 1
	v_cndmask_b32_e64 v21, v21, v24, s[8:9]
; %bb.87:                               ;   in Loop: Header=BB270_13 Depth=1
	s_or_b64 exec, exec, s[36:37]
	s_waitcnt lgkmcnt(0)
	v_lshl_add_u64 v[26:27], v[118:119], 1, s[22:23]
	global_store_short_d16_hi v[26:27], v21, off
	s_or_b64 exec, exec, s[34:35]
	s_and_saveexec_b64 s[34:35], s[4:5]
	s_cbranch_execz .LBB270_61
.LBB270_88:                             ;   in Loop: Header=BB270_13 Depth=1
	v_cvt_f32_i32_e32 v17, v17
	v_add_f32_e32 v17, v20, v17
	s_waitcnt vmcnt(7)
	v_lshlrev_b32_e32 v20, 16, v25
	v_add_f32_e32 v20, v17, v20
	v_and_b32_e32 v17, 0x7f800000, v20
	v_cmp_ne_u32_e64 s[8:9], s46, v17
                                        ; implicit-def: $vgpr17
	s_and_saveexec_b64 s[36:37], s[8:9]
	s_xor_b64 s[8:9], exec, s[36:37]
; %bb.89:                               ;   in Loop: Header=BB270_13 Depth=1
	v_bfe_u32 v17, v20, 16, 1
	v_add3_u32 v17, v20, v17, s14
                                        ; implicit-def: $vgpr20
; %bb.90:                               ;   in Loop: Header=BB270_13 Depth=1
	s_andn2_saveexec_b64 s[36:37], s[8:9]
; %bb.91:                               ;   in Loop: Header=BB270_13 Depth=1
	v_or_b32_e32 v17, 0x10000, v20
	v_cmp_eq_u32_sdwa s[8:9], v20, v119 src0_sel:WORD_0 src1_sel:DWORD
	s_nop 1
	v_cndmask_b32_e64 v17, v17, v20, s[8:9]
; %bb.92:                               ;   in Loop: Header=BB270_13 Depth=1
	s_or_b64 exec, exec, s[36:37]
	v_add_u32_e32 v20, 1, v118
	v_mov_b32_e32 v21, v119
	s_waitcnt lgkmcnt(0)
	v_lshl_add_u64 v[20:21], v[20:21], 1, s[22:23]
	global_store_short_d16_hi v[20:21], v17, off
	s_or_b64 exec, exec, s[34:35]
	s_and_saveexec_b64 s[34:35], s[6:7]
	s_cbranch_execz .LBB270_62
.LBB270_93:                             ;   in Loop: Header=BB270_13 Depth=1
	v_cvt_f32_i32_e32 v14, v14
	v_add_f32_e32 v14, v16, v14
	s_waitcnt vmcnt(6)
	v_lshlrev_b32_e32 v16, 16, v23
	v_add_f32_e32 v16, v14, v16
	v_and_b32_e32 v14, 0x7f800000, v16
	v_cmp_ne_u32_e64 s[8:9], s46, v14
                                        ; implicit-def: $vgpr14
	s_and_saveexec_b64 s[36:37], s[8:9]
	s_xor_b64 s[8:9], exec, s[36:37]
; %bb.94:                               ;   in Loop: Header=BB270_13 Depth=1
	v_bfe_u32 v14, v16, 16, 1
	v_add3_u32 v14, v16, v14, s14
                                        ; implicit-def: $vgpr16
; %bb.95:                               ;   in Loop: Header=BB270_13 Depth=1
	s_andn2_saveexec_b64 s[36:37], s[8:9]
; %bb.96:                               ;   in Loop: Header=BB270_13 Depth=1
	v_or_b32_e32 v14, 0x10000, v16
	v_cmp_eq_u32_sdwa s[8:9], v16, v119 src0_sel:WORD_0 src1_sel:DWORD
	s_nop 1
	v_cndmask_b32_e64 v14, v14, v16, s[8:9]
; %bb.97:                               ;   in Loop: Header=BB270_13 Depth=1
	s_or_b64 exec, exec, s[36:37]
	v_add_u32_e32 v16, 2, v118
	v_mov_b32_e32 v17, v119
	s_waitcnt lgkmcnt(0)
	v_lshl_add_u64 v[16:17], v[16:17], 1, s[22:23]
	global_store_short_d16_hi v[16:17], v14, off
	s_or_b64 exec, exec, s[34:35]
	v_add_u32_e32 v118, s15, v118
	s_and_saveexec_b64 s[34:35], vcc
	s_cbranch_execz .LBB270_63
.LBB270_98:                             ;   in Loop: Header=BB270_13 Depth=1
	v_cvt_f32_i32_e32 v10, v10
	v_add_f32_e32 v10, v13, v10
	s_waitcnt vmcnt(5)
	v_lshlrev_b32_e32 v13, 16, v22
	v_add_f32_e32 v13, v10, v13
	v_and_b32_e32 v10, 0x7f800000, v13
	v_cmp_ne_u32_e64 s[8:9], s46, v10
                                        ; implicit-def: $vgpr10
	s_and_saveexec_b64 s[36:37], s[8:9]
	s_xor_b64 s[8:9], exec, s[36:37]
; %bb.99:                               ;   in Loop: Header=BB270_13 Depth=1
	v_bfe_u32 v10, v13, 16, 1
	v_add3_u32 v10, v13, v10, s14
                                        ; implicit-def: $vgpr13
; %bb.100:                              ;   in Loop: Header=BB270_13 Depth=1
	s_andn2_saveexec_b64 s[36:37], s[8:9]
; %bb.101:                              ;   in Loop: Header=BB270_13 Depth=1
	v_or_b32_e32 v10, 0x10000, v13
	v_cmp_eq_u32_sdwa s[8:9], v13, v119 src0_sel:WORD_0 src1_sel:DWORD
	s_nop 1
	v_cndmask_b32_e64 v10, v10, v13, s[8:9]
; %bb.102:                              ;   in Loop: Header=BB270_13 Depth=1
	s_or_b64 exec, exec, s[36:37]
	s_waitcnt lgkmcnt(0)
	v_lshl_add_u64 v[16:17], v[118:119], 1, s[22:23]
	global_store_short_d16_hi v[16:17], v10, off
	s_or_b64 exec, exec, s[34:35]
	s_and_saveexec_b64 s[34:35], s[4:5]
	s_cbranch_execz .LBB270_64
.LBB270_103:                            ;   in Loop: Header=BB270_13 Depth=1
	v_cvt_f32_i32_e32 v8, v8
	s_waitcnt vmcnt(4)
	v_lshlrev_b32_e32 v10, 16, v19
	v_add_f32_e32 v8, v12, v8
	v_add_f32_e32 v10, v8, v10
	v_and_b32_e32 v8, 0x7f800000, v10
	v_cmp_ne_u32_e64 s[8:9], s46, v8
                                        ; implicit-def: $vgpr8
	s_and_saveexec_b64 s[36:37], s[8:9]
	s_xor_b64 s[8:9], exec, s[36:37]
; %bb.104:                              ;   in Loop: Header=BB270_13 Depth=1
	v_bfe_u32 v8, v10, 16, 1
	v_add3_u32 v8, v10, v8, s14
                                        ; implicit-def: $vgpr10
; %bb.105:                              ;   in Loop: Header=BB270_13 Depth=1
	s_andn2_saveexec_b64 s[36:37], s[8:9]
; %bb.106:                              ;   in Loop: Header=BB270_13 Depth=1
	v_or_b32_e32 v8, 0x10000, v10
	v_cmp_eq_u32_sdwa s[8:9], v10, v119 src0_sel:WORD_0 src1_sel:DWORD
	s_nop 1
	v_cndmask_b32_e64 v8, v8, v10, s[8:9]
; %bb.107:                              ;   in Loop: Header=BB270_13 Depth=1
	s_or_b64 exec, exec, s[36:37]
	v_add_u32_e32 v12, 1, v118
	v_mov_b32_e32 v13, v119
	s_waitcnt lgkmcnt(0)
	v_lshl_add_u64 v[12:13], v[12:13], 1, s[22:23]
	global_store_short_d16_hi v[12:13], v8, off
	s_or_b64 exec, exec, s[34:35]
	s_and_saveexec_b64 s[34:35], s[6:7]
	s_cbranch_execz .LBB270_65
.LBB270_108:                            ;   in Loop: Header=BB270_13 Depth=1
	v_cvt_f32_i32_e32 v8, v9
	v_add_f32_e32 v7, v7, v8
	s_waitcnt vmcnt(3)
	v_lshlrev_b32_e32 v8, 16, v18
	v_add_f32_e32 v8, v7, v8
	v_and_b32_e32 v7, 0x7f800000, v8
	v_cmp_ne_u32_e64 s[8:9], s46, v7
                                        ; implicit-def: $vgpr7
	s_and_saveexec_b64 s[36:37], s[8:9]
	s_xor_b64 s[8:9], exec, s[36:37]
; %bb.109:                              ;   in Loop: Header=BB270_13 Depth=1
	v_bfe_u32 v7, v8, 16, 1
	v_add3_u32 v7, v8, v7, s14
                                        ; implicit-def: $vgpr8
; %bb.110:                              ;   in Loop: Header=BB270_13 Depth=1
	s_andn2_saveexec_b64 s[36:37], s[8:9]
; %bb.111:                              ;   in Loop: Header=BB270_13 Depth=1
	v_or_b32_e32 v7, 0x10000, v8
	v_cmp_eq_u32_sdwa s[8:9], v8, v119 src0_sel:WORD_0 src1_sel:DWORD
	s_nop 1
	v_cndmask_b32_e64 v7, v7, v8, s[8:9]
; %bb.112:                              ;   in Loop: Header=BB270_13 Depth=1
	s_or_b64 exec, exec, s[36:37]
	v_add_u32_e32 v8, 2, v118
	v_mov_b32_e32 v9, v119
	s_waitcnt lgkmcnt(0)
	v_lshl_add_u64 v[8:9], v[8:9], 1, s[22:23]
	global_store_short_d16_hi v[8:9], v7, off
	s_or_b64 exec, exec, s[34:35]
	v_add_u32_e32 v118, s15, v118
	s_and_saveexec_b64 s[8:9], vcc
	s_cbranch_execz .LBB270_66
.LBB270_113:                            ;   in Loop: Header=BB270_13 Depth=1
	v_cvt_f32_i32_e32 v5, v5
	v_add_f32_e32 v4, v4, v5
	s_waitcnt vmcnt(2)
	v_lshlrev_b32_e32 v5, 16, v15
	v_add_f32_e32 v5, v4, v5
	v_and_b32_e32 v4, 0x7f800000, v5
	v_cmp_ne_u32_e32 vcc, s46, v4
                                        ; implicit-def: $vgpr4
	s_and_saveexec_b64 s[34:35], vcc
	s_xor_b64 s[34:35], exec, s[34:35]
; %bb.114:                              ;   in Loop: Header=BB270_13 Depth=1
	v_bfe_u32 v4, v5, 16, 1
	v_add3_u32 v4, v5, v4, s14
                                        ; implicit-def: $vgpr5
; %bb.115:                              ;   in Loop: Header=BB270_13 Depth=1
	s_andn2_saveexec_b64 s[34:35], s[34:35]
; %bb.116:                              ;   in Loop: Header=BB270_13 Depth=1
	v_or_b32_e32 v4, 0x10000, v5
	v_cmp_eq_u32_sdwa vcc, v5, v119 src0_sel:WORD_0 src1_sel:DWORD
	s_nop 1
	v_cndmask_b32_e32 v4, v4, v5, vcc
; %bb.117:                              ;   in Loop: Header=BB270_13 Depth=1
	s_or_b64 exec, exec, s[34:35]
	s_waitcnt lgkmcnt(0)
	v_lshl_add_u64 v[8:9], v[118:119], 1, s[22:23]
	global_store_short_d16_hi v[8:9], v4, off
	s_or_b64 exec, exec, s[8:9]
	s_and_saveexec_b64 s[8:9], s[4:5]
	s_cbranch_execz .LBB270_67
.LBB270_118:                            ;   in Loop: Header=BB270_13 Depth=1
	v_cvt_f32_i32_e32 v3, v3
	v_add_f32_e32 v2, v2, v3
	s_waitcnt vmcnt(1)
	v_lshlrev_b32_e32 v3, 16, v11
	v_add_f32_e32 v3, v2, v3
	v_and_b32_e32 v2, 0x7f800000, v3
	v_cmp_ne_u32_e32 vcc, s46, v2
                                        ; implicit-def: $vgpr2
	s_and_saveexec_b64 s[4:5], vcc
	s_xor_b64 s[4:5], exec, s[4:5]
; %bb.119:                              ;   in Loop: Header=BB270_13 Depth=1
	v_bfe_u32 v2, v3, 16, 1
	v_add3_u32 v2, v3, v2, s14
                                        ; implicit-def: $vgpr3
; %bb.120:                              ;   in Loop: Header=BB270_13 Depth=1
	s_andn2_saveexec_b64 s[4:5], s[4:5]
; %bb.121:                              ;   in Loop: Header=BB270_13 Depth=1
	v_or_b32_e32 v2, 0x10000, v3
	v_cmp_eq_u32_sdwa vcc, v3, v119 src0_sel:WORD_0 src1_sel:DWORD
	s_nop 1
	v_cndmask_b32_e32 v2, v2, v3, vcc
; %bb.122:                              ;   in Loop: Header=BB270_13 Depth=1
	s_or_b64 exec, exec, s[4:5]
	v_add_u32_e32 v4, 1, v118
	v_mov_b32_e32 v5, v119
	s_waitcnt lgkmcnt(0)
	v_lshl_add_u64 v[4:5], v[4:5], 1, s[22:23]
	global_store_short_d16_hi v[4:5], v2, off
	s_or_b64 exec, exec, s[8:9]
	s_and_b64 exec, exec, s[6:7]
	s_cbranch_execz .LBB270_128
.LBB270_123:                            ;   in Loop: Header=BB270_13 Depth=1
	v_cvt_f32_i32_e32 v1, v1
	v_add_f32_e32 v0, v0, v1
	s_waitcnt vmcnt(0)
	v_lshlrev_b32_e32 v1, 16, v6
	v_add_f32_e32 v1, v0, v1
	v_and_b32_e32 v0, 0x7f800000, v1
	v_cmp_ne_u32_e32 vcc, s46, v0
                                        ; implicit-def: $vgpr0
	s_and_saveexec_b64 s[4:5], vcc
	s_xor_b64 s[4:5], exec, s[4:5]
; %bb.124:                              ;   in Loop: Header=BB270_13 Depth=1
	v_bfe_u32 v0, v1, 16, 1
	v_add3_u32 v0, v1, v0, s14
                                        ; implicit-def: $vgpr1
; %bb.125:                              ;   in Loop: Header=BB270_13 Depth=1
	s_andn2_saveexec_b64 s[4:5], s[4:5]
; %bb.126:                              ;   in Loop: Header=BB270_13 Depth=1
	v_or_b32_e32 v0, 0x10000, v1
	v_cmp_eq_u32_sdwa vcc, v1, v119 src0_sel:WORD_0 src1_sel:DWORD
	s_nop 1
	v_cndmask_b32_e32 v0, v0, v1, vcc
; %bb.127:                              ;   in Loop: Header=BB270_13 Depth=1
	s_or_b64 exec, exec, s[4:5]
	v_add_u32_e32 v118, 2, v118
	s_waitcnt lgkmcnt(0)
	v_lshl_add_u64 v[2:3], v[118:119], 1, s[22:23]
	global_store_short_d16_hi v[2:3], v0, off
.LBB270_128:                            ;   in Loop: Header=BB270_13 Depth=1
	s_or_b64 exec, exec, s[30:31]
	v_add_u32_e32 v108, s40, v108
	v_add_u32_e32 v0, 3, v108
	v_cmp_gt_u32_e32 vcc, s15, v108
	v_cmp_le_u32_e64 s[4:5], s15, v0
	s_and_b64 s[4:5], vcc, s[4:5]
	s_and_saveexec_b64 s[6:7], s[4:5]
	s_cbranch_execz .LBB270_12
; %bb.129:                              ;   in Loop: Header=BB270_13 Depth=1
	v_cmp_ne_u32_e32 vcc, s11, v108
	s_and_saveexec_b64 s[8:9], vcc
	s_cbranch_execz .LBB270_11
; %bb.130:                              ;   in Loop: Header=BB270_13 Depth=1
	v_subrev_u32_e32 v0, s11, v108
	v_cmp_lt_u32_e32 vcc, 1, v0
	s_mov_b64 s[30:31], 0
	s_mov_b64 s[34:35], 0
	v_cndmask_b32_e32 v0, 1, v0, vcc
.LBB270_131:                            ;   Parent Loop BB270_13 Depth=1
                                        ; =>  This Inner Loop Header: Depth=2
	s_cmp_lg_u32 s34, 2
	s_cselect_b64 vcc, -1, 0
	s_cmp_lg_u32 s34, 1
	v_cndmask_b32_e32 v106, 0, v106, vcc
	s_cselect_b64 vcc, -1, 0
	s_cmp_lg_u32 s34, 0
	v_cndmask_b32_e32 v105, 0, v105, vcc
	s_cselect_b64 vcc, -1, 0
	s_add_u32 s34, s34, 1
	s_addc_u32 s35, s35, 0
	v_cmp_eq_u32_e64 s[4:5], s34, v0
	s_or_b64 s[30:31], s[4:5], s[30:31]
	v_cndmask_b32_e32 v104, 0, v104, vcc
	s_andn2_b64 exec, exec, s[30:31]
	s_cbranch_execnz .LBB270_131
; %bb.132:                              ;   in Loop: Header=BB270_13 Depth=1
	s_or_b64 exec, exec, s[30:31]
	s_branch .LBB270_11
.LBB270_133:
	s_endpgm
	.section	.rodata,"a",@progbits
	.p2align	6, 0x0
	.amdhsa_kernel _Z12wvSplitK_hf_I14__hip_bfloat16Li64ELi3ELi16ELi8ELi2ELi4EEviiiiiiPKT_S3_S3_PS1_ii
		.amdhsa_group_segment_fixed_size 65536
		.amdhsa_private_segment_fixed_size 8
		.amdhsa_kernarg_size 64
		.amdhsa_user_sgpr_count 2
		.amdhsa_user_sgpr_dispatch_ptr 0
		.amdhsa_user_sgpr_queue_ptr 0
		.amdhsa_user_sgpr_kernarg_segment_ptr 1
		.amdhsa_user_sgpr_dispatch_id 0
		.amdhsa_user_sgpr_kernarg_preload_length 0
		.amdhsa_user_sgpr_kernarg_preload_offset 0
		.amdhsa_user_sgpr_private_segment_size 0
		.amdhsa_uses_dynamic_stack 0
		.amdhsa_enable_private_segment 1
		.amdhsa_system_sgpr_workgroup_id_x 1
		.amdhsa_system_sgpr_workgroup_id_y 0
		.amdhsa_system_sgpr_workgroup_id_z 0
		.amdhsa_system_sgpr_workgroup_info 0
		.amdhsa_system_vgpr_workitem_id 1
		.amdhsa_next_free_vgpr 128
		.amdhsa_next_free_sgpr 47
		.amdhsa_accum_offset 128
		.amdhsa_reserve_vcc 1
		.amdhsa_float_round_mode_32 0
		.amdhsa_float_round_mode_16_64 0
		.amdhsa_float_denorm_mode_32 3
		.amdhsa_float_denorm_mode_16_64 3
		.amdhsa_dx10_clamp 1
		.amdhsa_ieee_mode 1
		.amdhsa_fp16_overflow 0
		.amdhsa_tg_split 0
		.amdhsa_exception_fp_ieee_invalid_op 0
		.amdhsa_exception_fp_denorm_src 0
		.amdhsa_exception_fp_ieee_div_zero 0
		.amdhsa_exception_fp_ieee_overflow 0
		.amdhsa_exception_fp_ieee_underflow 0
		.amdhsa_exception_fp_ieee_inexact 0
		.amdhsa_exception_int_div_zero 0
	.end_amdhsa_kernel
	.section	.text._Z12wvSplitK_hf_I14__hip_bfloat16Li64ELi3ELi16ELi8ELi2ELi4EEviiiiiiPKT_S3_S3_PS1_ii,"axG",@progbits,_Z12wvSplitK_hf_I14__hip_bfloat16Li64ELi3ELi16ELi8ELi2ELi4EEviiiiiiPKT_S3_S3_PS1_ii,comdat
.Lfunc_end270:
	.size	_Z12wvSplitK_hf_I14__hip_bfloat16Li64ELi3ELi16ELi8ELi2ELi4EEviiiiiiPKT_S3_S3_PS1_ii, .Lfunc_end270-_Z12wvSplitK_hf_I14__hip_bfloat16Li64ELi3ELi16ELi8ELi2ELi4EEviiiiiiPKT_S3_S3_PS1_ii
                                        ; -- End function
	.section	.AMDGPU.csdata,"",@progbits
; Kernel info:
; codeLenInByte = 6368
; NumSgprs: 53
; NumVgprs: 128
; NumAgprs: 0
; TotalNumVgprs: 128
; ScratchSize: 8
; MemoryBound: 1
; FloatMode: 240
; IeeeMode: 1
; LDSByteSize: 65536 bytes/workgroup (compile time only)
; SGPRBlocks: 6
; VGPRBlocks: 15
; NumSGPRsForWavesPerEU: 53
; NumVGPRsForWavesPerEU: 128
; AccumOffset: 128
; Occupancy: 4
; WaveLimiterHint : 0
; COMPUTE_PGM_RSRC2:SCRATCH_EN: 1
; COMPUTE_PGM_RSRC2:USER_SGPR: 2
; COMPUTE_PGM_RSRC2:TRAP_HANDLER: 0
; COMPUTE_PGM_RSRC2:TGID_X_EN: 1
; COMPUTE_PGM_RSRC2:TGID_Y_EN: 0
; COMPUTE_PGM_RSRC2:TGID_Z_EN: 0
; COMPUTE_PGM_RSRC2:TIDIG_COMP_CNT: 1
; COMPUTE_PGM_RSRC3_GFX90A:ACCUM_OFFSET: 31
; COMPUTE_PGM_RSRC3_GFX90A:TG_SPLIT: 0
	.section	.text._Z16wvSplitK_hf_big_I14__hip_bfloat16Li64ELi3ELi16ELi8ELi2ELi4EEviiiiiiPKT_S3_S3_PS1_ii,"axG",@progbits,_Z16wvSplitK_hf_big_I14__hip_bfloat16Li64ELi3ELi16ELi8ELi2ELi4EEviiiiiiPKT_S3_S3_PS1_ii,comdat
	.protected	_Z16wvSplitK_hf_big_I14__hip_bfloat16Li64ELi3ELi16ELi8ELi2ELi4EEviiiiiiPKT_S3_S3_PS1_ii ; -- Begin function _Z16wvSplitK_hf_big_I14__hip_bfloat16Li64ELi3ELi16ELi8ELi2ELi4EEviiiiiiPKT_S3_S3_PS1_ii
	.globl	_Z16wvSplitK_hf_big_I14__hip_bfloat16Li64ELi3ELi16ELi8ELi2ELi4EEviiiiiiPKT_S3_S3_PS1_ii
	.p2align	8
	.type	_Z16wvSplitK_hf_big_I14__hip_bfloat16Li64ELi3ELi16ELi8ELi2ELi4EEviiiiiiPKT_S3_S3_PS1_ii,@function
_Z16wvSplitK_hf_big_I14__hip_bfloat16Li64ELi3ELi16ELi8ELi2ELi4EEviiiiiiPKT_S3_S3_PS1_ii: ; @_Z16wvSplitK_hf_big_I14__hip_bfloat16Li64ELi3ELi16ELi8ELi2ELi4EEviiiiiiPKT_S3_S3_PS1_ii
; %bb.0:
	s_load_dwordx2 s[8:9], s[0:1], 0x38
	v_bfe_u32 v1, v0, 10, 10
	s_waitcnt lgkmcnt(0)
	v_cmp_gt_u32_e32 vcc, s8, v1
	s_and_saveexec_b64 s[4:5], vcc
	s_cbranch_execz .LBB271_112
; %bb.1:
	s_load_dwordx4 s[20:23], s[0:1], 0x0
	s_mul_i32 s2, s2, s8
	v_add_u32_e32 v2, s2, v1
	v_lshl_add_u32 v108, v2, 1, v2
	s_mov_b32 s4, 1
	v_add_u32_e32 v2, 3, v108
	s_mov_b32 s6, s4
	s_waitcnt lgkmcnt(0)
	v_cmp_gt_u32_e32 vcc, s23, v108
	v_cmp_le_u32_e64 s[2:3], s23, v2
	s_mov_b32 s5, s4
	v_mov_b32_e32 v106, s6
	s_and_b64 s[10:11], vcc, s[2:3]
	v_mov_b32_e32 v105, s5
	v_mov_b32_e32 v104, s4
	s_and_saveexec_b64 s[2:3], s[10:11]
	s_cbranch_execz .LBB271_7
; %bb.2:
	s_add_i32 s7, s23, -3
	v_mov_b32_e32 v106, s6
	v_cmp_ne_u32_e32 vcc, s7, v108
	v_mov_b32_e32 v105, s5
	v_mov_b32_e32 v104, s4
	s_and_saveexec_b64 s[10:11], vcc
	s_cbranch_execz .LBB271_6
; %bb.3:
	v_subrev_u32_e32 v2, s7, v108
	v_cmp_lt_u32_e32 vcc, 1, v2
	s_mov_b64 s[12:13], 0
	s_mov_b64 s[14:15], 0
	v_cndmask_b32_e32 v2, 1, v2, vcc
	s_mov_b32 s5, s4
	s_mov_b32 s6, s4
.LBB271_4:                              ; =>This Inner Loop Header: Depth=1
	s_cmp_lg_u32 s14, 2
	s_cselect_b32 s6, s6, 0
	s_cmp_lg_u32 s14, 1
	s_cselect_b32 s5, s5, 0
	;; [unrolled: 2-line block ×3, first 2 shown]
	s_add_u32 s14, s14, 1
	s_addc_u32 s15, s15, 0
	v_cmp_eq_u32_e32 vcc, s14, v2
	v_mov_b32_e32 v106, s6
	s_or_b64 s[12:13], vcc, s[12:13]
	v_mov_b32_e32 v105, s5
	v_mov_b32_e32 v104, s4
	s_andn2_b64 exec, exec, s[12:13]
	s_cbranch_execnz .LBB271_4
; %bb.5:
	s_or_b64 exec, exec, s[12:13]
	v_mov_b32_e32 v108, s7
.LBB271_6:
	s_or_b64 exec, exec, s[10:11]
.LBB271_7:
	s_or_b64 exec, exec, s[2:3]
	s_mul_i32 s46, s8, 3
	s_abs_i32 s2, s46
	v_cvt_f32_u32_e32 v2, s2
	s_sub_i32 s5, 0, s2
	s_abs_i32 s4, s23
	s_ashr_i32 s3, s23, 31
	v_rcp_iflag_f32_e32 v2, v2
	s_nop 0
	v_mul_f32_e32 v2, 0x4f7ffffe, v2
	v_cvt_u32_f32_e32 v2, v2
	s_nop 0
	v_readfirstlane_b32 s6, v2
	s_mul_i32 s5, s5, s6
	s_mul_hi_u32 s5, s6, s5
	s_add_i32 s6, s6, s5
	s_mul_hi_u32 s5, s4, s6
	s_mul_i32 s5, s5, s2
	s_sub_i32 s4, s4, s5
	s_sub_i32 s5, s4, s2
	s_cmp_ge_u32 s4, s2
	s_cselect_b32 s4, s5, s4
	s_sub_i32 s5, s4, s2
	s_cmp_ge_u32 s4, s2
	s_cselect_b32 s2, s5, s4
	s_xor_b32 s2, s2, s3
	s_sub_i32 s2, s2, s3
	s_add_i32 s3, s46, s23
	s_sub_i32 s3, s3, s2
	s_cmp_eq_u32 s2, 0
	s_cselect_b32 s33, s23, s3
	v_cmp_gt_u32_e32 vcc, s33, v108
	s_and_b64 exec, exec, vcc
	s_cbranch_execz .LBB271_112
; %bb.8:
	s_load_dwordx8 s[12:19], s[0:1], 0x10
	s_min_u32 s42, s22, 0x2000
	s_cmp_lg_u32 s20, 0
	s_cselect_b64 s[2:3], -1, 0
	s_cmp_lg_u32 s22, 0
	s_cselect_b64 s[4:5], -1, 0
	s_lshl_b32 s43, s8, 9
	s_add_i32 s44, s20, -8
	s_add_i32 s45, s23, -1
	s_waitcnt lgkmcnt(0)
	s_cmp_lg_u64 s[18:19], 0
	s_cselect_b64 s[28:29], -1, 0
	s_abs_i32 s6, s13
	v_cvt_f32_u32_e32 v2, s12
	v_cvt_f32_u32_e32 v3, s6
	s_sub_i32 s7, 0, s12
	s_mul_i32 s46, s46, s9
	v_rcp_iflag_f32_e32 v2, v2
	v_rcp_iflag_f32_e32 v3, v3
	s_add_i32 s13, s23, -3
	s_load_dwordx2 s[24:25], s[0:1], 0x30
	v_mul_f32_e32 v2, 0x4f7ffffe, v2
	v_mul_f32_e32 v3, 0x4f7ffffe, v3
	v_cvt_u32_f32_e32 v2, v2
	v_cvt_u32_f32_e32 v3, v3
	v_and_b32_e32 v0, 0x3ff, v0
	v_lshlrev_b32_e32 v107, 3, v0
	v_mul_lo_u32 v4, s7, v2
	s_sub_i32 s7, 0, s6
	v_readfirstlane_b32 s9, v3
	s_mul_i32 s7, s7, s9
	s_mul_hi_u32 s7, s9, s7
	s_add_i32 s9, s9, s7
	s_sub_i32 s7, 1, s6
	s_cmp_lt_u32 s6, 2
	s_cselect_b32 s7, s7, 1
	s_sub_i32 s10, s7, s6
	s_cmp_ge_u32 s7, s6
	s_cselect_b32 s47, s10, s7
	s_lshr_b32 s7, s9, 31
	s_mul_i32 s7, s7, s6
	s_sub_i32 s7, 2, s7
	s_sub_i32 s10, s7, s6
	s_cmp_ge_u32 s7, s6
	s_cselect_b32 s7, s10, s7
	s_sub_i32 s10, s7, s6
	s_cmp_ge_u32 s7, s6
	s_cselect_b32 s48, s10, s7
	s_mul_hi_u32 s7, s9, 3
	s_mul_i32 s7, s7, s6
	s_sub_i32 s7, 3, s7
	s_sub_i32 s9, s7, s6
	s_cmp_ge_u32 s7, s6
	s_cselect_b32 s7, s9, s7
	v_cmp_eq_u32_e64 s[0:1], 63, v0
	v_mul_hi_u32 v4, v2, v4
	s_sub_i32 s9, s7, s6
	v_lshlrev_b32_e32 v0, 4, v0
	v_add_u32_e32 v113, v2, v4
	s_cmp_ge_u32 s7, s6
	v_lshl_add_u32 v122, v1, 10, v0
	v_lshl_add_u32 v112, v1, 9, v107
	v_cndmask_b32_e64 v0, 0, 1, s[2:3]
	s_cselect_b32 s49, s9, s7
	s_waitcnt lgkmcnt(0)
	s_add_u32 s30, s24, 2
	v_mad_u64_u32 v[114:115], s[6:7], s22, 3, v[112:113]
	v_cmp_ne_u32_e64 s[2:3], 1, v0
	v_cndmask_b32_e64 v0, 0, 1, s[4:5]
	s_mov_b64 s[26:27], 0
	v_mov_b32_e32 v111, 0
	s_mul_i32 s47, s47, s12
	s_mul_i32 s48, s48, s12
	;; [unrolled: 1-line block ×3, first 2 shown]
	s_addc_u32 s31, s25, 0
	s_mul_i32 s50, s42, 6
	s_lshl_b32 s51, s8, 10
	s_lshl_b32 s52, s42, 2
	;; [unrolled: 1-line block ×3, first 2 shown]
	v_lshl_add_u32 v123, s22, 1, v112
	v_add_u32_e32 v115, s22, v112
	s_mov_b32 s54, 0x7f800000
	s_movk_i32 s55, 0x7fff
	v_cmp_ne_u32_e64 s[4:5], 1, v0
	s_branch .LBB271_12
.LBB271_9:                              ;   in Loop: Header=BB271_12 Depth=1
	s_or_b64 exec, exec, s[10:11]
	v_mov_b32_e32 v108, s13
.LBB271_10:                             ;   in Loop: Header=BB271_12 Depth=1
	s_or_b64 exec, exec, s[8:9]
.LBB271_11:                             ;   in Loop: Header=BB271_12 Depth=1
	s_or_b64 exec, exec, s[34:35]
	v_cmp_le_u32_e32 vcc, s33, v108
	s_or_b64 s[26:27], vcc, s[26:27]
	s_andn2_b64 exec, exec, s[26:27]
	s_cbranch_execz .LBB271_112
.LBB271_12:                             ; =>This Loop Header: Depth=1
                                        ;     Child Loop BB271_17 Depth 2
                                        ;       Child Loop BB271_22 Depth 3
                                        ;     Child Loop BB271_110 Depth 2
	s_and_b64 vcc, exec, s[2:3]
	v_mov_b32_e32 v3, v111
	v_mov_b32_e32 v2, v111
	;; [unrolled: 1-line block ×5, first 2 shown]
	s_waitcnt vmcnt(0)
	v_mov_b32_e32 v6, v111
	v_mov_b32_e32 v5, v111
	;; [unrolled: 1-line block ×43, first 2 shown]
	s_cbranch_vccnz .LBB271_29
; %bb.13:                               ;   in Loop: Header=BB271_12 Depth=1
	v_min_u32_e32 v0, s45, v108
	v_mul_lo_u32 v110, v0, s21
	v_add_u32_e32 v0, 1, v108
	v_add_u32_e32 v2, 2, v108
	v_min_u32_e32 v0, s45, v0
	v_min_u32_e32 v2, s45, v2
	v_mul_lo_u32 v0, v0, s21
	v_mov_b32_e32 v1, v111
	v_mul_lo_u32 v2, v2, s21
	v_mov_b32_e32 v3, v111
	v_mov_b32_e32 v24, 0
	v_cmp_gt_u32_e64 s[6:7], s23, v108
	s_mov_b32 s36, 0
	v_lshlrev_b64 v[116:117], 1, v[110:111]
	v_lshlrev_b64 v[118:119], 1, v[0:1]
	;; [unrolled: 1-line block ×3, first 2 shown]
	s_mov_b32 s37, 0
	v_mov_b32_e32 v25, v24
	v_mov_b32_e32 v26, v24
	v_mov_b32_e32 v27, v24
	v_mov_b32_e32 v28, v24
	v_mov_b32_e32 v29, v24
	v_mov_b32_e32 v30, v24
	v_mov_b32_e32 v31, v24
	v_mov_b32_e32 v32, v24
	v_mov_b32_e32 v33, v24
	v_mov_b32_e32 v34, v24
	v_mov_b32_e32 v35, v24
	v_mov_b32_e32 v36, v24
	v_mov_b32_e32 v37, v24
	v_mov_b32_e32 v38, v24
	v_mov_b32_e32 v39, v24
	v_mov_b32_e32 v40, v24
	v_mov_b32_e32 v41, v24
	v_mov_b32_e32 v42, v24
	v_mov_b32_e32 v43, v24
	v_mov_b32_e32 v44, v24
	v_mov_b32_e32 v45, v24
	v_mov_b32_e32 v46, v24
	v_mov_b32_e32 v47, v24
	v_mov_b32_e32 v20, v24
	v_mov_b32_e32 v21, v24
	v_mov_b32_e32 v22, v24
	v_mov_b32_e32 v23, v24
	v_mov_b32_e32 v16, v24
	v_mov_b32_e32 v17, v24
	v_mov_b32_e32 v18, v24
	v_mov_b32_e32 v19, v24
	v_mov_b32_e32 v12, v24
	v_mov_b32_e32 v13, v24
	v_mov_b32_e32 v14, v24
	v_mov_b32_e32 v15, v24
	v_mov_b32_e32 v8, v24
	v_mov_b32_e32 v9, v24
	v_mov_b32_e32 v10, v24
	v_mov_b32_e32 v11, v24
	v_mov_b32_e32 v4, v24
	v_mov_b32_e32 v5, v24
	v_mov_b32_e32 v6, v24
	v_mov_b32_e32 v7, v24
	v_mov_b32_e32 v0, v24
	v_mov_b32_e32 v1, v24
	v_mov_b32_e32 v2, v24
	v_mov_b32_e32 v3, v24
	s_branch .LBB271_17
.LBB271_14:                             ;   in Loop: Header=BB271_17 Depth=2
	s_or_b64 exec, exec, s[34:35]
.LBB271_15:                             ;   in Loop: Header=BB271_17 Depth=2
	s_or_b64 exec, exec, s[10:11]
	s_waitcnt vmcnt(5) lgkmcnt(3)
	v_mfma_f32_4x4x4_16b_bf16 v[44:47], v[100:101], v[64:65], v[44:47]
	s_waitcnt vmcnt(4)
	v_mfma_f32_4x4x4_16b_bf16 v[40:43], v[100:101], v[60:61], v[40:43]
	s_waitcnt vmcnt(3)
	v_mfma_f32_4x4x4_16b_bf16 v[36:39], v[100:101], v[68:69], v[36:39]
	s_waitcnt lgkmcnt(2)
	v_mfma_f32_4x4x4_16b_bf16 v[32:35], v[96:97], v[64:65], v[32:35]
	v_mfma_f32_4x4x4_16b_bf16 v[28:31], v[96:97], v[60:61], v[28:31]
	v_mfma_f32_4x4x4_16b_bf16 v[24:27], v[96:97], v[68:69], v[24:27]
	s_waitcnt lgkmcnt(1)
	v_mfma_f32_4x4x4_16b_bf16 v[20:23], v[92:93], v[64:65], v[20:23]
	v_mfma_f32_4x4x4_16b_bf16 v[16:19], v[92:93], v[60:61], v[16:19]
	;; [unrolled: 4-line block ×3, first 2 shown]
	v_mfma_f32_4x4x4_16b_bf16 v[0:3], v[88:89], v[68:69], v[0:3]
	v_mfma_f32_4x4x4_16b_bf16 v[44:47], v[102:103], v[66:67], v[44:47]
	v_mfma_f32_4x4x4_16b_bf16 v[40:43], v[102:103], v[62:63], v[40:43]
	v_mfma_f32_4x4x4_16b_bf16 v[36:39], v[102:103], v[70:71], v[36:39]
	v_mfma_f32_4x4x4_16b_bf16 v[32:35], v[98:99], v[66:67], v[32:35]
	v_mfma_f32_4x4x4_16b_bf16 v[28:31], v[98:99], v[62:63], v[28:31]
	v_mfma_f32_4x4x4_16b_bf16 v[24:27], v[98:99], v[70:71], v[24:27]
	v_mfma_f32_4x4x4_16b_bf16 v[20:23], v[94:95], v[66:67], v[20:23]
	v_mfma_f32_4x4x4_16b_bf16 v[16:19], v[94:95], v[62:63], v[16:19]
	v_mfma_f32_4x4x4_16b_bf16 v[12:15], v[94:95], v[70:71], v[12:15]
	v_mfma_f32_4x4x4_16b_bf16 v[8:11], v[90:91], v[66:67], v[8:11]
	v_mfma_f32_4x4x4_16b_bf16 v[4:7], v[90:91], v[62:63], v[4:7]
	v_mfma_f32_4x4x4_16b_bf16 v[0:3], v[90:91], v[70:71], v[0:3]
	s_waitcnt vmcnt(2)
	v_mfma_f32_4x4x4_16b_bf16 v[44:47], v[84:85], v[48:49], v[44:47]
	s_waitcnt vmcnt(1)
	v_mfma_f32_4x4x4_16b_bf16 v[40:43], v[84:85], v[56:57], v[40:43]
	;; [unrolled: 2-line block ×3, first 2 shown]
	v_mfma_f32_4x4x4_16b_bf16 v[32:35], v[80:81], v[48:49], v[32:35]
	v_mfma_f32_4x4x4_16b_bf16 v[28:31], v[80:81], v[56:57], v[28:31]
	v_mfma_f32_4x4x4_16b_bf16 v[24:27], v[80:81], v[52:53], v[24:27]
	v_mfma_f32_4x4x4_16b_bf16 v[20:23], v[76:77], v[48:49], v[20:23]
	v_mfma_f32_4x4x4_16b_bf16 v[16:19], v[76:77], v[56:57], v[16:19]
	v_mfma_f32_4x4x4_16b_bf16 v[12:15], v[76:77], v[52:53], v[12:15]
	v_mfma_f32_4x4x4_16b_bf16 v[8:11], v[72:73], v[48:49], v[8:11]
	v_mfma_f32_4x4x4_16b_bf16 v[4:7], v[72:73], v[56:57], v[4:7]
	v_mfma_f32_4x4x4_16b_bf16 v[0:3], v[72:73], v[52:53], v[0:3]
	v_mfma_f32_4x4x4_16b_bf16 v[44:47], v[86:87], v[50:51], v[44:47]
	v_mfma_f32_4x4x4_16b_bf16 v[40:43], v[86:87], v[58:59], v[40:43]
	v_mfma_f32_4x4x4_16b_bf16 v[36:39], v[86:87], v[54:55], v[36:39]
	v_mfma_f32_4x4x4_16b_bf16 v[32:35], v[82:83], v[50:51], v[32:35]
	v_mfma_f32_4x4x4_16b_bf16 v[28:31], v[82:83], v[58:59], v[28:31]
	v_mfma_f32_4x4x4_16b_bf16 v[24:27], v[82:83], v[54:55], v[24:27]
	v_mfma_f32_4x4x4_16b_bf16 v[20:23], v[78:79], v[50:51], v[20:23]
	v_mfma_f32_4x4x4_16b_bf16 v[16:19], v[78:79], v[58:59], v[16:19]
	v_mfma_f32_4x4x4_16b_bf16 v[12:15], v[78:79], v[54:55], v[12:15]
	v_mfma_f32_4x4x4_16b_bf16 v[8:11], v[74:75], v[50:51], v[8:11]
	v_mfma_f32_4x4x4_16b_bf16 v[4:7], v[74:75], v[58:59], v[4:7]
	v_mfma_f32_4x4x4_16b_bf16 v[0:3], v[74:75], v[54:55], v[0:3]
.LBB271_16:                             ;   in Loop: Header=BB271_17 Depth=2
	s_or_b64 exec, exec, s[8:9]
	s_addk_i32 s37, 0x400
	s_cmp_ge_u32 s37, s20
	s_cbranch_scc1 .LBB271_29
.LBB271_17:                             ;   Parent Loop BB271_12 Depth=1
                                        ; =>  This Loop Header: Depth=2
                                        ;       Child Loop BB271_22 Depth 3
	s_cmp_eq_u32 s37, 0
	s_cselect_b64 s[8:9], -1, 0
	s_add_i32 s10, s36, s42
	s_cmp_eq_u32 s37, s10
	s_cselect_b64 s[34:35], -1, 0
	s_or_b64 s[34:35], s[8:9], s[34:35]
	s_andn2_b64 vcc, exec, s[34:35]
	s_cbranch_vccz .LBB271_19
; %bb.18:                               ;   in Loop: Header=BB271_17 Depth=2
	s_and_saveexec_b64 s[8:9], s[6:7]
	s_cbranch_execz .LBB271_16
	s_branch .LBB271_26
.LBB271_19:                             ;   in Loop: Header=BB271_17 Depth=2
	s_and_b64 s[8:9], s[8:9], exec
	s_cselect_b32 s36, s36, s10
	s_and_b64 vcc, exec, s[4:5]
	s_barrier
	s_cbranch_vccnz .LBB271_25
; %bb.20:                               ;   in Loop: Header=BB271_17 Depth=2
	v_add_u32_e32 v48, s36, v123
	v_add_u32_e32 v49, s36, v114
	;; [unrolled: 1-line block ×4, first 2 shown]
	s_mov_b32 s38, 0
	s_mov_b64 s[10:11], 0
	v_mov_b32_e32 v52, v122
                                        ; implicit-def: $sgpr34_sgpr35
	s_branch .LBB271_22
.LBB271_21:                             ;   in Loop: Header=BB271_22 Depth=3
	s_or_b64 exec, exec, s[8:9]
	s_and_b64 s[8:9], exec, s[34:35]
	s_or_b64 s[10:11], s[8:9], s[10:11]
	s_andn2_b64 exec, exec, s[10:11]
	s_cbranch_execz .LBB271_24
.LBB271_22:                             ;   Parent Loop BB271_12 Depth=1
                                        ;     Parent Loop BB271_17 Depth=2
                                        ; =>    This Inner Loop Header: Depth=3
	v_add_u32_e32 v53, s38, v112
	v_add_u32_e32 v110, s38, v51
	v_cmp_gt_u32_e32 vcc, s22, v110
	v_cmp_gt_u32_e64 s[8:9], s42, v53
	s_and_b64 s[40:41], s[8:9], vcc
	s_or_b64 s[34:35], s[34:35], exec
	s_and_saveexec_b64 s[8:9], s[40:41]
	s_cbranch_execz .LBB271_21
; %bb.23:                               ;   in Loop: Header=BB271_22 Depth=3
	v_lshl_add_u64 v[54:55], v[110:111], 1, s[16:17]
	v_add_u32_e32 v110, s38, v50
	v_lshl_add_u64 v[58:59], v[110:111], 1, s[16:17]
	v_add_u32_e32 v110, s38, v48
	global_load_dwordx4 v[54:57], v[54:55], off
	s_nop 0
	global_load_dwordx4 v[58:61], v[58:59], off
	v_lshl_add_u64 v[62:63], v[110:111], 1, s[16:17]
	v_add_u32_e32 v110, s38, v49
	global_load_dwordx4 v[62:65], v[62:63], off
	v_lshl_add_u64 v[66:67], v[110:111], 1, s[16:17]
	global_load_dwordx4 v[66:69], v[66:67], off
	s_add_i32 s38, s38, s43
	s_cmp_ge_u32 s38, s42
	s_cselect_b64 s[40:41], -1, 0
	s_andn2_b64 s[34:35], s[34:35], exec
	s_and_b64 s[40:41], s[40:41], exec
	v_add_u32_e32 v53, s53, v52
	v_add_u32_e32 v70, s52, v52
	;; [unrolled: 1-line block ×3, first 2 shown]
	s_or_b64 s[34:35], s[34:35], s[40:41]
	s_waitcnt vmcnt(3)
	ds_write_b128 v52, v[54:57]
	v_add_u32_e32 v52, s51, v52
	s_waitcnt vmcnt(2)
	ds_write2_b64 v53, v[58:59], v[60:61] offset1:1
	s_waitcnt vmcnt(1)
	ds_write2_b32 v70, v62, v63 offset1:1
	ds_write2_b32 v70, v64, v65 offset0:2 offset1:3
	s_waitcnt vmcnt(0)
	ds_write2_b64 v71, v[66:67], v[68:69] offset1:1
	s_branch .LBB271_21
.LBB271_24:                             ;   in Loop: Header=BB271_17 Depth=2
	s_or_b64 exec, exec, s[10:11]
.LBB271_25:                             ;   in Loop: Header=BB271_17 Depth=2
	s_waitcnt lgkmcnt(0)
	s_barrier
	s_and_saveexec_b64 s[8:9], s[6:7]
	s_cbranch_execz .LBB271_16
.LBB271_26:                             ;   in Loop: Header=BB271_17 Depth=2
	v_add_u32_e32 v109, s37, v107
	v_min_u32_e32 v110, s44, v109
	v_lshl_add_u64 v[48:49], v[110:111], 1, s[14:15]
	v_add_u32_e32 v124, 0x200, v109
	v_lshl_add_u64 v[50:51], v[48:49], 0, v[116:117]
	v_lshl_add_u64 v[52:53], v[48:49], 0, v[118:119]
	v_min_u32_e32 v110, s44, v124
	global_load_dwordx4 v[64:67], v[50:51], off nt
	global_load_dwordx4 v[60:63], v[52:53], off nt
	v_lshl_add_u64 v[52:53], v[110:111], 1, s[14:15]
	v_lshl_add_u64 v[48:49], v[48:49], 0, v[120:121]
	;; [unrolled: 1-line block ×5, first 2 shown]
	global_load_dwordx4 v[68:71], v[48:49], off nt
	s_nop 0
	global_load_dwordx4 v[48:51], v[50:51], off nt
	s_nop 0
	;; [unrolled: 2-line block ×3, first 2 shown]
	global_load_dwordx4 v[52:55], v[52:53], off nt
	v_cmp_gt_u32_e32 vcc, s20, v109
	v_mov_b32_e32 v74, 0
	v_mov_b32_e32 v75, 0
	;; [unrolled: 1-line block ×32, first 2 shown]
	s_and_saveexec_b64 s[10:11], vcc
	s_cbranch_execz .LBB271_15
; %bb.27:                               ;   in Loop: Header=BB271_17 Depth=2
	v_subrev_u32_e32 v72, s36, v109
	v_lshlrev_b32_e32 v126, 1, v72
	v_add_u32_e32 v125, s53, v126
	v_add_u32_e32 v110, s53, v125
	ds_read_b128 v[100:103], v126
	ds_read_b128 v[96:99], v125
	v_add_u32_e32 v109, s53, v110
	ds_read_b128 v[92:95], v110
	ds_read_b128 v[88:91], v109
	v_cmp_gt_u32_e32 vcc, s20, v124
	v_mov_b32_e32 v85, 0
	v_mov_b32_e32 v84, 0
	;; [unrolled: 1-line block ×16, first 2 shown]
	s_and_saveexec_b64 s[34:35], vcc
	s_cbranch_execz .LBB271_14
; %bb.28:                               ;   in Loop: Header=BB271_17 Depth=2
	ds_read_b128 v[84:87], v126 offset:1024
	ds_read_b128 v[80:83], v125 offset:1024
	;; [unrolled: 1-line block ×4, first 2 shown]
	s_branch .LBB271_14
.LBB271_29:                             ;   in Loop: Header=BB271_12 Depth=1
	v_cmp_le_u32_e32 vcc, s23, v108
	s_and_saveexec_b64 s[6:7], vcc
	s_xor_b64 s[6:7], exec, s[6:7]
; %bb.30:                               ;   in Loop: Header=BB271_12 Depth=1
	v_add_u32_e32 v108, s46, v108
                                        ; implicit-def: $vgpr3
                                        ; implicit-def: $vgpr7
                                        ; implicit-def: $vgpr11
                                        ; implicit-def: $vgpr15
                                        ; implicit-def: $vgpr19
                                        ; implicit-def: $vgpr23
                                        ; implicit-def: $vgpr47
                                        ; implicit-def: $vgpr43
                                        ; implicit-def: $vgpr39
                                        ; implicit-def: $vgpr35
                                        ; implicit-def: $vgpr31
                                        ; implicit-def: $vgpr27
; %bb.31:                               ;   in Loop: Header=BB271_12 Depth=1
	s_andn2_saveexec_b64 s[34:35], s[6:7]
	s_cbranch_execz .LBB271_11
; %bb.32:                               ;   in Loop: Header=BB271_12 Depth=1
	v_cvt_i32_f32_e32 v41, v41
	v_cvt_i32_f32_e32 v42, v42
	;; [unrolled: 1-line block ×6, first 2 shown]
	v_cvt_f32_i32_dpp v41, v41 row_shl:1 row_mask:0xf bank_mask:0xf bound_ctrl:1
	v_cvt_f32_i32_dpp v42, v42 row_shl:2 row_mask:0xf bank_mask:0xf bound_ctrl:1
	v_cvt_f32_i32_dpp v45, v45 row_shl:1 row_mask:0xf bank_mask:0xf bound_ctrl:1
	v_cvt_f32_i32_dpp v43, v43 row_shl:3 row_mask:0xf bank_mask:0xf bound_ctrl:1
	v_cvt_f32_i32_dpp v46, v46 row_shl:2 row_mask:0xf bank_mask:0xf bound_ctrl:1
	v_cvt_f32_i32_dpp v47, v47 row_shl:3 row_mask:0xf bank_mask:0xf bound_ctrl:1
	v_add_f32_e32 v40, v40, v41
	v_add_f32_e32 v40, v40, v42
	;; [unrolled: 1-line block ×5, first 2 shown]
	v_cvt_i32_f32_e32 v41, v40
	v_add_f32_e32 v44, v44, v47
	v_cvt_i32_f32_e32 v45, v44
	v_cvt_i32_f32_e32 v37, v37
	v_cvt_f32_i32_dpp v41, v41 row_shl:4 row_mask:0xf bank_mask:0xf bound_ctrl:1
	v_cvt_i32_f32_e32 v38, v38
	v_cvt_f32_i32_dpp v45, v45 row_shl:4 row_mask:0xf bank_mask:0xf bound_ctrl:1
	v_cvt_i32_f32_e32 v39, v39
	v_add_f32_e32 v40, v40, v41
	v_cvt_i32_f32_e32 v41, v40
	v_add_f32_e32 v42, v44, v45
	v_cvt_i32_f32_e32 v43, v42
	v_cvt_f32_i32_dpp v37, v37 row_shl:1 row_mask:0xf bank_mask:0xf bound_ctrl:1
	v_cvt_f32_i32_dpp v38, v38 row_shl:2 row_mask:0xf bank_mask:0xf bound_ctrl:1
	;; [unrolled: 1-line block ×5, first 2 shown]
	v_add_f32_e32 v36, v36, v37
	v_add_f32_e32 v36, v36, v38
	;; [unrolled: 1-line block ×4, first 2 shown]
	v_cvt_i32_f32_e32 v40, v40
	v_cvt_i32_f32_e32 v36, v37
	v_add_f32_e32 v42, v42, v43
	v_cvt_i32_f32_e32 v42, v42
	v_cvt_i32_f32_e32 v33, v33
	;; [unrolled: 1-line block ×3, first 2 shown]
	v_cvt_f32_i32_dpp v39, v40 row_shr:15 row_mask:0xf bank_mask:0xf bound_ctrl:1
	v_cvt_f32_i32_dpp v40, v36 row_shl:4 row_mask:0xf bank_mask:0xf bound_ctrl:1
	v_cvt_i32_f32_e32 v35, v35
	v_cvt_f32_i32_dpp v42, v42 row_shr:15 row_mask:0xf bank_mask:0xf bound_ctrl:1
	v_cvt_f32_i32_dpp v33, v33 row_shl:1 row_mask:0xf bank_mask:0xf bound_ctrl:1
	v_cvt_f32_i32_dpp v34, v34 row_shl:2 row_mask:0xf bank_mask:0xf bound_ctrl:1
	v_add_f32_e32 v37, v37, v40
	v_cvt_f32_i32_dpp v35, v35 row_shl:3 row_mask:0xf bank_mask:0xf bound_ctrl:1
	v_cvt_i32_f32_e32 v40, v37
	v_cvt_i32_f32_e32 v41, v42
	v_add_f32_e32 v32, v32, v33
	v_add_f32_e32 v32, v32, v34
	;; [unrolled: 1-line block ×3, first 2 shown]
	v_cvt_i32_f32_e32 v29, v29
	v_cvt_f32_i32_dpp v40, v40 row_shl:8 row_mask:0xf bank_mask:0xf bound_ctrl:1
	v_cvt_i32_f32_e32 v32, v34
	v_cvt_i32_f32_e32 v30, v30
	v_cvt_f32_i32_dpp v38, v41 row_bcast:15 row_mask:0xf bank_mask:0xf bound_ctrl:1
	v_cvt_i32_f32_e32 v41, v39
	v_cvt_i32_f32_e32 v31, v31
	v_cvt_f32_i32_dpp v29, v29 row_shl:1 row_mask:0xf bank_mask:0xf bound_ctrl:1
	v_add_f32_e32 v33, v37, v40
	v_cvt_f32_i32_dpp v40, v32 row_shl:4 row_mask:0xf bank_mask:0xf bound_ctrl:1
	v_cvt_f32_i32_dpp v30, v30 row_shl:2 row_mask:0xf bank_mask:0xf bound_ctrl:1
	v_cvt_f32_i32_dpp v35, v41 row_bcast:15 row_mask:0xf bank_mask:0xf bound_ctrl:1
	v_cvt_i32_f32_e32 v37, v33
	v_cvt_f32_i32_dpp v31, v31 row_shl:3 row_mask:0xf bank_mask:0xf bound_ctrl:1
	v_add_f32_e32 v28, v28, v29
	v_add_f32_e32 v34, v34, v40
	;; [unrolled: 1-line block ×4, first 2 shown]
	v_cvt_f32_i32_dpp v35, v37 row_shr:15 row_mask:0xf bank_mask:0xf bound_ctrl:1
	v_cvt_i32_f32_e32 v37, v34
	v_add_f32_e32 v28, v28, v31
	v_cvt_i32_f32_e32 v29, v28
	v_cvt_i32_f32_e32 v30, v35
	v_cvt_f32_i32_dpp v37, v37 row_shl:8 row_mask:0xf bank_mask:0xf bound_ctrl:1
	v_cvt_i32_f32_e32 v25, v25
	v_cvt_f32_i32_dpp v29, v29 row_shl:4 row_mask:0xf bank_mask:0xf bound_ctrl:1
	v_cvt_i32_f32_e32 v26, v26
	v_add_f32_e32 v31, v34, v37
	v_cvt_i32_f32_e32 v31, v31
	v_cvt_f32_i32_dpp v30, v30 row_bcast:15 row_mask:0xf bank_mask:0xf bound_ctrl:1
	v_add_f32_e32 v37, v28, v29
	v_cvt_i32_f32_e32 v27, v27
	v_cvt_i32_f32_e32 v29, v37
	v_cvt_f32_i32_dpp v25, v25 row_shl:1 row_mask:0xf bank_mask:0xf bound_ctrl:1
	v_add_f32_e32 v36, v42, v38
	v_cvt_f32_i32_dpp v26, v26 row_shl:2 row_mask:0xf bank_mask:0xf bound_ctrl:1
	v_cvt_i32_f32_e32 v38, v36
	v_cvt_f32_i32_dpp v31, v31 row_shr:15 row_mask:0xf bank_mask:0xf bound_ctrl:1
	v_add_f32_e32 v28, v35, v30
	v_cvt_f32_i32_dpp v27, v27 row_shl:3 row_mask:0xf bank_mask:0xf bound_ctrl:1
	v_cvt_i32_f32_e32 v35, v28
	v_cvt_f32_i32_dpp v39, v29 row_shl:8 row_mask:0xf bank_mask:0xf bound_ctrl:1
	v_add_f32_e32 v24, v24, v25
	v_cvt_i32_f32_e32 v21, v21
	v_add_f32_e32 v24, v24, v26
	v_cvt_i32_f32_e32 v22, v22
	v_mov_b32_dpp v33, v38 row_bcast:31 row_mask:0xf bank_mask:0xf bound_ctrl:1
	v_cvt_i32_f32_e32 v34, v32
	v_cvt_i32_f32_e32 v38, v31
	v_add_f32_e32 v25, v24, v27
	v_cvt_i32_f32_e32 v23, v23
	v_mov_b32_dpp v29, v35 row_bcast:31 row_mask:0xf bank_mask:0xf bound_ctrl:1
	v_add_f32_e32 v35, v37, v39
	v_cvt_i32_f32_e32 v26, v25
	v_cvt_i32_f32_e32 v35, v35
	v_cvt_f32_i32_dpp v21, v21 row_shl:1 row_mask:0xf bank_mask:0xf bound_ctrl:1
	v_cvt_f32_i32_dpp v22, v22 row_shl:2 row_mask:0xf bank_mask:0xf bound_ctrl:1
	v_mov_b32_dpp v30, v34 row_bcast:31 row_mask:0xf bank_mask:0xf bound_ctrl:1
	v_cvt_f32_i32_dpp v34, v38 row_bcast:15 row_mask:0xf bank_mask:0xf bound_ctrl:1
	v_cvt_f32_i32_dpp v23, v23 row_shl:3 row_mask:0xf bank_mask:0xf bound_ctrl:1
	v_cvt_f32_i32_dpp v26, v26 row_shl:4 row_mask:0xf bank_mask:0xf bound_ctrl:1
	v_cvt_f32_i32_dpp v35, v35 row_shr:15 row_mask:0xf bank_mask:0xf bound_ctrl:1
	v_add_f32_e32 v20, v20, v21
	v_add_f32_e32 v20, v20, v22
	;; [unrolled: 1-line block ×4, first 2 shown]
	v_cvt_i32_f32_e32 v27, v24
	v_add_f32_e32 v25, v25, v26
	v_cvt_i32_f32_e32 v20, v22
	v_cvt_i32_f32_e32 v31, v35
	;; [unrolled: 1-line block ×3, first 2 shown]
	v_mov_b32_dpp v21, v27 row_bcast:31 row_mask:0xf bank_mask:0xf bound_ctrl:1
	v_cvt_f32_i32_dpp v27, v20 row_shl:4 row_mask:0xf bank_mask:0xf bound_ctrl:1
	v_cvt_f32_i32_dpp v23, v31 row_bcast:15 row_mask:0xf bank_mask:0xf bound_ctrl:1
	v_cvt_f32_i32_dpp v26, v26 row_shl:8 row_mask:0xf bank_mask:0xf bound_ctrl:1
	v_cvt_i32_f32_e32 v17, v17
	v_add_f32_e32 v22, v22, v27
	v_cvt_i32_f32_e32 v18, v18
	v_add_f32_e32 v20, v35, v23
	v_add_f32_e32 v23, v25, v26
	v_cvt_i32_f32_e32 v19, v19
	v_cvt_i32_f32_e32 v25, v22
	v_cvt_f32_i32_dpp v17, v17 row_shl:1 row_mask:0xf bank_mask:0xf bound_ctrl:1
	v_cvt_f32_i32_dpp v18, v18 row_shl:2 row_mask:0xf bank_mask:0xf bound_ctrl:1
	;; [unrolled: 1-line block ×4, first 2 shown]
	v_add_f32_e32 v16, v16, v17
	v_add_f32_e32 v16, v16, v18
	;; [unrolled: 1-line block ×4, first 2 shown]
	v_cvt_i32_f32_e32 v17, v16
	v_cvt_i32_f32_e32 v19, v19
	;; [unrolled: 1-line block ×5, first 2 shown]
	v_cvt_f32_i32_dpp v17, v17 row_shl:4 row_mask:0xf bank_mask:0xf bound_ctrl:1
	v_cvt_i32_f32_e32 v22, v20
	v_cvt_f32_i32_dpp v19, v19 row_shr:15 row_mask:0xf bank_mask:0xf bound_ctrl:1
	v_cvt_f32_i32_dpp v13, v13 row_shl:1 row_mask:0xf bank_mask:0xf bound_ctrl:1
	v_cvt_f32_i32_dpp v14, v14 row_shl:2 row_mask:0xf bank_mask:0xf bound_ctrl:1
	v_cvt_f32_i32_dpp v15, v15 row_shl:3 row_mask:0xf bank_mask:0xf bound_ctrl:1
	v_cvt_i32_f32_e32 v5, v5
	v_add_f32_e32 v25, v16, v17
	v_mov_b32_dpp v17, v22 row_bcast:31 row_mask:0xf bank_mask:0xf bound_ctrl:1
	v_cvt_i32_f32_e32 v22, v19
	v_add_f32_e32 v12, v12, v13
	v_cvt_i32_f32_e32 v9, v9
	v_cvt_i32_f32_e32 v1, v1
	v_add_f32_e32 v12, v12, v14
	v_cvt_i32_f32_e32 v10, v10
	v_cvt_i32_f32_e32 v6, v6
	;; [unrolled: 1-line block ×3, first 2 shown]
	v_add_f32_e32 v15, v12, v15
	v_cvt_i32_f32_e32 v11, v11
	v_cvt_f32_i32_dpp v5, v5 row_shl:1 row_mask:0xf bank_mask:0xf bound_ctrl:1
	v_cvt_i32_f32_e32 v7, v7
	v_cvt_i32_f32_e32 v3, v3
	v_cvt_f32_i32_dpp v22, v22 row_bcast:15 row_mask:0xf bank_mask:0xf bound_ctrl:1
	v_cvt_i32_f32_e32 v12, v15
	v_cvt_f32_i32_dpp v9, v9 row_shl:1 row_mask:0xf bank_mask:0xf bound_ctrl:1
	v_cvt_f32_i32_dpp v1, v1 row_shl:1 row_mask:0xf bank_mask:0xf bound_ctrl:1
	;; [unrolled: 1-line block ×6, first 2 shown]
	v_add_f32_e32 v4, v4, v5
	v_cvt_f32_i32_dpp v5, v7 row_shl:3 row_mask:0xf bank_mask:0xf bound_ctrl:1
	v_cvt_f32_i32_dpp v3, v3 row_shl:3 row_mask:0xf bank_mask:0xf bound_ctrl:1
	v_add_f32_e32 v13, v19, v22
	v_cvt_f32_i32_dpp v19, v12 row_shl:4 row_mask:0xf bank_mask:0xf bound_ctrl:1
	v_add_f32_e32 v8, v8, v9
	v_add_f32_e32 v0, v0, v1
	;; [unrolled: 1-line block ×9, first 2 shown]
	v_cvt_i32_f32_e32 v11, v9
	v_cvt_i32_f32_e32 v5, v4
	v_cvt_i32_f32_e32 v1, v0
	v_cvt_i32_f32_e32 v23, v23
	v_cvt_i32_f32_e32 v19, v15
	v_cvt_f32_i32_dpp v11, v11 row_shl:4 row_mask:0xf bank_mask:0xf bound_ctrl:1
	v_cvt_f32_i32_dpp v3, v5 row_shl:4 row_mask:0xf bank_mask:0xf bound_ctrl:1
	;; [unrolled: 1-line block ×3, first 2 shown]
	v_cvt_f32_i32_dpp v18, v23 row_shr:15 row_mask:0xf bank_mask:0xf bound_ctrl:1
	v_cvt_f32_i32_dpp v19, v19 row_shl:8 row_mask:0xf bank_mask:0xf bound_ctrl:1
	v_add_f32_e32 v9, v9, v11
	v_add_f32_e32 v3, v4, v3
	;; [unrolled: 1-line block ×3, first 2 shown]
	v_cvt_i32_f32_e32 v23, v18
	v_cvt_i32_f32_e32 v16, v25
	v_add_f32_e32 v15, v15, v19
	v_cvt_i32_f32_e32 v11, v9
	v_cvt_i32_f32_e32 v4, v3
	;; [unrolled: 1-line block ×4, first 2 shown]
	v_cvt_f32_i32_dpp v23, v23 row_bcast:15 row_mask:0xf bank_mask:0xf bound_ctrl:1
	v_cvt_f32_i32_dpp v26, v16 row_shl:8 row_mask:0xf bank_mask:0xf bound_ctrl:1
	v_cvt_f32_i32_dpp v2, v11 row_shl:8 row_mask:0xf bank_mask:0xf bound_ctrl:1
	;; [unrolled: 1-line block ×4, first 2 shown]
	v_cvt_f32_i32_dpp v5, v15 row_shr:15 row_mask:0xf bank_mask:0xf bound_ctrl:1
	v_add_f32_e32 v16, v18, v23
	v_add_f32_e32 v23, v25, v26
	;; [unrolled: 1-line block ×5, first 2 shown]
	v_cvt_i32_f32_e32 v23, v23
	v_cvt_i32_f32_e32 v2, v2
	;; [unrolled: 1-line block ×5, first 2 shown]
	v_cvt_f32_i32_dpp v23, v23 row_shr:15 row_mask:0xf bank_mask:0xf bound_ctrl:1
	v_cvt_f32_i32_dpp v2, v2 row_shr:15 row_mask:0xf bank_mask:0xf bound_ctrl:1
	v_cvt_f32_i32_dpp v1, v6 row_bcast:15 row_mask:0xf bank_mask:0xf bound_ctrl:1
	v_cvt_f32_i32_dpp v3, v3 row_shr:15 row_mask:0xf bank_mask:0xf bound_ctrl:1
	v_cvt_f32_i32_dpp v0, v0 row_shr:15 row_mask:0xf bank_mask:0xf bound_ctrl:1
	v_cvt_i32_f32_e32 v18, v16
	v_cvt_i32_f32_e32 v25, v23
	;; [unrolled: 1-line block ×3, first 2 shown]
	v_add_f32_e32 v7, v5, v1
	v_cvt_i32_f32_e32 v1, v3
	v_cvt_i32_f32_e32 v5, v0
	v_mov_b32_dpp v14, v18 row_bcast:31 row_mask:0xf bank_mask:0xf bound_ctrl:1
	v_cvt_f32_i32_dpp v18, v25 row_bcast:15 row_mask:0xf bank_mask:0xf bound_ctrl:1
	v_cvt_f32_i32_dpp v4, v4 row_bcast:15 row_mask:0xf bank_mask:0xf bound_ctrl:1
	;; [unrolled: 1-line block ×4, first 2 shown]
	v_add_f32_e32 v12, v23, v18
	v_add_f32_e32 v4, v2, v4
	v_add_f32_e32 v2, v3, v1
	v_add_f32_e32 v0, v0, v5
	v_cvt_i32_f32_e32 v22, v13
	v_cvt_i32_f32_e32 v18, v12
	;; [unrolled: 1-line block ×6, first 2 shown]
	v_mov_b32_dpp v10, v22 row_bcast:31 row_mask:0xf bank_mask:0xf bound_ctrl:1
	v_mov_b32_dpp v8, v18 row_bcast:31 row_mask:0xf bank_mask:0xf bound_ctrl:1
	;; [unrolled: 1-line block ×6, first 2 shown]
	s_and_saveexec_b64 s[36:37], s[0:1]
	s_cbranch_execz .LBB271_107
; %bb.33:                               ;   in Loop: Header=BB271_12 Depth=1
	s_andn2_b64 vcc, exec, s[28:29]
	v_mov_b32_e32 v34, 0
	v_add_u32_e32 v110, 2, v108
	v_mov_b32_e32 v31, 0
	v_mov_b32_e32 v27, 0
	v_mov_b32_e32 v26, 0
	v_mov_b32_e32 v25, 0
	v_mov_b32_e32 v23, 0
	v_mov_b32_e32 v22, 0
	v_mov_b32_e32 v19, 0
	v_mov_b32_e32 v18, 0
	v_mov_b32_e32 v15, 0
	v_mov_b32_e32 v11, 0
	v_mov_b32_e32 v6, 0
	s_cbranch_vccnz .LBB271_35
; %bb.34:                               ;   in Loop: Header=BB271_12 Depth=1
	v_mul_hi_u32 v6, v108, v113
	v_mul_lo_u32 v6, v6, s12
	v_sub_u32_e32 v6, v108, v6
	v_subrev_u32_e32 v11, s12, v6
	v_cmp_le_u32_e32 vcc, s12, v6
	v_mov_b32_e32 v23, v111
	v_mov_b32_e32 v19, v111
	v_cndmask_b32_e32 v6, v6, v11, vcc
	v_subrev_u32_e32 v11, s12, v6
	v_cmp_le_u32_e32 vcc, s12, v6
	v_mov_b32_e32 v41, v111
	v_mov_b32_e32 v45, v111
	v_cndmask_b32_e32 v18, v6, v11, vcc
	v_add_u32_e32 v6, 1, v108
	v_mul_hi_u32 v11, v6, v113
	v_mul_lo_u32 v11, v11, s12
	v_sub_u32_e32 v6, v6, v11
	v_subrev_u32_e32 v11, s12, v6
	v_cmp_le_u32_e32 vcc, s12, v6
	v_add_u32_e32 v22, s47, v18
	v_lshl_add_u64 v[48:49], v[22:23], 1, s[18:19]
	v_cndmask_b32_e32 v6, v6, v11, vcc
	v_subrev_u32_e32 v11, s12, v6
	v_cmp_le_u32_e32 vcc, s12, v6
	v_lshl_add_u64 v[38:39], v[18:19], 1, s[18:19]
	s_nop 0
	v_cndmask_b32_e32 v40, v6, v11, vcc
	v_mul_hi_u32 v6, v110, v113
	v_mul_lo_u32 v6, v6, s12
	v_sub_u32_e32 v6, v110, v6
	v_subrev_u32_e32 v11, s12, v6
	v_cmp_le_u32_e32 vcc, s12, v6
	v_add_u32_e32 v22, s47, v40
	v_lshl_add_u64 v[50:51], v[22:23], 1, s[18:19]
	v_cndmask_b32_e32 v6, v6, v11, vcc
	v_subrev_u32_e32 v11, s12, v6
	v_cmp_le_u32_e32 vcc, s12, v6
	v_lshl_add_u64 v[42:43], v[40:41], 1, s[18:19]
	s_nop 0
	v_cndmask_b32_e32 v44, v6, v11, vcc
	v_add_u32_e32 v22, s47, v44
	v_lshl_add_u64 v[52:53], v[22:23], 1, s[18:19]
	v_add_u32_e32 v22, s48, v18
	v_lshl_add_u64 v[54:55], v[22:23], 1, s[18:19]
	;; [unrolled: 2-line block ×3, first 2 shown]
	v_lshl_add_u64 v[56:57], v[22:23], 1, s[18:19]
	global_load_ushort v34, v[38:39], off
	global_load_ushort v31, v[42:43], off
	;; [unrolled: 1-line block ×8, first 2 shown]
	v_add_u32_e32 v38, s48, v44
	v_mov_b32_e32 v39, v111
	v_lshl_add_u64 v[38:39], v[38:39], 1, s[18:19]
	v_add_u32_e32 v42, s49, v18
	v_mov_b32_e32 v43, v111
	v_add_u32_e32 v40, s49, v40
	v_add_u32_e32 v44, s49, v44
	v_lshl_add_u64 v[42:43], v[42:43], 1, s[18:19]
	v_lshl_add_u64 v[40:41], v[40:41], 1, s[18:19]
	v_lshl_add_u64 v[44:45], v[44:45], 1, s[18:19]
	global_load_ushort v18, v[38:39], off
	global_load_ushort v15, v[42:43], off
	;; [unrolled: 1-line block ×4, first 2 shown]
.LBB271_35:                             ;   in Loop: Header=BB271_12 Depth=1
	v_cmp_ne_u32_e32 vcc, 0, v104
	s_and_saveexec_b64 s[8:9], vcc
	s_cbranch_execnz .LBB271_47
; %bb.36:                               ;   in Loop: Header=BB271_12 Depth=1
	s_or_b64 exec, exec, s[8:9]
	v_cmp_ne_u32_e64 s[6:7], 0, v105
	s_and_saveexec_b64 s[10:11], s[6:7]
	s_cbranch_execnz .LBB271_52
.LBB271_37:                             ;   in Loop: Header=BB271_12 Depth=1
	s_or_b64 exec, exec, s[10:11]
	v_cmp_ne_u32_e64 s[8:9], 0, v106
	s_and_saveexec_b64 s[38:39], s[8:9]
	s_cbranch_execnz .LBB271_57
.LBB271_38:                             ;   in Loop: Header=BB271_12 Depth=1
	s_or_b64 exec, exec, s[38:39]
	v_add_u32_e32 v110, s23, v108
	s_and_saveexec_b64 s[38:39], vcc
	s_cbranch_execnz .LBB271_62
.LBB271_39:                             ;   in Loop: Header=BB271_12 Depth=1
	s_or_b64 exec, exec, s[38:39]
	s_and_saveexec_b64 s[38:39], s[6:7]
	s_cbranch_execnz .LBB271_67
.LBB271_40:                             ;   in Loop: Header=BB271_12 Depth=1
	s_or_b64 exec, exec, s[38:39]
	s_and_saveexec_b64 s[38:39], s[8:9]
	s_cbranch_execnz .LBB271_72
.LBB271_41:                             ;   in Loop: Header=BB271_12 Depth=1
	s_or_b64 exec, exec, s[38:39]
	v_add_u32_e32 v110, s23, v110
	s_and_saveexec_b64 s[38:39], vcc
	s_cbranch_execnz .LBB271_77
.LBB271_42:                             ;   in Loop: Header=BB271_12 Depth=1
	s_or_b64 exec, exec, s[38:39]
	s_and_saveexec_b64 s[38:39], s[6:7]
	s_cbranch_execnz .LBB271_82
.LBB271_43:                             ;   in Loop: Header=BB271_12 Depth=1
	s_or_b64 exec, exec, s[38:39]
	s_and_saveexec_b64 s[38:39], s[8:9]
	s_cbranch_execnz .LBB271_87
.LBB271_44:                             ;   in Loop: Header=BB271_12 Depth=1
	s_or_b64 exec, exec, s[38:39]
	v_add_u32_e32 v110, s23, v110
	s_and_saveexec_b64 s[10:11], vcc
	s_cbranch_execnz .LBB271_92
.LBB271_45:                             ;   in Loop: Header=BB271_12 Depth=1
	s_or_b64 exec, exec, s[10:11]
	s_and_saveexec_b64 s[10:11], s[6:7]
	s_cbranch_execnz .LBB271_97
.LBB271_46:                             ;   in Loop: Header=BB271_12 Depth=1
	s_or_b64 exec, exec, s[10:11]
	s_and_b64 exec, exec, s[8:9]
	s_cbranch_execnz .LBB271_102
	s_branch .LBB271_107
.LBB271_47:                             ;   in Loop: Header=BB271_12 Depth=1
	v_cvt_f32_i32_e32 v33, v33
	s_waitcnt vmcnt(11)
	v_lshlrev_b32_e32 v34, 16, v34
	v_add_f32_e32 v33, v36, v33
	v_add_f32_e32 v34, v33, v34
	v_and_b32_e32 v33, 0x7f800000, v34
	v_cmp_ne_u32_e64 s[6:7], s54, v33
                                        ; implicit-def: $vgpr33
	s_and_saveexec_b64 s[10:11], s[6:7]
	s_xor_b64 s[6:7], exec, s[10:11]
; %bb.48:                               ;   in Loop: Header=BB271_12 Depth=1
	v_bfe_u32 v33, v34, 16, 1
	v_add3_u32 v33, v34, v33, s55
                                        ; implicit-def: $vgpr34
; %bb.49:                               ;   in Loop: Header=BB271_12 Depth=1
	s_andn2_saveexec_b64 s[10:11], s[6:7]
; %bb.50:                               ;   in Loop: Header=BB271_12 Depth=1
	v_or_b32_e32 v33, 0x10000, v34
	v_cmp_eq_u32_sdwa s[6:7], v34, v111 src0_sel:WORD_0 src1_sel:DWORD
	s_nop 1
	v_cndmask_b32_e64 v33, v33, v34, s[6:7]
; %bb.51:                               ;   in Loop: Header=BB271_12 Depth=1
	s_or_b64 exec, exec, s[10:11]
	v_mov_b32_e32 v109, v111
	v_lshl_add_u64 v[34:35], v[108:109], 1, s[24:25]
	global_store_short_d16_hi v[34:35], v33, off
	s_or_b64 exec, exec, s[8:9]
	v_cmp_ne_u32_e64 s[6:7], 0, v105
	s_and_saveexec_b64 s[10:11], s[6:7]
	s_cbranch_execz .LBB271_37
.LBB271_52:                             ;   in Loop: Header=BB271_12 Depth=1
	v_cvt_f32_i32_e32 v30, v30
	s_waitcnt vmcnt(10)
	v_lshlrev_b32_e32 v31, 16, v31
	v_add_f32_e32 v30, v32, v30
	v_add_f32_e32 v31, v30, v31
	v_and_b32_e32 v30, 0x7f800000, v31
	v_cmp_ne_u32_e64 s[8:9], s54, v30
                                        ; implicit-def: $vgpr30
	s_and_saveexec_b64 s[38:39], s[8:9]
	s_xor_b64 s[8:9], exec, s[38:39]
; %bb.53:                               ;   in Loop: Header=BB271_12 Depth=1
	v_bfe_u32 v30, v31, 16, 1
	v_add3_u32 v30, v31, v30, s55
                                        ; implicit-def: $vgpr31
; %bb.54:                               ;   in Loop: Header=BB271_12 Depth=1
	s_andn2_saveexec_b64 s[38:39], s[8:9]
; %bb.55:                               ;   in Loop: Header=BB271_12 Depth=1
	v_or_b32_e32 v30, 0x10000, v31
	v_cmp_eq_u32_sdwa s[8:9], v31, v111 src0_sel:WORD_0 src1_sel:DWORD
	s_nop 1
	v_cndmask_b32_e64 v30, v30, v31, s[8:9]
; %bb.56:                               ;   in Loop: Header=BB271_12 Depth=1
	s_or_b64 exec, exec, s[38:39]
	v_mov_b32_e32 v109, v111
	v_lshl_add_u64 v[32:33], v[108:109], 1, s[30:31]
	global_store_short_d16_hi v[32:33], v30, off
	s_or_b64 exec, exec, s[10:11]
	v_cmp_ne_u32_e64 s[8:9], 0, v106
	s_and_saveexec_b64 s[38:39], s[8:9]
	s_cbranch_execz .LBB271_38
.LBB271_57:                             ;   in Loop: Header=BB271_12 Depth=1
	v_cvt_f32_i32_e32 v29, v29
	s_waitcnt vmcnt(9)
	v_lshlrev_b32_e32 v27, 16, v27
	v_add_f32_e32 v28, v28, v29
	v_add_f32_e32 v28, v28, v27
	v_and_b32_e32 v27, 0x7f800000, v28
	v_cmp_ne_u32_e64 s[10:11], s54, v27
                                        ; implicit-def: $vgpr27
	s_and_saveexec_b64 s[40:41], s[10:11]
	s_xor_b64 s[10:11], exec, s[40:41]
; %bb.58:                               ;   in Loop: Header=BB271_12 Depth=1
	v_bfe_u32 v27, v28, 16, 1
	v_add3_u32 v27, v28, v27, s55
                                        ; implicit-def: $vgpr28
; %bb.59:                               ;   in Loop: Header=BB271_12 Depth=1
	s_andn2_saveexec_b64 s[40:41], s[10:11]
; %bb.60:                               ;   in Loop: Header=BB271_12 Depth=1
	v_or_b32_e32 v27, 0x10000, v28
	v_cmp_eq_u32_sdwa s[10:11], v28, v111 src0_sel:WORD_0 src1_sel:DWORD
	s_nop 1
	v_cndmask_b32_e64 v27, v27, v28, s[10:11]
; %bb.61:                               ;   in Loop: Header=BB271_12 Depth=1
	s_or_b64 exec, exec, s[40:41]
	v_lshl_add_u64 v[28:29], v[110:111], 1, s[24:25]
	global_store_short_d16_hi v[28:29], v27, off
	s_or_b64 exec, exec, s[38:39]
	v_add_u32_e32 v110, s23, v108
	s_and_saveexec_b64 s[38:39], vcc
	s_cbranch_execz .LBB271_39
.LBB271_62:                             ;   in Loop: Header=BB271_12 Depth=1
	v_cvt_f32_i32_e32 v21, v21
	v_add_f32_e32 v21, v24, v21
	s_waitcnt vmcnt(8)
	v_lshlrev_b32_e32 v24, 16, v26
	v_add_f32_e32 v24, v21, v24
	v_and_b32_e32 v21, 0x7f800000, v24
	v_cmp_ne_u32_e64 s[10:11], s54, v21
                                        ; implicit-def: $vgpr21
	s_and_saveexec_b64 s[40:41], s[10:11]
	s_xor_b64 s[10:11], exec, s[40:41]
; %bb.63:                               ;   in Loop: Header=BB271_12 Depth=1
	v_bfe_u32 v21, v24, 16, 1
	v_add3_u32 v21, v24, v21, s55
                                        ; implicit-def: $vgpr24
; %bb.64:                               ;   in Loop: Header=BB271_12 Depth=1
	s_andn2_saveexec_b64 s[40:41], s[10:11]
; %bb.65:                               ;   in Loop: Header=BB271_12 Depth=1
	v_or_b32_e32 v21, 0x10000, v24
	v_cmp_eq_u32_sdwa s[10:11], v24, v111 src0_sel:WORD_0 src1_sel:DWORD
	s_nop 1
	v_cndmask_b32_e64 v21, v21, v24, s[10:11]
; %bb.66:                               ;   in Loop: Header=BB271_12 Depth=1
	s_or_b64 exec, exec, s[40:41]
	v_lshl_add_u64 v[26:27], v[110:111], 1, s[24:25]
	global_store_short_d16_hi v[26:27], v21, off
	s_or_b64 exec, exec, s[38:39]
	s_and_saveexec_b64 s[38:39], s[6:7]
	s_cbranch_execz .LBB271_40
.LBB271_67:                             ;   in Loop: Header=BB271_12 Depth=1
	v_cvt_f32_i32_e32 v17, v17
	v_add_f32_e32 v17, v20, v17
	s_waitcnt vmcnt(7)
	v_lshlrev_b32_e32 v20, 16, v25
	v_add_f32_e32 v20, v17, v20
	v_and_b32_e32 v17, 0x7f800000, v20
	v_cmp_ne_u32_e64 s[10:11], s54, v17
                                        ; implicit-def: $vgpr17
	s_and_saveexec_b64 s[40:41], s[10:11]
	s_xor_b64 s[10:11], exec, s[40:41]
; %bb.68:                               ;   in Loop: Header=BB271_12 Depth=1
	v_bfe_u32 v17, v20, 16, 1
	v_add3_u32 v17, v20, v17, s55
                                        ; implicit-def: $vgpr20
; %bb.69:                               ;   in Loop: Header=BB271_12 Depth=1
	s_andn2_saveexec_b64 s[40:41], s[10:11]
; %bb.70:                               ;   in Loop: Header=BB271_12 Depth=1
	v_or_b32_e32 v17, 0x10000, v20
	v_cmp_eq_u32_sdwa s[10:11], v20, v111 src0_sel:WORD_0 src1_sel:DWORD
	s_nop 1
	v_cndmask_b32_e64 v17, v17, v20, s[10:11]
; %bb.71:                               ;   in Loop: Header=BB271_12 Depth=1
	s_or_b64 exec, exec, s[40:41]
	v_add_u32_e32 v20, 1, v110
	v_mov_b32_e32 v21, v111
	v_lshl_add_u64 v[20:21], v[20:21], 1, s[24:25]
	global_store_short_d16_hi v[20:21], v17, off
	s_or_b64 exec, exec, s[38:39]
	s_and_saveexec_b64 s[38:39], s[8:9]
	s_cbranch_execz .LBB271_41
.LBB271_72:                             ;   in Loop: Header=BB271_12 Depth=1
	v_cvt_f32_i32_e32 v14, v14
	v_add_f32_e32 v14, v16, v14
	s_waitcnt vmcnt(6)
	v_lshlrev_b32_e32 v16, 16, v23
	v_add_f32_e32 v16, v14, v16
	v_and_b32_e32 v14, 0x7f800000, v16
	v_cmp_ne_u32_e64 s[10:11], s54, v14
                                        ; implicit-def: $vgpr14
	s_and_saveexec_b64 s[40:41], s[10:11]
	s_xor_b64 s[10:11], exec, s[40:41]
; %bb.73:                               ;   in Loop: Header=BB271_12 Depth=1
	v_bfe_u32 v14, v16, 16, 1
	v_add3_u32 v14, v16, v14, s55
                                        ; implicit-def: $vgpr16
; %bb.74:                               ;   in Loop: Header=BB271_12 Depth=1
	s_andn2_saveexec_b64 s[40:41], s[10:11]
; %bb.75:                               ;   in Loop: Header=BB271_12 Depth=1
	v_or_b32_e32 v14, 0x10000, v16
	v_cmp_eq_u32_sdwa s[10:11], v16, v111 src0_sel:WORD_0 src1_sel:DWORD
	s_nop 1
	v_cndmask_b32_e64 v14, v14, v16, s[10:11]
; %bb.76:                               ;   in Loop: Header=BB271_12 Depth=1
	s_or_b64 exec, exec, s[40:41]
	v_add_u32_e32 v16, 2, v110
	v_mov_b32_e32 v17, v111
	v_lshl_add_u64 v[16:17], v[16:17], 1, s[24:25]
	global_store_short_d16_hi v[16:17], v14, off
	s_or_b64 exec, exec, s[38:39]
	v_add_u32_e32 v110, s23, v110
	s_and_saveexec_b64 s[38:39], vcc
	s_cbranch_execz .LBB271_42
.LBB271_77:                             ;   in Loop: Header=BB271_12 Depth=1
	v_cvt_f32_i32_e32 v10, v10
	v_add_f32_e32 v10, v13, v10
	s_waitcnt vmcnt(5)
	v_lshlrev_b32_e32 v13, 16, v22
	v_add_f32_e32 v13, v10, v13
	v_and_b32_e32 v10, 0x7f800000, v13
	v_cmp_ne_u32_e64 s[10:11], s54, v10
                                        ; implicit-def: $vgpr10
	s_and_saveexec_b64 s[40:41], s[10:11]
	s_xor_b64 s[10:11], exec, s[40:41]
; %bb.78:                               ;   in Loop: Header=BB271_12 Depth=1
	v_bfe_u32 v10, v13, 16, 1
	v_add3_u32 v10, v13, v10, s55
                                        ; implicit-def: $vgpr13
; %bb.79:                               ;   in Loop: Header=BB271_12 Depth=1
	s_andn2_saveexec_b64 s[40:41], s[10:11]
; %bb.80:                               ;   in Loop: Header=BB271_12 Depth=1
	v_or_b32_e32 v10, 0x10000, v13
	v_cmp_eq_u32_sdwa s[10:11], v13, v111 src0_sel:WORD_0 src1_sel:DWORD
	s_nop 1
	v_cndmask_b32_e64 v10, v10, v13, s[10:11]
; %bb.81:                               ;   in Loop: Header=BB271_12 Depth=1
	s_or_b64 exec, exec, s[40:41]
	v_lshl_add_u64 v[16:17], v[110:111], 1, s[24:25]
	global_store_short_d16_hi v[16:17], v10, off
	s_or_b64 exec, exec, s[38:39]
	s_and_saveexec_b64 s[38:39], s[6:7]
	s_cbranch_execz .LBB271_43
.LBB271_82:                             ;   in Loop: Header=BB271_12 Depth=1
	v_cvt_f32_i32_e32 v8, v8
	s_waitcnt vmcnt(4)
	v_lshlrev_b32_e32 v10, 16, v19
	v_add_f32_e32 v8, v12, v8
	v_add_f32_e32 v10, v8, v10
	v_and_b32_e32 v8, 0x7f800000, v10
	v_cmp_ne_u32_e64 s[10:11], s54, v8
                                        ; implicit-def: $vgpr8
	s_and_saveexec_b64 s[40:41], s[10:11]
	s_xor_b64 s[10:11], exec, s[40:41]
; %bb.83:                               ;   in Loop: Header=BB271_12 Depth=1
	v_bfe_u32 v8, v10, 16, 1
	v_add3_u32 v8, v10, v8, s55
                                        ; implicit-def: $vgpr10
; %bb.84:                               ;   in Loop: Header=BB271_12 Depth=1
	s_andn2_saveexec_b64 s[40:41], s[10:11]
; %bb.85:                               ;   in Loop: Header=BB271_12 Depth=1
	v_or_b32_e32 v8, 0x10000, v10
	v_cmp_eq_u32_sdwa s[10:11], v10, v111 src0_sel:WORD_0 src1_sel:DWORD
	s_nop 1
	v_cndmask_b32_e64 v8, v8, v10, s[10:11]
; %bb.86:                               ;   in Loop: Header=BB271_12 Depth=1
	s_or_b64 exec, exec, s[40:41]
	v_add_u32_e32 v12, 1, v110
	v_mov_b32_e32 v13, v111
	v_lshl_add_u64 v[12:13], v[12:13], 1, s[24:25]
	global_store_short_d16_hi v[12:13], v8, off
	s_or_b64 exec, exec, s[38:39]
	s_and_saveexec_b64 s[38:39], s[8:9]
	s_cbranch_execz .LBB271_44
.LBB271_87:                             ;   in Loop: Header=BB271_12 Depth=1
	v_cvt_f32_i32_e32 v8, v9
	v_add_f32_e32 v7, v7, v8
	s_waitcnt vmcnt(3)
	v_lshlrev_b32_e32 v8, 16, v18
	v_add_f32_e32 v8, v7, v8
	v_and_b32_e32 v7, 0x7f800000, v8
	v_cmp_ne_u32_e64 s[10:11], s54, v7
                                        ; implicit-def: $vgpr7
	s_and_saveexec_b64 s[40:41], s[10:11]
	s_xor_b64 s[10:11], exec, s[40:41]
; %bb.88:                               ;   in Loop: Header=BB271_12 Depth=1
	v_bfe_u32 v7, v8, 16, 1
	v_add3_u32 v7, v8, v7, s55
                                        ; implicit-def: $vgpr8
; %bb.89:                               ;   in Loop: Header=BB271_12 Depth=1
	s_andn2_saveexec_b64 s[40:41], s[10:11]
; %bb.90:                               ;   in Loop: Header=BB271_12 Depth=1
	v_or_b32_e32 v7, 0x10000, v8
	v_cmp_eq_u32_sdwa s[10:11], v8, v111 src0_sel:WORD_0 src1_sel:DWORD
	s_nop 1
	v_cndmask_b32_e64 v7, v7, v8, s[10:11]
; %bb.91:                               ;   in Loop: Header=BB271_12 Depth=1
	s_or_b64 exec, exec, s[40:41]
	v_add_u32_e32 v8, 2, v110
	v_mov_b32_e32 v9, v111
	v_lshl_add_u64 v[8:9], v[8:9], 1, s[24:25]
	global_store_short_d16_hi v[8:9], v7, off
	s_or_b64 exec, exec, s[38:39]
	v_add_u32_e32 v110, s23, v110
	s_and_saveexec_b64 s[10:11], vcc
	s_cbranch_execz .LBB271_45
.LBB271_92:                             ;   in Loop: Header=BB271_12 Depth=1
	v_cvt_f32_i32_e32 v5, v5
	v_add_f32_e32 v4, v4, v5
	s_waitcnt vmcnt(2)
	v_lshlrev_b32_e32 v5, 16, v15
	v_add_f32_e32 v5, v4, v5
	v_and_b32_e32 v4, 0x7f800000, v5
	v_cmp_ne_u32_e32 vcc, s54, v4
                                        ; implicit-def: $vgpr4
	s_and_saveexec_b64 s[38:39], vcc
	s_xor_b64 s[38:39], exec, s[38:39]
; %bb.93:                               ;   in Loop: Header=BB271_12 Depth=1
	v_bfe_u32 v4, v5, 16, 1
	v_add3_u32 v4, v5, v4, s55
                                        ; implicit-def: $vgpr5
; %bb.94:                               ;   in Loop: Header=BB271_12 Depth=1
	s_andn2_saveexec_b64 s[38:39], s[38:39]
; %bb.95:                               ;   in Loop: Header=BB271_12 Depth=1
	v_or_b32_e32 v4, 0x10000, v5
	v_cmp_eq_u32_sdwa vcc, v5, v111 src0_sel:WORD_0 src1_sel:DWORD
	s_nop 1
	v_cndmask_b32_e32 v4, v4, v5, vcc
; %bb.96:                               ;   in Loop: Header=BB271_12 Depth=1
	s_or_b64 exec, exec, s[38:39]
	v_lshl_add_u64 v[8:9], v[110:111], 1, s[24:25]
	global_store_short_d16_hi v[8:9], v4, off
	s_or_b64 exec, exec, s[10:11]
	s_and_saveexec_b64 s[10:11], s[6:7]
	s_cbranch_execz .LBB271_46
.LBB271_97:                             ;   in Loop: Header=BB271_12 Depth=1
	v_cvt_f32_i32_e32 v3, v3
	v_add_f32_e32 v2, v2, v3
	s_waitcnt vmcnt(1)
	v_lshlrev_b32_e32 v3, 16, v11
	v_add_f32_e32 v3, v2, v3
	v_and_b32_e32 v2, 0x7f800000, v3
	v_cmp_ne_u32_e32 vcc, s54, v2
                                        ; implicit-def: $vgpr2
	s_and_saveexec_b64 s[6:7], vcc
	s_xor_b64 s[6:7], exec, s[6:7]
; %bb.98:                               ;   in Loop: Header=BB271_12 Depth=1
	v_bfe_u32 v2, v3, 16, 1
	v_add3_u32 v2, v3, v2, s55
                                        ; implicit-def: $vgpr3
; %bb.99:                               ;   in Loop: Header=BB271_12 Depth=1
	s_andn2_saveexec_b64 s[6:7], s[6:7]
; %bb.100:                              ;   in Loop: Header=BB271_12 Depth=1
	v_or_b32_e32 v2, 0x10000, v3
	v_cmp_eq_u32_sdwa vcc, v3, v111 src0_sel:WORD_0 src1_sel:DWORD
	s_nop 1
	v_cndmask_b32_e32 v2, v2, v3, vcc
; %bb.101:                              ;   in Loop: Header=BB271_12 Depth=1
	s_or_b64 exec, exec, s[6:7]
	v_add_u32_e32 v4, 1, v110
	v_mov_b32_e32 v5, v111
	v_lshl_add_u64 v[4:5], v[4:5], 1, s[24:25]
	global_store_short_d16_hi v[4:5], v2, off
	s_or_b64 exec, exec, s[10:11]
	s_and_b64 exec, exec, s[8:9]
	s_cbranch_execz .LBB271_107
.LBB271_102:                            ;   in Loop: Header=BB271_12 Depth=1
	v_cvt_f32_i32_e32 v1, v1
	v_add_f32_e32 v0, v0, v1
	s_waitcnt vmcnt(0)
	v_lshlrev_b32_e32 v1, 16, v6
	v_add_f32_e32 v1, v0, v1
	v_and_b32_e32 v0, 0x7f800000, v1
	v_cmp_ne_u32_e32 vcc, s54, v0
                                        ; implicit-def: $vgpr0
	s_and_saveexec_b64 s[6:7], vcc
	s_xor_b64 s[6:7], exec, s[6:7]
; %bb.103:                              ;   in Loop: Header=BB271_12 Depth=1
	v_bfe_u32 v0, v1, 16, 1
	v_add3_u32 v0, v1, v0, s55
                                        ; implicit-def: $vgpr1
; %bb.104:                              ;   in Loop: Header=BB271_12 Depth=1
	s_andn2_saveexec_b64 s[6:7], s[6:7]
; %bb.105:                              ;   in Loop: Header=BB271_12 Depth=1
	v_or_b32_e32 v0, 0x10000, v1
	v_cmp_eq_u32_sdwa vcc, v1, v111 src0_sel:WORD_0 src1_sel:DWORD
	s_nop 1
	v_cndmask_b32_e32 v0, v0, v1, vcc
; %bb.106:                              ;   in Loop: Header=BB271_12 Depth=1
	s_or_b64 exec, exec, s[6:7]
	v_add_u32_e32 v110, 2, v110
	v_lshl_add_u64 v[2:3], v[110:111], 1, s[24:25]
	global_store_short_d16_hi v[2:3], v0, off
.LBB271_107:                            ;   in Loop: Header=BB271_12 Depth=1
	s_or_b64 exec, exec, s[36:37]
	v_add_u32_e32 v108, s46, v108
	v_add_u32_e32 v0, 3, v108
	v_cmp_gt_u32_e32 vcc, s23, v108
	v_cmp_le_u32_e64 s[6:7], s23, v0
	s_and_b64 s[6:7], vcc, s[6:7]
	s_and_saveexec_b64 s[8:9], s[6:7]
	s_cbranch_execz .LBB271_10
; %bb.108:                              ;   in Loop: Header=BB271_12 Depth=1
	v_cmp_ne_u32_e32 vcc, s13, v108
	s_and_saveexec_b64 s[10:11], vcc
	s_cbranch_execz .LBB271_9
; %bb.109:                              ;   in Loop: Header=BB271_12 Depth=1
	v_subrev_u32_e32 v0, s13, v108
	v_cmp_lt_u32_e32 vcc, 1, v0
	s_mov_b64 s[36:37], 0
	s_mov_b64 s[38:39], 0
	v_cndmask_b32_e32 v0, 1, v0, vcc
.LBB271_110:                            ;   Parent Loop BB271_12 Depth=1
                                        ; =>  This Inner Loop Header: Depth=2
	s_cmp_lg_u32 s38, 2
	s_cselect_b64 vcc, -1, 0
	s_cmp_lg_u32 s38, 1
	v_cndmask_b32_e32 v106, 0, v106, vcc
	s_cselect_b64 vcc, -1, 0
	s_cmp_lg_u32 s38, 0
	v_cndmask_b32_e32 v105, 0, v105, vcc
	s_cselect_b64 vcc, -1, 0
	s_add_u32 s38, s38, 1
	s_addc_u32 s39, s39, 0
	v_cmp_eq_u32_e64 s[6:7], s38, v0
	s_or_b64 s[36:37], s[6:7], s[36:37]
	v_cndmask_b32_e32 v104, 0, v104, vcc
	s_andn2_b64 exec, exec, s[36:37]
	s_cbranch_execnz .LBB271_110
; %bb.111:                              ;   in Loop: Header=BB271_12 Depth=1
	s_or_b64 exec, exec, s[36:37]
	s_branch .LBB271_9
.LBB271_112:
	s_endpgm
	.section	.rodata,"a",@progbits
	.p2align	6, 0x0
	.amdhsa_kernel _Z16wvSplitK_hf_big_I14__hip_bfloat16Li64ELi3ELi16ELi8ELi2ELi4EEviiiiiiPKT_S3_S3_PS1_ii
		.amdhsa_group_segment_fixed_size 65536
		.amdhsa_private_segment_fixed_size 0
		.amdhsa_kernarg_size 64
		.amdhsa_user_sgpr_count 2
		.amdhsa_user_sgpr_dispatch_ptr 0
		.amdhsa_user_sgpr_queue_ptr 0
		.amdhsa_user_sgpr_kernarg_segment_ptr 1
		.amdhsa_user_sgpr_dispatch_id 0
		.amdhsa_user_sgpr_kernarg_preload_length 0
		.amdhsa_user_sgpr_kernarg_preload_offset 0
		.amdhsa_user_sgpr_private_segment_size 0
		.amdhsa_uses_dynamic_stack 0
		.amdhsa_enable_private_segment 0
		.amdhsa_system_sgpr_workgroup_id_x 1
		.amdhsa_system_sgpr_workgroup_id_y 0
		.amdhsa_system_sgpr_workgroup_id_z 0
		.amdhsa_system_sgpr_workgroup_info 0
		.amdhsa_system_vgpr_workitem_id 1
		.amdhsa_next_free_vgpr 127
		.amdhsa_next_free_sgpr 56
		.amdhsa_accum_offset 128
		.amdhsa_reserve_vcc 1
		.amdhsa_float_round_mode_32 0
		.amdhsa_float_round_mode_16_64 0
		.amdhsa_float_denorm_mode_32 3
		.amdhsa_float_denorm_mode_16_64 3
		.amdhsa_dx10_clamp 1
		.amdhsa_ieee_mode 1
		.amdhsa_fp16_overflow 0
		.amdhsa_tg_split 0
		.amdhsa_exception_fp_ieee_invalid_op 0
		.amdhsa_exception_fp_denorm_src 0
		.amdhsa_exception_fp_ieee_div_zero 0
		.amdhsa_exception_fp_ieee_overflow 0
		.amdhsa_exception_fp_ieee_underflow 0
		.amdhsa_exception_fp_ieee_inexact 0
		.amdhsa_exception_int_div_zero 0
	.end_amdhsa_kernel
	.section	.text._Z16wvSplitK_hf_big_I14__hip_bfloat16Li64ELi3ELi16ELi8ELi2ELi4EEviiiiiiPKT_S3_S3_PS1_ii,"axG",@progbits,_Z16wvSplitK_hf_big_I14__hip_bfloat16Li64ELi3ELi16ELi8ELi2ELi4EEviiiiiiPKT_S3_S3_PS1_ii,comdat
.Lfunc_end271:
	.size	_Z16wvSplitK_hf_big_I14__hip_bfloat16Li64ELi3ELi16ELi8ELi2ELi4EEviiiiiiPKT_S3_S3_PS1_ii, .Lfunc_end271-_Z16wvSplitK_hf_big_I14__hip_bfloat16Li64ELi3ELi16ELi8ELi2ELi4EEviiiiiiPKT_S3_S3_PS1_ii
                                        ; -- End function
	.section	.AMDGPU.csdata,"",@progbits
; Kernel info:
; codeLenInByte = 6340
; NumSgprs: 62
; NumVgprs: 127
; NumAgprs: 0
; TotalNumVgprs: 127
; ScratchSize: 0
; MemoryBound: 0
; FloatMode: 240
; IeeeMode: 1
; LDSByteSize: 65536 bytes/workgroup (compile time only)
; SGPRBlocks: 7
; VGPRBlocks: 15
; NumSGPRsForWavesPerEU: 62
; NumVGPRsForWavesPerEU: 127
; AccumOffset: 128
; Occupancy: 4
; WaveLimiterHint : 0
; COMPUTE_PGM_RSRC2:SCRATCH_EN: 0
; COMPUTE_PGM_RSRC2:USER_SGPR: 2
; COMPUTE_PGM_RSRC2:TRAP_HANDLER: 0
; COMPUTE_PGM_RSRC2:TGID_X_EN: 1
; COMPUTE_PGM_RSRC2:TGID_Y_EN: 0
; COMPUTE_PGM_RSRC2:TGID_Z_EN: 0
; COMPUTE_PGM_RSRC2:TIDIG_COMP_CNT: 1
; COMPUTE_PGM_RSRC3_GFX90A:ACCUM_OFFSET: 31
; COMPUTE_PGM_RSRC3_GFX90A:TG_SPLIT: 0
	.section	.text._Z16wvSplitK_hf_sml_I14__hip_bfloat16Li64ELi4ELi16ELi8ELi1ELi4EEviiiiiiPKT_S3_S3_PS1_ii,"axG",@progbits,_Z16wvSplitK_hf_sml_I14__hip_bfloat16Li64ELi4ELi16ELi8ELi1ELi4EEviiiiiiPKT_S3_S3_PS1_ii,comdat
	.protected	_Z16wvSplitK_hf_sml_I14__hip_bfloat16Li64ELi4ELi16ELi8ELi1ELi4EEviiiiiiPKT_S3_S3_PS1_ii ; -- Begin function _Z16wvSplitK_hf_sml_I14__hip_bfloat16Li64ELi4ELi16ELi8ELi1ELi4EEviiiiiiPKT_S3_S3_PS1_ii
	.globl	_Z16wvSplitK_hf_sml_I14__hip_bfloat16Li64ELi4ELi16ELi8ELi1ELi4EEviiiiiiPKT_S3_S3_PS1_ii
	.p2align	8
	.type	_Z16wvSplitK_hf_sml_I14__hip_bfloat16Li64ELi4ELi16ELi8ELi1ELi4EEviiiiiiPKT_S3_S3_PS1_ii,@function
_Z16wvSplitK_hf_sml_I14__hip_bfloat16Li64ELi4ELi16ELi8ELi1ELi4EEviiiiiiPKT_S3_S3_PS1_ii: ; @_Z16wvSplitK_hf_sml_I14__hip_bfloat16Li64ELi4ELi16ELi8ELi1ELi4EEviiiiiiPKT_S3_S3_PS1_ii
; %bb.0:
	s_load_dwordx4 s[4:7], s[0:1], 0x0
	s_load_dwordx2 s[8:9], s[0:1], 0x10
	s_load_dwordx2 s[10:11], s[0:1], 0x28
	v_and_b32_e32 v2, 0x3ff, v0
	v_bfe_u32 v3, v0, 10, 10
	v_lshlrev_b32_e32 v108, 3, v2
	s_waitcnt lgkmcnt(0)
	s_lshl_b32 s24, s6, 2
	v_lshl_add_u32 v4, v3, 9, v108
	s_min_u32 s3, s24, 0x8000
	v_cmp_gt_u32_e32 vcc, s3, v4
	s_and_saveexec_b64 s[12:13], vcc
	s_cbranch_execz .LBB272_3
; %bb.1:
	s_load_dwordx2 s[14:15], s[0:1], 0x20
	v_mov_b32_e32 v7, 0
	v_lshlrev_b32_e32 v6, 10, v3
	v_lshlrev_b32_e32 v8, 4, v2
	v_mov_b32_e32 v9, v7
	v_lshl_add_u64 v[0:1], v[6:7], 0, v[8:9]
	s_waitcnt lgkmcnt(0)
	v_lshl_add_u64 v[0:1], s[14:15], 0, v[0:1]
	v_add_u32_e32 v5, v6, v8
	s_mov_b64 s[14:15], 0
	s_mov_b64 s[16:17], 0x4000
.LBB272_2:                              ; =>This Inner Loop Header: Depth=1
	global_load_dwordx4 v[6:9], v[0:1], off
	v_add_u32_e32 v4, 0x2000, v4
	v_cmp_le_u32_e32 vcc, s3, v4
	v_lshl_add_u64 v[0:1], v[0:1], 0, s[16:17]
	s_or_b64 s[14:15], vcc, s[14:15]
	s_waitcnt vmcnt(0)
	ds_write_b128 v5, v[6:9]
	v_add_u32_e32 v5, 0x4000, v5
	s_andn2_b64 exec, exec, s[14:15]
	s_cbranch_execnz .LBB272_2
.LBB272_3:
	s_or_b64 exec, exec, s[12:13]
	s_load_dwordx2 s[16:17], s[0:1], 0x38
	s_waitcnt lgkmcnt(0)
	s_barrier
	v_cmp_gt_u32_e32 vcc, s16, v3
	s_and_saveexec_b64 s[12:13], vcc
	s_cbranch_execz .LBB272_80
; %bb.4:
	s_mul_i32 s2, s2, s16
	v_add_lshl_u32 v92, s2, v3, 2
	v_cmp_gt_u32_e32 vcc, s7, v92
	s_and_b64 exec, exec, vcc
	s_cbranch_execz .LBB272_80
; %bb.5:
	s_cmp_lg_u32 s4, 0
	s_cselect_b64 s[2:3], -1, 0
	s_add_i32 s25, s4, -8
	s_add_i32 s26, s7, -1
	s_cmp_lg_u64 s[10:11], 0
	s_cselect_b64 s[18:19], -1, 0
	s_abs_i32 s21, s9
	v_cvt_f32_u32_e32 v0, s8
	v_cvt_f32_u32_e32 v1, s21
	s_mul_i32 s20, s16, s17
	s_lshl_b32 s9, s20, 2
	v_rcp_iflag_f32_e32 v0, v0
	v_rcp_iflag_f32_e32 v1, v1
	s_sub_i32 s20, 0, s8
	s_load_dwordx2 s[12:13], s[0:1], 0x18
	s_load_dwordx2 s[14:15], s[0:1], 0x30
	v_mul_f32_e32 v0, 0x4f7ffffe, v0
	v_mul_f32_e32 v1, 0x4f7ffffe, v1
	v_cvt_u32_f32_e32 v0, v0
	v_cvt_u32_f32_e32 v1, v1
	v_cmp_eq_u32_e64 s[0:1], 63, v2
	s_mov_b64 s[16:17], 0
	v_mul_lo_u32 v3, s20, v0
	s_sub_i32 s20, 0, s21
	v_readfirstlane_b32 s22, v1
	s_mul_i32 s20, s20, s22
	s_mul_hi_u32 s20, s22, s20
	s_add_i32 s22, s22, s20
	s_sub_i32 s20, 1, s21
	s_cmp_lt_u32 s21, 2
	s_cselect_b32 s20, s20, 1
	s_sub_i32 s23, s20, s21
	s_cmp_ge_u32 s20, s21
	s_cselect_b32 s27, s23, s20
	s_lshr_b32 s20, s22, 31
	s_mul_i32 s20, s20, s21
	s_sub_i32 s20, 2, s20
	s_sub_i32 s23, s20, s21
	s_cmp_ge_u32 s20, s21
	s_cselect_b32 s20, s23, s20
	s_sub_i32 s23, s20, s21
	s_cmp_ge_u32 s20, s21
	s_cselect_b32 s28, s23, s20
	s_mul_hi_u32 s20, s22, 3
	s_mul_i32 s20, s20, s21
	s_sub_i32 s20, 3, s20
	s_sub_i32 s22, s20, s21
	s_cmp_ge_u32 s20, s21
	s_cselect_b32 s20, s22, s20
	s_sub_i32 s22, s20, s21
	v_mul_hi_u32 v3, v0, v3
	s_cmp_ge_u32 s20, s21
	v_add_u32_e32 v109, v0, v3
	s_cselect_b32 s29, s22, s20
	v_cndmask_b32_e64 v0, 0, 1, s[2:3]
	v_mov_b32_e32 v95, 0
	s_mul_i32 s27, s27, s8
	s_mul_i32 s28, s28, s8
	;; [unrolled: 1-line block ×4, first 2 shown]
	v_lshlrev_b32_e32 v110, 4, v2
	s_lshl_b32 s6, s6, 1
	v_cmp_ne_u32_e64 s[2:3], 1, v0
	s_mov_b32 s31, 0x7f800000
	s_movk_i32 s33, 0x7fff
	s_branch .LBB272_8
.LBB272_6:                              ;   in Loop: Header=BB272_8 Depth=1
	s_or_b64 exec, exec, s[22:23]
	v_add_u32_e32 v94, 3, v94
	v_lshl_add_u64 v[2:3], v[94:95], 1, s[14:15]
	global_store_short_d16_hi v[2:3], v0, off
.LBB272_7:                              ;   in Loop: Header=BB272_8 Depth=1
	s_or_b64 exec, exec, s[20:21]
	v_add_u32_e32 v92, s9, v92
	v_cmp_le_u32_e32 vcc, s7, v92
	s_or_b64 s[16:17], vcc, s[16:17]
	s_andn2_b64 exec, exec, s[16:17]
	s_cbranch_execz .LBB272_80
.LBB272_8:                              ; =>This Loop Header: Depth=1
                                        ;     Child Loop BB272_11 Depth 2
	s_and_b64 vcc, exec, s[2:3]
	v_mov_b32_e32 v11, v95
	v_mov_b32_e32 v10, v95
	;; [unrolled: 1-line block ×64, first 2 shown]
	s_cbranch_vccnz .LBB272_13
; %bb.9:                                ;   in Loop: Header=BB272_8 Depth=1
	v_min_u32_e32 v0, s26, v92
	v_mul_lo_u32 v96, v0, s5
	v_or_b32_e32 v0, 1, v92
	v_min_u32_e32 v0, s26, v0
	v_mul_lo_u32 v98, v0, s5
	v_or_b32_e32 v0, 2, v92
	v_min_u32_e32 v0, s26, v0
	v_mul_lo_u32 v100, v0, s5
	v_or_b32_e32 v0, 3, v92
	v_min_u32_e32 v0, s26, v0
	v_mov_b32_e32 v16, 0
	v_mov_b32_e32 v97, v95
	;; [unrolled: 1-line block ×4, first 2 shown]
	v_mul_lo_u32 v102, v0, s5
	v_mov_b32_e32 v103, v95
	s_mov_b32 s22, 0
	v_mov_b32_e32 v93, v110
	v_mov_b32_e32 v17, v16
	;; [unrolled: 1-line block ×64, first 2 shown]
	s_branch .LBB272_11
.LBB272_10:                             ;   in Loop: Header=BB272_11 Depth=2
	s_or_b64 exec, exec, s[20:21]
	s_waitcnt vmcnt(3) lgkmcnt(4)
	v_mfma_f32_4x4x4_16b_bf16 v[60:63], v[84:85], v[76:77], v[60:63]
	s_addk_i32 s22, 0x200
	s_waitcnt vmcnt(2)
	v_mfma_f32_4x4x4_16b_bf16 v[56:59], v[84:85], v[72:73], v[56:59]
	v_add_u32_e32 v93, 0x400, v93
	s_waitcnt vmcnt(1)
	v_mfma_f32_4x4x4_16b_bf16 v[52:55], v[84:85], v[80:81], v[52:55]
	s_cmp_ge_u32 s22, s4
	s_waitcnt vmcnt(0)
	v_mfma_f32_4x4x4_16b_bf16 v[48:51], v[84:85], v[64:65], v[48:51]
	s_waitcnt lgkmcnt(3)
	v_mfma_f32_4x4x4_16b_bf16 v[44:47], v[88:89], v[76:77], v[44:47]
	v_mfma_f32_4x4x4_16b_bf16 v[40:43], v[88:89], v[72:73], v[40:43]
	v_mfma_f32_4x4x4_16b_bf16 v[36:39], v[88:89], v[80:81], v[36:39]
	v_mfma_f32_4x4x4_16b_bf16 v[32:35], v[88:89], v[64:65], v[32:35]
	s_waitcnt lgkmcnt(2)
	v_mfma_f32_4x4x4_16b_bf16 v[28:31], v[106:107], v[76:77], v[28:31]
	v_mfma_f32_4x4x4_16b_bf16 v[24:27], v[106:107], v[72:73], v[24:27]
	v_mfma_f32_4x4x4_16b_bf16 v[20:23], v[106:107], v[80:81], v[20:23]
	;; [unrolled: 5-line block ×3, first 2 shown]
	v_mfma_f32_4x4x4_16b_bf16 v[8:11], v[68:69], v[64:65], v[8:11]
	v_mfma_f32_4x4x4_16b_bf16 v[60:63], v[86:87], v[78:79], v[60:63]
	;; [unrolled: 1-line block ×17, first 2 shown]
	s_cbranch_scc1 .LBB272_13
.LBB272_11:                             ;   Parent Loop BB272_8 Depth=1
                                        ; =>  This Inner Loop Header: Depth=2
	v_add_u32_e32 v70, s22, v108
	v_min_u32_e32 v94, s25, v70
	s_waitcnt lgkmcnt(0)
	v_lshl_add_u64 v[64:65], v[94:95], 1, s[12:13]
	v_lshl_add_u64 v[66:67], v[96:97], 1, v[64:65]
	v_lshl_add_u64 v[68:69], v[98:99], 1, v[64:65]
	global_load_dwordx4 v[76:79], v[66:67], off nt
	global_load_dwordx4 v[72:75], v[68:69], off nt
	v_lshl_add_u64 v[66:67], v[100:101], 1, v[64:65]
	v_lshl_add_u64 v[64:65], v[102:103], 1, v[64:65]
	global_load_dwordx4 v[80:83], v[66:67], off nt
	s_nop 0
	global_load_dwordx4 v[64:67], v[64:65], off nt
	v_cmp_gt_u32_e32 vcc, s4, v70
	v_mov_b32_e32 v70, 0
	v_mov_b32_e32 v71, 0
	;; [unrolled: 1-line block ×16, first 2 shown]
	s_and_saveexec_b64 s[20:21], vcc
	s_cbranch_execz .LBB272_10
; %bb.12:                               ;   in Loop: Header=BB272_11 Depth=2
	v_add_u32_e32 v68, s6, v93
	ds_read_b128 v[84:87], v93
	v_add_u32_e32 v69, s24, v93
	ds_read_b128 v[88:91], v68
	ds_read2_b32 v[106:107], v69 offset1:1
	v_add_u32_e32 v68, s30, v93
	ds_read2_b32 v[104:105], v69 offset0:2 offset1:3
	ds_read_b128 v[68:71], v68
	s_branch .LBB272_10
.LBB272_13:                             ;   in Loop: Header=BB272_8 Depth=1
	; sched_barrier mask(0x00000000)
	v_cvt_i32_f32_e32 v57, v57
	v_cvt_i32_f32_e32 v58, v58
	;; [unrolled: 1-line block ×4, first 2 shown]
	v_cvt_f32_i32_dpp v57, v57 row_shl:1 row_mask:0xf bank_mask:0xf bound_ctrl:1
	v_cvt_f32_i32_dpp v58, v58 row_shl:2 row_mask:0xf bank_mask:0xf bound_ctrl:1
	v_cvt_f32_i32_dpp v59, v59 row_shl:3 row_mask:0xf bank_mask:0xf bound_ctrl:1
	v_cvt_i32_f32_e32 v62, v62
	v_add_f32_e32 v56, v56, v57
	v_add_f32_e32 v56, v56, v58
	;; [unrolled: 1-line block ×3, first 2 shown]
	v_cvt_i32_f32_e32 v57, v56
	v_cvt_i32_f32_e32 v63, v63
	v_cvt_f32_i32_dpp v61, v61 row_shl:1 row_mask:0xf bank_mask:0xf bound_ctrl:1
	v_cvt_f32_i32_dpp v62, v62 row_shl:2 row_mask:0xf bank_mask:0xf bound_ctrl:1
	;; [unrolled: 1-line block ×4, first 2 shown]
	v_add_f32_e32 v60, v60, v61
	v_add_f32_e32 v60, v60, v62
	;; [unrolled: 1-line block ×3, first 2 shown]
	v_cvt_i32_f32_e32 v57, v56
	v_add_f32_e32 v60, v60, v63
	v_cvt_i32_f32_e32 v53, v53
	v_cvt_i32_f32_e32 v61, v60
	v_cvt_f32_i32_dpp v57, v57 row_shl:8 row_mask:0xf bank_mask:0xf bound_ctrl:1
	v_cvt_i32_f32_e32 v54, v54
	v_cvt_i32_f32_e32 v55, v55
	v_cvt_f32_i32_dpp v53, v53 row_shl:1 row_mask:0xf bank_mask:0xf bound_ctrl:1
	v_cvt_f32_i32_dpp v61, v61 row_shl:4 row_mask:0xf bank_mask:0xf bound_ctrl:1
	v_add_f32_e32 v56, v56, v57
	v_cvt_f32_i32_dpp v54, v54 row_shl:2 row_mask:0xf bank_mask:0xf bound_ctrl:1
	v_cvt_f32_i32_dpp v55, v55 row_shl:3 row_mask:0xf bank_mask:0xf bound_ctrl:1
	v_cvt_i32_f32_e32 v56, v56
	v_cvt_i32_f32_e32 v49, v49
	v_add_f32_e32 v52, v52, v53
	v_cvt_i32_f32_e32 v50, v50
	v_add_f32_e32 v58, v60, v61
	v_add_f32_e32 v52, v52, v54
	v_cvt_i32_f32_e32 v51, v51
	v_cvt_i32_f32_e32 v59, v58
	v_add_f32_e32 v52, v52, v55
	v_cvt_f32_i32_dpp v55, v56 row_shr:15 row_mask:0xf bank_mask:0xf bound_ctrl:1
	v_cvt_f32_i32_dpp v49, v49 row_shl:1 row_mask:0xf bank_mask:0xf bound_ctrl:1
	v_cvt_f32_i32_dpp v50, v50 row_shl:2 row_mask:0xf bank_mask:0xf bound_ctrl:1
	;; [unrolled: 1-line block ×4, first 2 shown]
	v_cvt_i32_f32_e32 v53, v52
	v_cvt_i32_f32_e32 v56, v55
	v_add_f32_e32 v48, v48, v49
	v_add_f32_e32 v48, v48, v50
	;; [unrolled: 1-line block ×4, first 2 shown]
	v_cvt_f32_i32_dpp v53, v53 row_shl:4 row_mask:0xf bank_mask:0xf bound_ctrl:1
	v_cvt_f32_i32_dpp v56, v56 row_bcast:15 row_mask:0xf bank_mask:0xf bound_ctrl:1
	v_cvt_i32_f32_e32 v49, v51
	v_cvt_i32_f32_e32 v58, v58
	;; [unrolled: 1-line block ×4, first 2 shown]
	v_add_f32_e32 v53, v52, v53
	v_add_f32_e32 v48, v55, v56
	v_cvt_f32_i32_dpp v56, v49 row_shl:4 row_mask:0xf bank_mask:0xf bound_ctrl:1
	v_cvt_i32_f32_e32 v47, v47
	v_cvt_f32_i32_dpp v58, v58 row_shr:15 row_mask:0xf bank_mask:0xf bound_ctrl:1
	v_cvt_i32_f32_e32 v57, v53
	v_cvt_i32_f32_e32 v55, v48
	v_cvt_f32_i32_dpp v45, v45 row_shl:1 row_mask:0xf bank_mask:0xf bound_ctrl:1
	v_cvt_f32_i32_dpp v46, v46 row_shl:2 row_mask:0xf bank_mask:0xf bound_ctrl:1
	v_add_f32_e32 v51, v51, v56
	v_cvt_f32_i32_dpp v47, v47 row_shl:3 row_mask:0xf bank_mask:0xf bound_ctrl:1
	v_cvt_i32_f32_e32 v54, v58
	v_cvt_f32_i32_dpp v57, v57 row_shl:8 row_mask:0xf bank_mask:0xf bound_ctrl:1
	v_mov_b32_dpp v49, v55 row_bcast:31 row_mask:0xf bank_mask:0xf bound_ctrl:1
	v_cvt_i32_f32_e32 v55, v51
	v_add_f32_e32 v44, v44, v45
	v_add_f32_e32 v44, v44, v46
	;; [unrolled: 1-line block ×3, first 2 shown]
	v_cvt_f32_i32_dpp v54, v54 row_bcast:15 row_mask:0xf bank_mask:0xf bound_ctrl:1
	v_add_f32_e32 v53, v53, v57
	v_cvt_f32_i32_dpp v55, v55 row_shl:8 row_mask:0xf bank_mask:0xf bound_ctrl:1
	v_cvt_i32_f32_e32 v44, v45
	v_cvt_i32_f32_e32 v53, v53
	;; [unrolled: 1-line block ×4, first 2 shown]
	v_add_f32_e32 v52, v58, v54
	v_add_f32_e32 v47, v51, v55
	v_cvt_f32_i32_dpp v51, v44 row_shl:4 row_mask:0xf bank_mask:0xf bound_ctrl:1
	v_cvt_i32_f32_e32 v43, v43
	v_cvt_i32_f32_e32 v54, v52
	v_cvt_f32_i32_dpp v53, v53 row_shr:15 row_mask:0xf bank_mask:0xf bound_ctrl:1
	v_cvt_f32_i32_dpp v41, v41 row_shl:1 row_mask:0xf bank_mask:0xf bound_ctrl:1
	v_cvt_f32_i32_dpp v42, v42 row_shl:2 row_mask:0xf bank_mask:0xf bound_ctrl:1
	v_add_f32_e32 v45, v45, v51
	v_cvt_f32_i32_dpp v43, v43 row_shl:3 row_mask:0xf bank_mask:0xf bound_ctrl:1
	v_mov_b32_dpp v50, v54 row_bcast:31 row_mask:0xf bank_mask:0xf bound_ctrl:1
	v_cvt_i32_f32_e32 v54, v53
	v_cvt_i32_f32_e32 v51, v45
	v_add_f32_e32 v40, v40, v41
	v_add_f32_e32 v40, v40, v42
	;; [unrolled: 1-line block ×3, first 2 shown]
	v_cvt_f32_i32_dpp v46, v54 row_bcast:15 row_mask:0xf bank_mask:0xf bound_ctrl:1
	v_cvt_f32_i32_dpp v51, v51 row_shl:8 row_mask:0xf bank_mask:0xf bound_ctrl:1
	v_cvt_i32_f32_e32 v41, v40
	v_cvt_i32_f32_e32 v47, v47
	v_add_f32_e32 v44, v53, v46
	v_add_f32_e32 v43, v45, v51
	v_cvt_f32_i32_dpp v45, v41 row_shl:4 row_mask:0xf bank_mask:0xf bound_ctrl:1
	v_cvt_i32_f32_e32 v46, v44
	v_cvt_f32_i32_dpp v47, v47 row_shr:15 row_mask:0xf bank_mask:0xf bound_ctrl:1
	v_cvt_i32_f32_e32 v37, v37
	v_add_f32_e32 v45, v40, v45
	v_cvt_i32_f32_e32 v38, v38
	v_cvt_i32_f32_e32 v42, v47
	v_mov_b32_dpp v41, v46 row_bcast:31 row_mask:0xf bank_mask:0xf bound_ctrl:1
	v_cvt_i32_f32_e32 v46, v45
	v_cvt_i32_f32_e32 v39, v39
	v_cvt_f32_i32_dpp v37, v37 row_shl:1 row_mask:0xf bank_mask:0xf bound_ctrl:1
	v_cvt_f32_i32_dpp v38, v38 row_shl:2 row_mask:0xf bank_mask:0xf bound_ctrl:1
	v_cvt_f32_i32_dpp v42, v42 row_bcast:15 row_mask:0xf bank_mask:0xf bound_ctrl:1
	v_cvt_f32_i32_dpp v46, v46 row_shl:8 row_mask:0xf bank_mask:0xf bound_ctrl:1
	v_cvt_f32_i32_dpp v39, v39 row_shl:3 row_mask:0xf bank_mask:0xf bound_ctrl:1
	v_cvt_i32_f32_e32 v43, v43
	v_add_f32_e32 v36, v36, v37
	v_add_f32_e32 v36, v36, v38
	;; [unrolled: 1-line block ×5, first 2 shown]
	v_cvt_i32_f32_e32 v42, v40
	v_cvt_i32_f32_e32 v45, v45
	;; [unrolled: 1-line block ×3, first 2 shown]
	v_cvt_f32_i32_dpp v43, v43 row_shr:15 row_mask:0xf bank_mask:0xf bound_ctrl:1
	v_cvt_i32_f32_e32 v33, v33
	v_cvt_i32_f32_e32 v34, v34
	v_mov_b32_dpp v37, v42 row_bcast:31 row_mask:0xf bank_mask:0xf bound_ctrl:1
	v_cvt_f32_i32_dpp v42, v45 row_shr:15 row_mask:0xf bank_mask:0xf bound_ctrl:1
	v_cvt_f32_i32_dpp v45, v36 row_shl:4 row_mask:0xf bank_mask:0xf bound_ctrl:1
	v_cvt_i32_f32_e32 v35, v35
	v_cvt_i32_f32_e32 v47, v43
	v_cvt_f32_i32_dpp v33, v33 row_shl:1 row_mask:0xf bank_mask:0xf bound_ctrl:1
	v_cvt_f32_i32_dpp v34, v34 row_shl:2 row_mask:0xf bank_mask:0xf bound_ctrl:1
	v_add_f32_e32 v38, v38, v45
	v_cvt_f32_i32_dpp v35, v35 row_shl:3 row_mask:0xf bank_mask:0xf bound_ctrl:1
	v_cvt_f32_i32_dpp v39, v47 row_bcast:15 row_mask:0xf bank_mask:0xf bound_ctrl:1
	v_cvt_i32_f32_e32 v45, v38
	v_add_f32_e32 v32, v32, v33
	v_add_f32_e32 v32, v32, v34
	;; [unrolled: 1-line block ×3, first 2 shown]
	v_cvt_i32_f32_e32 v29, v29
	v_add_f32_e32 v36, v43, v39
	v_cvt_i32_f32_e32 v43, v42
	v_cvt_f32_i32_dpp v45, v45 row_shl:8 row_mask:0xf bank_mask:0xf bound_ctrl:1
	v_cvt_i32_f32_e32 v32, v34
	v_cvt_i32_f32_e32 v30, v30
	;; [unrolled: 1-line block ×3, first 2 shown]
	v_cvt_f32_i32_dpp v29, v29 row_shl:1 row_mask:0xf bank_mask:0xf bound_ctrl:1
	v_cvt_f32_i32_dpp v35, v43 row_bcast:15 row_mask:0xf bank_mask:0xf bound_ctrl:1
	v_add_f32_e32 v33, v38, v45
	v_cvt_f32_i32_dpp v43, v32 row_shl:4 row_mask:0xf bank_mask:0xf bound_ctrl:1
	v_cvt_f32_i32_dpp v30, v30 row_shl:2 row_mask:0xf bank_mask:0xf bound_ctrl:1
	v_cvt_i32_f32_e32 v38, v33
	v_cvt_f32_i32_dpp v31, v31 row_shl:3 row_mask:0xf bank_mask:0xf bound_ctrl:1
	v_add_f32_e32 v28, v28, v29
	v_add_f32_e32 v34, v34, v43
	;; [unrolled: 1-line block ×4, first 2 shown]
	v_cvt_f32_i32_dpp v35, v38 row_shr:15 row_mask:0xf bank_mask:0xf bound_ctrl:1
	v_cvt_i32_f32_e32 v38, v34
	v_add_f32_e32 v28, v28, v31
	v_cvt_i32_f32_e32 v29, v28
	v_cvt_i32_f32_e32 v30, v35
	v_cvt_f32_i32_dpp v38, v38 row_shl:8 row_mask:0xf bank_mask:0xf bound_ctrl:1
	v_cvt_i32_f32_e32 v25, v25
	v_cvt_f32_i32_dpp v29, v29 row_shl:4 row_mask:0xf bank_mask:0xf bound_ctrl:1
	v_cvt_i32_f32_e32 v26, v26
	v_add_f32_e32 v31, v34, v38
	v_cvt_i32_f32_e32 v31, v31
	v_cvt_f32_i32_dpp v30, v30 row_bcast:15 row_mask:0xf bank_mask:0xf bound_ctrl:1
	v_add_f32_e32 v38, v28, v29
	v_cvt_i32_f32_e32 v27, v27
	v_cvt_i32_f32_e32 v29, v38
	v_cvt_f32_i32_dpp v25, v25 row_shl:1 row_mask:0xf bank_mask:0xf bound_ctrl:1
	v_cvt_f32_i32_dpp v26, v26 row_shl:2 row_mask:0xf bank_mask:0xf bound_ctrl:1
	v_cvt_i32_f32_e32 v39, v36
	v_cvt_f32_i32_dpp v31, v31 row_shr:15 row_mask:0xf bank_mask:0xf bound_ctrl:1
	v_add_f32_e32 v28, v35, v30
	v_cvt_f32_i32_dpp v27, v27 row_shl:3 row_mask:0xf bank_mask:0xf bound_ctrl:1
	v_cvt_i32_f32_e32 v35, v28
	v_cvt_f32_i32_dpp v42, v29 row_shl:8 row_mask:0xf bank_mask:0xf bound_ctrl:1
	v_add_f32_e32 v24, v24, v25
	v_cvt_i32_f32_e32 v21, v21
	v_add_f32_e32 v24, v24, v26
	v_cvt_i32_f32_e32 v22, v22
	v_mov_b32_dpp v33, v39 row_bcast:31 row_mask:0xf bank_mask:0xf bound_ctrl:1
	v_cvt_i32_f32_e32 v34, v32
	v_cvt_i32_f32_e32 v39, v31
	v_add_f32_e32 v25, v24, v27
	v_cvt_i32_f32_e32 v23, v23
	v_mov_b32_dpp v29, v35 row_bcast:31 row_mask:0xf bank_mask:0xf bound_ctrl:1
	v_add_f32_e32 v35, v38, v42
	v_cvt_i32_f32_e32 v26, v25
	v_cvt_i32_f32_e32 v35, v35
	v_cvt_f32_i32_dpp v21, v21 row_shl:1 row_mask:0xf bank_mask:0xf bound_ctrl:1
	v_cvt_f32_i32_dpp v22, v22 row_shl:2 row_mask:0xf bank_mask:0xf bound_ctrl:1
	v_mov_b32_dpp v30, v34 row_bcast:31 row_mask:0xf bank_mask:0xf bound_ctrl:1
	v_cvt_f32_i32_dpp v34, v39 row_bcast:15 row_mask:0xf bank_mask:0xf bound_ctrl:1
	v_cvt_f32_i32_dpp v23, v23 row_shl:3 row_mask:0xf bank_mask:0xf bound_ctrl:1
	v_cvt_f32_i32_dpp v26, v26 row_shl:4 row_mask:0xf bank_mask:0xf bound_ctrl:1
	v_cvt_f32_i32_dpp v35, v35 row_shr:15 row_mask:0xf bank_mask:0xf bound_ctrl:1
	v_add_f32_e32 v20, v20, v21
	v_add_f32_e32 v20, v20, v22
	v_cvt_i32_f32_e32 v17, v17
	v_add_f32_e32 v24, v31, v34
	v_add_f32_e32 v22, v20, v23
	v_cvt_i32_f32_e32 v18, v18
	v_cvt_i32_f32_e32 v27, v24
	v_add_f32_e32 v25, v25, v26
	v_cvt_i32_f32_e32 v20, v22
	v_cvt_i32_f32_e32 v19, v19
	;; [unrolled: 1-line block ×4, first 2 shown]
	v_cvt_f32_i32_dpp v17, v17 row_shl:1 row_mask:0xf bank_mask:0xf bound_ctrl:1
	v_cvt_f32_i32_dpp v18, v18 row_shl:2 row_mask:0xf bank_mask:0xf bound_ctrl:1
	v_mov_b32_dpp v21, v27 row_bcast:31 row_mask:0xf bank_mask:0xf bound_ctrl:1
	v_cvt_f32_i32_dpp v27, v20 row_shl:4 row_mask:0xf bank_mask:0xf bound_ctrl:1
	v_cvt_f32_i32_dpp v19, v19 row_shl:3 row_mask:0xf bank_mask:0xf bound_ctrl:1
	v_cvt_f32_i32_dpp v23, v31 row_bcast:15 row_mask:0xf bank_mask:0xf bound_ctrl:1
	v_cvt_f32_i32_dpp v26, v26 row_shl:8 row_mask:0xf bank_mask:0xf bound_ctrl:1
	v_add_f32_e32 v16, v16, v17
	v_add_f32_e32 v16, v16, v18
	;; [unrolled: 1-line block ×6, first 2 shown]
	v_cvt_i32_f32_e32 v25, v22
	v_cvt_i32_f32_e32 v17, v16
	;; [unrolled: 1-line block ×4, first 2 shown]
	v_cvt_f32_i32_dpp v25, v25 row_shl:8 row_mask:0xf bank_mask:0xf bound_ctrl:1
	v_cvt_f32_i32_dpp v17, v17 row_shl:4 row_mask:0xf bank_mask:0xf bound_ctrl:1
	v_cvt_f32_i32_dpp v18, v23 row_shr:15 row_mask:0xf bank_mask:0xf bound_ctrl:1
	v_cvt_i32_f32_e32 v1, v1
	v_add_f32_e32 v19, v22, v25
	v_add_f32_e32 v25, v16, v17
	v_cvt_i32_f32_e32 v19, v19
	v_cvt_i32_f32_e32 v23, v18
	;; [unrolled: 1-line block ×10, first 2 shown]
	v_cvt_f32_i32_dpp v19, v19 row_shr:15 row_mask:0xf bank_mask:0xf bound_ctrl:1
	v_cvt_f32_i32_dpp v23, v23 row_bcast:15 row_mask:0xf bank_mask:0xf bound_ctrl:1
	v_cvt_f32_i32_dpp v26, v16 row_shl:8 row_mask:0xf bank_mask:0xf bound_ctrl:1
	v_cvt_f32_i32_dpp v5, v5 row_shl:1 row_mask:0xf bank_mask:0xf bound_ctrl:1
	;; [unrolled: 1-line block ×6, first 2 shown]
	v_cvt_i32_f32_e32 v3, v3
	v_cvt_f32_i32_dpp v14, v14 row_shl:2 row_mask:0xf bank_mask:0xf bound_ctrl:1
	v_cvt_f32_i32_dpp v7, v7 row_shl:3 row_mask:0xf bank_mask:0xf bound_ctrl:1
	v_cvt_f32_i32_dpp v15, v15 row_shl:3 row_mask:0xf bank_mask:0xf bound_ctrl:1
	v_mov_b32_dpp v17, v22 row_bcast:31 row_mask:0xf bank_mask:0xf bound_ctrl:1
	v_cvt_i32_f32_e32 v22, v19
	v_add_f32_e32 v16, v18, v23
	v_add_f32_e32 v23, v25, v26
	;; [unrolled: 1-line block ×4, first 2 shown]
	v_cvt_i32_f32_e32 v23, v23
	v_add_f32_e32 v12, v12, v13
	v_add_f32_e32 v4, v4, v6
	;; [unrolled: 1-line block ×3, first 2 shown]
	v_cvt_f32_i32_dpp v1, v3 row_shl:3 row_mask:0xf bank_mask:0xf bound_ctrl:1
	v_cvt_i32_f32_e32 v2, v9
	v_add_f32_e32 v12, v12, v14
	v_add_f32_e32 v4, v4, v7
	v_cvt_i32_f32_e32 v3, v10
	v_add_f32_e32 v14, v12, v15
	v_cvt_i32_f32_e32 v5, v4
	v_cvt_i32_f32_e32 v9, v11
	v_cvt_f32_i32_dpp v22, v22 row_bcast:15 row_mask:0xf bank_mask:0xf bound_ctrl:1
	v_cvt_i32_f32_e32 v12, v14
	v_cvt_f32_i32_dpp v23, v23 row_shr:15 row_mask:0xf bank_mask:0xf bound_ctrl:1
	v_add_f32_e32 v0, v0, v1
	v_cvt_f32_i32_dpp v1, v2 row_shl:1 row_mask:0xf bank_mask:0xf bound_ctrl:1
	v_cvt_f32_i32_dpp v2, v3 row_shl:2 row_mask:0xf bank_mask:0xf bound_ctrl:1
	;; [unrolled: 1-line block ×4, first 2 shown]
	v_add_f32_e32 v13, v19, v22
	v_cvt_f32_i32_dpp v19, v12 row_shl:4 row_mask:0xf bank_mask:0xf bound_ctrl:1
	v_cvt_i32_f32_e32 v18, v16
	v_cvt_i32_f32_e32 v25, v23
	v_add_f32_e32 v1, v8, v1
	v_add_f32_e32 v1, v1, v2
	;; [unrolled: 1-line block ×5, first 2 shown]
	v_cvt_i32_f32_e32 v5, v4
	v_cvt_i32_f32_e32 v9, v0
	;; [unrolled: 1-line block ×3, first 2 shown]
	v_mov_b32_dpp v15, v18 row_bcast:31 row_mask:0xf bank_mask:0xf bound_ctrl:1
	v_cvt_f32_i32_dpp v18, v25 row_bcast:15 row_mask:0xf bank_mask:0xf bound_ctrl:1
	v_cvt_i32_f32_e32 v14, v19
	v_cvt_f32_i32_dpp v3, v5 row_shl:8 row_mask:0xf bank_mask:0xf bound_ctrl:1
	v_cvt_f32_i32_dpp v5, v9 row_shl:4 row_mask:0xf bank_mask:0xf bound_ctrl:1
	;; [unrolled: 1-line block ×3, first 2 shown]
	v_add_f32_e32 v12, v23, v18
	v_cvt_f32_i32_dpp v23, v14 row_shl:8 row_mask:0xf bank_mask:0xf bound_ctrl:1
	v_add_f32_e32 v0, v0, v5
	v_add_f32_e32 v1, v1, v2
	;; [unrolled: 1-line block ×4, first 2 shown]
	v_cvt_i32_f32_e32 v4, v0
	v_cvt_i32_f32_e32 v2, v1
	;; [unrolled: 1-line block ×4, first 2 shown]
	v_cvt_f32_i32_dpp v4, v4 row_shl:8 row_mask:0xf bank_mask:0xf bound_ctrl:1
	v_cvt_f32_i32_dpp v2, v2 row_shl:8 row_mask:0xf bank_mask:0xf bound_ctrl:1
	v_cvt_f32_i32_dpp v6, v6 row_shr:15 row_mask:0xf bank_mask:0xf bound_ctrl:1
	v_cvt_f32_i32_dpp v3, v3 row_shr:15 row_mask:0xf bank_mask:0xf bound_ctrl:1
	v_add_f32_e32 v0, v0, v4
	v_add_f32_e32 v1, v1, v2
	v_cvt_i32_f32_e32 v5, v6
	v_cvt_i32_f32_e32 v0, v0
	;; [unrolled: 1-line block ×4, first 2 shown]
	v_cvt_f32_i32_dpp v2, v5 row_bcast:15 row_mask:0xf bank_mask:0xf bound_ctrl:1
	v_cvt_f32_i32_dpp v0, v0 row_shr:15 row_mask:0xf bank_mask:0xf bound_ctrl:1
	v_cvt_f32_i32_dpp v1, v1 row_shr:15 row_mask:0xf bank_mask:0xf bound_ctrl:1
	v_cvt_f32_i32_dpp v4, v4 row_bcast:15 row_mask:0xf bank_mask:0xf bound_ctrl:1
	v_add_f32_e32 v9, v6, v2
	v_cvt_i32_f32_e32 v2, v0
	v_cvt_i32_f32_e32 v5, v1
	v_add_f32_e32 v6, v3, v4
	v_cvt_i32_f32_e32 v22, v13
	v_cvt_f32_i32_dpp v2, v2 row_bcast:15 row_mask:0xf bank_mask:0xf bound_ctrl:1
	v_cvt_f32_i32_dpp v3, v5 row_bcast:15 row_mask:0xf bank_mask:0xf bound_ctrl:1
	v_cvt_i32_f32_e32 v18, v12
	v_cvt_i32_f32_e32 v8, v9
	v_add_f32_e32 v4, v0, v2
	v_add_f32_e32 v2, v1, v3
	v_cvt_i32_f32_e32 v5, v6
	v_cvt_i32_f32_e32 v0, v4
	;; [unrolled: 1-line block ×3, first 2 shown]
	v_mov_b32_dpp v14, v22 row_bcast:31 row_mask:0xf bank_mask:0xf bound_ctrl:1
	v_mov_b32_dpp v7, v18 row_bcast:31 row_mask:0xf bank_mask:0xf bound_ctrl:1
	v_mov_b32_dpp v10, v8 row_bcast:31 row_mask:0xf bank_mask:0xf bound_ctrl:1
	v_mov_b32_dpp v8, v5 row_bcast:31 row_mask:0xf bank_mask:0xf bound_ctrl:1
	v_mov_b32_dpp v5, v0 row_bcast:31 row_mask:0xf bank_mask:0xf bound_ctrl:1
	v_mov_b32_dpp v3, v1 row_bcast:31 row_mask:0xf bank_mask:0xf bound_ctrl:1
	s_and_saveexec_b64 s[20:21], s[0:1]
	s_cbranch_execz .LBB272_7
; %bb.14:                               ;   in Loop: Header=BB272_8 Depth=1
	s_andn2_b64 vcc, exec, s[18:19]
	v_mov_b32_e32 v0, 0
	v_mov_b32_e32 v43, 0
	;; [unrolled: 1-line block ×16, first 2 shown]
	s_cbranch_vccnz .LBB272_16
; %bb.15:                               ;   in Loop: Header=BB272_8 Depth=1
	v_mul_hi_u32 v0, v92, v109
	v_mul_lo_u32 v0, v0, s8
	v_sub_u32_e32 v0, v92, v0
	v_subrev_u32_e32 v1, s8, v0
	v_cmp_le_u32_e32 vcc, s8, v0
	v_mov_b32_e32 v23, v95
	v_mov_b32_e32 v47, v95
	v_cndmask_b32_e32 v0, v0, v1, vcc
	v_subrev_u32_e32 v1, s8, v0
	v_cmp_le_u32_e32 vcc, s8, v0
	v_mov_b32_e32 v57, v95
	s_nop 0
	v_cndmask_b32_e32 v94, v0, v1, vcc
	v_or_b32_e32 v0, 1, v92
	v_mul_hi_u32 v1, v0, v109
	v_mul_lo_u32 v1, v1, s8
	v_sub_u32_e32 v0, v0, v1
	v_subrev_u32_e32 v1, s8, v0
	v_cmp_le_u32_e32 vcc, s8, v0
	v_lshl_add_u64 v[18:19], v[94:95], 1, s[10:11]
	s_nop 0
	v_cndmask_b32_e32 v0, v0, v1, vcc
	v_subrev_u32_e32 v1, s8, v0
	v_cmp_le_u32_e32 vcc, s8, v0
	s_nop 1
	v_cndmask_b32_e32 v22, v0, v1, vcc
	v_or_b32_e32 v0, 2, v92
	v_mul_hi_u32 v1, v0, v109
	v_mul_lo_u32 v1, v1, s8
	v_sub_u32_e32 v0, v0, v1
	v_subrev_u32_e32 v1, s8, v0
	v_cmp_le_u32_e32 vcc, s8, v0
	v_lshl_add_u64 v[26:27], v[22:23], 1, s[10:11]
	s_nop 0
	v_cndmask_b32_e32 v0, v0, v1, vcc
	v_subrev_u32_e32 v1, s8, v0
	v_cmp_le_u32_e32 vcc, s8, v0
	;; [unrolled: 13-line block ×3, first 2 shown]
	s_nop 1
	v_cndmask_b32_e32 v56, v0, v1, vcc
	v_add_u32_e32 v0, s27, v94
	v_mov_b32_e32 v1, v95
	v_lshl_add_u64 v[60:61], v[0:1], 1, s[10:11]
	v_add_u32_e32 v0, s27, v22
	v_lshl_add_u64 v[62:63], v[0:1], 1, s[10:11]
	v_add_u32_e32 v0, s27, v46
	v_lshl_add_u64 v[64:65], v[0:1], 1, s[10:11]
	v_add_u32_e32 v0, s27, v56
	v_lshl_add_u64 v[58:59], v[56:57], 1, s[10:11]
	v_lshl_add_u64 v[66:67], v[0:1], 1, s[10:11]
	global_load_ushort v0, v[18:19], off
	global_load_ushort v43, v[26:27], off
	;; [unrolled: 1-line block ×7, first 2 shown]
                                        ; kill: killed $vgpr58_vgpr59
                                        ; kill: killed $vgpr60_vgpr61
                                        ; kill: killed $vgpr62_vgpr63
                                        ; kill: killed $vgpr64_vgpr65
                                        ; kill: killed $vgpr26_vgpr27
                                        ; kill: killed $vgpr18_vgpr19
                                        ; kill: killed $vgpr54_vgpr55
	global_load_ushort v31, v[66:67], off
	v_add_u32_e32 v18, s28, v94
	v_add_u32_e32 v94, s29, v94
	;; [unrolled: 1-line block ×3, first 2 shown]
	v_mov_b32_e32 v27, v95
	v_lshl_add_u64 v[62:63], v[94:95], 1, s[10:11]
	v_add_u32_e32 v94, s29, v22
	v_mov_b32_e32 v19, v95
	v_lshl_add_u64 v[54:55], v[26:27], 1, s[10:11]
	v_add_u32_e32 v26, s28, v46
	v_lshl_add_u64 v[64:65], v[94:95], 1, s[10:11]
	v_add_u32_e32 v94, s29, v46
	v_lshl_add_u64 v[18:19], v[18:19], 1, s[10:11]
	v_lshl_add_u64 v[58:59], v[26:27], 1, s[10:11]
	v_add_u32_e32 v26, s28, v56
	v_lshl_add_u64 v[46:47], v[94:95], 1, s[10:11]
	v_add_u32_e32 v94, s29, v56
	v_lshl_add_u64 v[60:61], v[26:27], 1, s[10:11]
	v_lshl_add_u64 v[56:57], v[94:95], 1, s[10:11]
	global_load_ushort v27, v[18:19], off
	global_load_ushort v26, v[54:55], off
	;; [unrolled: 1-line block ×3, first 2 shown]
                                        ; kill: killed $vgpr58_vgpr59
                                        ; kill: killed $vgpr18_vgpr19
                                        ; kill: killed $vgpr54_vgpr55
	global_load_ushort v23, v[60:61], off
	global_load_ushort v22, v[62:63], off
	s_nop 0
	global_load_ushort v19, v[64:65], off
	global_load_ushort v18, v[46:47], off
	;; [unrolled: 1-line block ×3, first 2 shown]
.LBB272_16:                             ;   in Loop: Header=BB272_8 Depth=1
	v_cvt_f32_i32_e32 v1, v50
	s_waitcnt vmcnt(15)
	v_lshlrev_b32_e32 v0, 16, v0
                                        ; implicit-def: $vgpr45
	v_add_f32_e32 v1, v52, v1
	v_add_f32_e32 v0, v1, v0
	v_and_b32_e32 v1, 0x7f800000, v0
	v_cmp_ne_u32_e32 vcc, s31, v1
	s_and_saveexec_b64 s[22:23], vcc
	s_xor_b64 s[22:23], exec, s[22:23]
; %bb.17:                               ;   in Loop: Header=BB272_8 Depth=1
	v_bfe_u32 v1, v0, 16, 1
	v_add3_u32 v45, v0, v1, s33
                                        ; implicit-def: $vgpr0
; %bb.18:                               ;   in Loop: Header=BB272_8 Depth=1
	s_andn2_saveexec_b64 s[22:23], s[22:23]
; %bb.19:                               ;   in Loop: Header=BB272_8 Depth=1
	v_or_b32_e32 v1, 0x10000, v0
	v_cmp_eq_u32_sdwa vcc, v0, v95 src0_sel:WORD_0 src1_sel:DWORD
	s_nop 1
	v_cndmask_b32_e32 v45, v1, v0, vcc
; %bb.20:                               ;   in Loop: Header=BB272_8 Depth=1
	s_or_b64 exec, exec, s[22:23]
	v_cvt_f32_i32_e32 v46, v49
	v_mov_b32_e32 v93, v95
	s_waitcnt lgkmcnt(0)
	v_lshl_add_u64 v[0:1], v[92:93], 1, s[14:15]
	global_store_short_d16_hi v[0:1], v45, off
	v_add_f32_e32 v45, v48, v46
	s_waitcnt vmcnt(15)
	v_lshlrev_b32_e32 v43, 16, v43
	v_add_f32_e32 v43, v45, v43
	v_and_b32_e32 v45, 0x7f800000, v43
	v_cmp_ne_u32_e32 vcc, s31, v45
                                        ; implicit-def: $vgpr45
	s_and_saveexec_b64 s[22:23], vcc
	s_xor_b64 s[22:23], exec, s[22:23]
; %bb.21:                               ;   in Loop: Header=BB272_8 Depth=1
	v_bfe_u32 v45, v43, 16, 1
	v_add3_u32 v45, v43, v45, s33
                                        ; implicit-def: $vgpr43
; %bb.22:                               ;   in Loop: Header=BB272_8 Depth=1
	s_andn2_saveexec_b64 s[22:23], s[22:23]
; %bb.23:                               ;   in Loop: Header=BB272_8 Depth=1
	v_or_b32_e32 v45, 0x10000, v43
	v_cmp_eq_u32_sdwa vcc, v43, v95 src0_sel:WORD_0 src1_sel:DWORD
	s_nop 1
	v_cndmask_b32_e32 v45, v45, v43, vcc
; %bb.24:                               ;   in Loop: Header=BB272_8 Depth=1
	s_or_b64 exec, exec, s[22:23]
	v_cvt_f32_i32_e32 v41, v41
	s_waitcnt vmcnt(14)
	v_lshlrev_b32_e32 v42, 16, v42
	global_store_short_d16_hi v[0:1], v45, off offset:2
	v_add_f32_e32 v41, v44, v41
	v_add_f32_e32 v41, v41, v42
	v_and_b32_e32 v42, 0x7f800000, v41
	v_cmp_ne_u32_e32 vcc, s31, v42
                                        ; implicit-def: $vgpr42
	s_and_saveexec_b64 s[22:23], vcc
	s_xor_b64 s[22:23], exec, s[22:23]
; %bb.25:                               ;   in Loop: Header=BB272_8 Depth=1
	v_bfe_u32 v42, v41, 16, 1
	v_add3_u32 v42, v41, v42, s33
                                        ; implicit-def: $vgpr41
; %bb.26:                               ;   in Loop: Header=BB272_8 Depth=1
	s_andn2_saveexec_b64 s[22:23], s[22:23]
; %bb.27:                               ;   in Loop: Header=BB272_8 Depth=1
	v_or_b32_e32 v42, 0x10000, v41
	v_cmp_eq_u32_sdwa vcc, v41, v95 src0_sel:WORD_0 src1_sel:DWORD
	s_nop 1
	v_cndmask_b32_e32 v42, v42, v41, vcc
; %bb.28:                               ;   in Loop: Header=BB272_8 Depth=1
	s_or_b64 exec, exec, s[22:23]
	v_cvt_f32_i32_e32 v37, v37
	s_waitcnt vmcnt(14)
	v_lshlrev_b32_e32 v39, 16, v39
	global_store_short_d16_hi v[0:1], v42, off offset:4
	v_add_f32_e32 v37, v40, v37
	v_add_f32_e32 v37, v37, v39
	v_and_b32_e32 v39, 0x7f800000, v37
	v_cmp_ne_u32_e32 vcc, s31, v39
                                        ; implicit-def: $vgpr39
	s_and_saveexec_b64 s[22:23], vcc
	s_xor_b64 s[22:23], exec, s[22:23]
; %bb.29:                               ;   in Loop: Header=BB272_8 Depth=1
	v_bfe_u32 v39, v37, 16, 1
	v_add3_u32 v39, v37, v39, s33
                                        ; implicit-def: $vgpr37
; %bb.30:                               ;   in Loop: Header=BB272_8 Depth=1
	s_andn2_saveexec_b64 s[22:23], s[22:23]
; %bb.31:                               ;   in Loop: Header=BB272_8 Depth=1
	v_or_b32_e32 v39, 0x10000, v37
	v_cmp_eq_u32_sdwa vcc, v37, v95 src0_sel:WORD_0 src1_sel:DWORD
	s_nop 1
	v_cndmask_b32_e32 v39, v39, v37, vcc
; %bb.32:                               ;   in Loop: Header=BB272_8 Depth=1
	s_or_b64 exec, exec, s[22:23]
	v_cvt_f32_i32_e32 v33, v33
	global_store_short_d16_hi v[0:1], v39, off offset:6
	s_waitcnt vmcnt(15)
	v_lshlrev_b32_e32 v1, 16, v38
	v_add_f32_e32 v0, v36, v33
	v_add_f32_e32 v1, v0, v1
	v_and_b32_e32 v0, 0x7f800000, v1
	v_cmp_ne_u32_e32 vcc, s31, v0
                                        ; implicit-def: $vgpr0
	s_and_saveexec_b64 s[22:23], vcc
	s_xor_b64 s[22:23], exec, s[22:23]
; %bb.33:                               ;   in Loop: Header=BB272_8 Depth=1
	v_bfe_u32 v0, v1, 16, 1
	v_add3_u32 v0, v1, v0, s33
                                        ; implicit-def: $vgpr1
; %bb.34:                               ;   in Loop: Header=BB272_8 Depth=1
	s_andn2_saveexec_b64 s[22:23], s[22:23]
; %bb.35:                               ;   in Loop: Header=BB272_8 Depth=1
	v_or_b32_e32 v0, 0x10000, v1
	v_cmp_eq_u32_sdwa vcc, v1, v95 src0_sel:WORD_0 src1_sel:DWORD
	s_nop 1
	v_cndmask_b32_e32 v0, v0, v1, vcc
; %bb.36:                               ;   in Loop: Header=BB272_8 Depth=1
	s_or_b64 exec, exec, s[22:23]
	v_cvt_f32_i32_e32 v1, v30
	v_add_u32_e32 v94, s7, v92
	v_lshl_add_u64 v[36:37], v[94:95], 1, s[14:15]
	global_store_short_d16_hi v[36:37], v0, off
	v_add_f32_e32 v0, v32, v1
	s_waitcnt vmcnt(15)
	v_lshlrev_b32_e32 v1, 16, v35
	v_add_f32_e32 v1, v0, v1
	v_and_b32_e32 v0, 0x7f800000, v1
	v_cmp_ne_u32_e32 vcc, s31, v0
                                        ; implicit-def: $vgpr0
	s_and_saveexec_b64 s[22:23], vcc
	s_xor_b64 s[22:23], exec, s[22:23]
; %bb.37:                               ;   in Loop: Header=BB272_8 Depth=1
	v_bfe_u32 v0, v1, 16, 1
	v_add3_u32 v0, v1, v0, s33
                                        ; implicit-def: $vgpr1
; %bb.38:                               ;   in Loop: Header=BB272_8 Depth=1
	s_andn2_saveexec_b64 s[22:23], s[22:23]
; %bb.39:                               ;   in Loop: Header=BB272_8 Depth=1
	v_or_b32_e32 v0, 0x10000, v1
	v_cmp_eq_u32_sdwa vcc, v1, v95 src0_sel:WORD_0 src1_sel:DWORD
	s_nop 1
	v_cndmask_b32_e32 v0, v0, v1, vcc
; %bb.40:                               ;   in Loop: Header=BB272_8 Depth=1
	s_or_b64 exec, exec, s[22:23]
	v_cvt_f32_i32_e32 v1, v29
	v_add_u32_e32 v32, 1, v94
	v_mov_b32_e32 v33, v95
	v_lshl_add_u64 v[32:33], v[32:33], 1, s[14:15]
	v_add_f32_e32 v1, v28, v1
	global_store_short_d16_hi v[32:33], v0, off
	s_waitcnt vmcnt(15)
	v_lshlrev_b32_e32 v0, 16, v34
	v_add_f32_e32 v1, v1, v0
	v_and_b32_e32 v0, 0x7f800000, v1
	v_cmp_ne_u32_e32 vcc, s31, v0
                                        ; implicit-def: $vgpr0
	s_and_saveexec_b64 s[22:23], vcc
	s_xor_b64 s[22:23], exec, s[22:23]
; %bb.41:                               ;   in Loop: Header=BB272_8 Depth=1
	v_bfe_u32 v0, v1, 16, 1
	v_add3_u32 v0, v1, v0, s33
                                        ; implicit-def: $vgpr1
; %bb.42:                               ;   in Loop: Header=BB272_8 Depth=1
	s_andn2_saveexec_b64 s[22:23], s[22:23]
; %bb.43:                               ;   in Loop: Header=BB272_8 Depth=1
	v_or_b32_e32 v0, 0x10000, v1
	v_cmp_eq_u32_sdwa vcc, v1, v95 src0_sel:WORD_0 src1_sel:DWORD
	s_nop 1
	v_cndmask_b32_e32 v0, v0, v1, vcc
; %bb.44:                               ;   in Loop: Header=BB272_8 Depth=1
	s_or_b64 exec, exec, s[22:23]
	v_cvt_f32_i32_e32 v1, v21
	v_add_u32_e32 v28, 2, v94
	v_mov_b32_e32 v29, v95
	v_lshl_add_u64 v[28:29], v[28:29], 1, s[14:15]
	v_add_f32_e32 v1, v24, v1
	global_store_short_d16_hi v[28:29], v0, off
	;; [unrolled: 27-line block ×3, first 2 shown]
	s_waitcnt vmcnt(15)
	v_lshlrev_b32_e32 v0, 16, v27
	v_add_f32_e32 v0, v1, v0
	v_and_b32_e32 v1, 0x7f800000, v0
	v_cmp_ne_u32_e32 vcc, s31, v1
                                        ; implicit-def: $vgpr17
	s_and_saveexec_b64 s[22:23], vcc
	s_xor_b64 s[22:23], exec, s[22:23]
; %bb.49:                               ;   in Loop: Header=BB272_8 Depth=1
	v_bfe_u32 v1, v0, 16, 1
	v_add3_u32 v17, v0, v1, s33
                                        ; implicit-def: $vgpr0
; %bb.50:                               ;   in Loop: Header=BB272_8 Depth=1
	s_andn2_saveexec_b64 s[22:23], s[22:23]
; %bb.51:                               ;   in Loop: Header=BB272_8 Depth=1
	v_or_b32_e32 v1, 0x10000, v0
	v_cmp_eq_u32_sdwa vcc, v0, v95 src0_sel:WORD_0 src1_sel:DWORD
	s_nop 1
	v_cndmask_b32_e32 v17, v1, v0, vcc
; %bb.52:                               ;   in Loop: Header=BB272_8 Depth=1
	s_or_b64 exec, exec, s[22:23]
	v_cvt_f32_i32_e32 v15, v15
	v_add_u32_e32 v94, s7, v94
	v_lshl_add_u64 v[0:1], v[94:95], 1, s[14:15]
	global_store_short_d16_hi v[0:1], v17, off
	v_add_f32_e32 v15, v16, v15
	s_waitcnt vmcnt(15)
	v_lshlrev_b32_e32 v16, 16, v26
	v_add_f32_e32 v15, v15, v16
	v_and_b32_e32 v16, 0x7f800000, v15
	v_cmp_ne_u32_e32 vcc, s31, v16
                                        ; implicit-def: $vgpr16
	s_and_saveexec_b64 s[22:23], vcc
	s_xor_b64 s[22:23], exec, s[22:23]
; %bb.53:                               ;   in Loop: Header=BB272_8 Depth=1
	v_bfe_u32 v16, v15, 16, 1
	v_add3_u32 v16, v15, v16, s33
                                        ; implicit-def: $vgpr15
; %bb.54:                               ;   in Loop: Header=BB272_8 Depth=1
	s_andn2_saveexec_b64 s[22:23], s[22:23]
; %bb.55:                               ;   in Loop: Header=BB272_8 Depth=1
	v_or_b32_e32 v16, 0x10000, v15
	v_cmp_eq_u32_sdwa vcc, v15, v95 src0_sel:WORD_0 src1_sel:DWORD
	s_nop 1
	v_cndmask_b32_e32 v16, v16, v15, vcc
; %bb.56:                               ;   in Loop: Header=BB272_8 Depth=1
	s_or_b64 exec, exec, s[22:23]
	v_cvt_f32_i32_e32 v14, v14
	global_store_short_d16_hi v[0:1], v16, off offset:2
	s_waitcnt vmcnt(15)
	v_lshlrev_b32_e32 v1, 16, v25
	v_add_f32_e32 v0, v13, v14
	v_add_f32_e32 v1, v0, v1
	v_and_b32_e32 v0, 0x7f800000, v1
	v_cmp_ne_u32_e32 vcc, s31, v0
                                        ; implicit-def: $vgpr0
	s_and_saveexec_b64 s[22:23], vcc
	s_xor_b64 s[22:23], exec, s[22:23]
; %bb.57:                               ;   in Loop: Header=BB272_8 Depth=1
	v_bfe_u32 v0, v1, 16, 1
	v_add3_u32 v0, v1, v0, s33
                                        ; implicit-def: $vgpr1
; %bb.58:                               ;   in Loop: Header=BB272_8 Depth=1
	s_andn2_saveexec_b64 s[22:23], s[22:23]
; %bb.59:                               ;   in Loop: Header=BB272_8 Depth=1
	v_or_b32_e32 v0, 0x10000, v1
	v_cmp_eq_u32_sdwa vcc, v1, v95 src0_sel:WORD_0 src1_sel:DWORD
	s_nop 1
	v_cndmask_b32_e32 v0, v0, v1, vcc
; %bb.60:                               ;   in Loop: Header=BB272_8 Depth=1
	s_or_b64 exec, exec, s[22:23]
	v_cvt_f32_i32_e32 v1, v7
	v_add_u32_e32 v14, 2, v94
	v_mov_b32_e32 v15, v95
	v_lshl_add_u64 v[14:15], v[14:15], 1, s[14:15]
	v_add_f32_e32 v1, v12, v1
	global_store_short_d16_hi v[14:15], v0, off
	s_waitcnt vmcnt(15)
	v_lshlrev_b32_e32 v0, 16, v23
	v_add_f32_e32 v1, v1, v0
	v_and_b32_e32 v0, 0x7f800000, v1
	v_cmp_ne_u32_e32 vcc, s31, v0
                                        ; implicit-def: $vgpr0
	s_and_saveexec_b64 s[22:23], vcc
	s_xor_b64 s[22:23], exec, s[22:23]
; %bb.61:                               ;   in Loop: Header=BB272_8 Depth=1
	v_bfe_u32 v0, v1, 16, 1
	v_add3_u32 v0, v1, v0, s33
                                        ; implicit-def: $vgpr1
; %bb.62:                               ;   in Loop: Header=BB272_8 Depth=1
	s_andn2_saveexec_b64 s[22:23], s[22:23]
; %bb.63:                               ;   in Loop: Header=BB272_8 Depth=1
	v_or_b32_e32 v0, 0x10000, v1
	v_cmp_eq_u32_sdwa vcc, v1, v95 src0_sel:WORD_0 src1_sel:DWORD
	s_nop 1
	v_cndmask_b32_e32 v0, v0, v1, vcc
; %bb.64:                               ;   in Loop: Header=BB272_8 Depth=1
	s_or_b64 exec, exec, s[22:23]
	v_cvt_f32_i32_e32 v1, v10
	v_add_u32_e32 v12, 3, v94
	v_mov_b32_e32 v13, v95
	v_lshl_add_u64 v[12:13], v[12:13], 1, s[14:15]
	v_add_f32_e32 v1, v9, v1
	global_store_short_d16_hi v[12:13], v0, off
	s_waitcnt vmcnt(15)
	v_lshlrev_b32_e32 v0, 16, v22
	v_add_f32_e32 v1, v1, v0
	v_and_b32_e32 v0, 0x7f800000, v1
	v_cmp_ne_u32_e32 vcc, s31, v0
                                        ; implicit-def: $vgpr0
	s_and_saveexec_b64 s[22:23], vcc
	s_xor_b64 s[22:23], exec, s[22:23]
; %bb.65:                               ;   in Loop: Header=BB272_8 Depth=1
	v_bfe_u32 v0, v1, 16, 1
	v_add3_u32 v0, v1, v0, s33
                                        ; implicit-def: $vgpr1
; %bb.66:                               ;   in Loop: Header=BB272_8 Depth=1
	s_andn2_saveexec_b64 s[22:23], s[22:23]
; %bb.67:                               ;   in Loop: Header=BB272_8 Depth=1
	v_or_b32_e32 v0, 0x10000, v1
	v_cmp_eq_u32_sdwa vcc, v1, v95 src0_sel:WORD_0 src1_sel:DWORD
	s_nop 1
	v_cndmask_b32_e32 v0, v0, v1, vcc
; %bb.68:                               ;   in Loop: Header=BB272_8 Depth=1
	s_or_b64 exec, exec, s[22:23]
	v_cvt_f32_i32_e32 v1, v8
	v_add_u32_e32 v94, s7, v94
	v_lshl_add_u64 v[8:9], v[94:95], 1, s[14:15]
	global_store_short_d16_hi v[8:9], v0, off
	v_add_f32_e32 v0, v6, v1
	s_waitcnt vmcnt(15)
	v_lshlrev_b32_e32 v1, 16, v19
	v_add_f32_e32 v1, v0, v1
	v_and_b32_e32 v0, 0x7f800000, v1
	v_cmp_ne_u32_e32 vcc, s31, v0
                                        ; implicit-def: $vgpr0
	s_and_saveexec_b64 s[22:23], vcc
	s_xor_b64 s[22:23], exec, s[22:23]
; %bb.69:                               ;   in Loop: Header=BB272_8 Depth=1
	v_bfe_u32 v0, v1, 16, 1
	v_add3_u32 v0, v1, v0, s33
                                        ; implicit-def: $vgpr1
; %bb.70:                               ;   in Loop: Header=BB272_8 Depth=1
	s_andn2_saveexec_b64 s[22:23], s[22:23]
; %bb.71:                               ;   in Loop: Header=BB272_8 Depth=1
	v_or_b32_e32 v0, 0x10000, v1
	v_cmp_eq_u32_sdwa vcc, v1, v95 src0_sel:WORD_0 src1_sel:DWORD
	s_nop 1
	v_cndmask_b32_e32 v0, v0, v1, vcc
; %bb.72:                               ;   in Loop: Header=BB272_8 Depth=1
	s_or_b64 exec, exec, s[22:23]
	v_cvt_f32_i32_e32 v1, v5
	v_add_u32_e32 v6, 1, v94
	v_mov_b32_e32 v7, v95
	v_lshl_add_u64 v[6:7], v[6:7], 1, s[14:15]
	v_add_f32_e32 v1, v4, v1
	global_store_short_d16_hi v[6:7], v0, off
	s_waitcnt vmcnt(15)
	v_lshlrev_b32_e32 v0, 16, v18
	v_add_f32_e32 v1, v1, v0
	v_and_b32_e32 v0, 0x7f800000, v1
	v_cmp_ne_u32_e32 vcc, s31, v0
                                        ; implicit-def: $vgpr0
	s_and_saveexec_b64 s[22:23], vcc
	s_xor_b64 s[22:23], exec, s[22:23]
; %bb.73:                               ;   in Loop: Header=BB272_8 Depth=1
	v_bfe_u32 v0, v1, 16, 1
	v_add3_u32 v0, v1, v0, s33
                                        ; implicit-def: $vgpr1
; %bb.74:                               ;   in Loop: Header=BB272_8 Depth=1
	s_andn2_saveexec_b64 s[22:23], s[22:23]
; %bb.75:                               ;   in Loop: Header=BB272_8 Depth=1
	v_or_b32_e32 v0, 0x10000, v1
	v_cmp_eq_u32_sdwa vcc, v1, v95 src0_sel:WORD_0 src1_sel:DWORD
	s_nop 1
	v_cndmask_b32_e32 v0, v0, v1, vcc
; %bb.76:                               ;   in Loop: Header=BB272_8 Depth=1
	s_or_b64 exec, exec, s[22:23]
	v_cvt_f32_i32_e32 v1, v3
	v_add_u32_e32 v4, 2, v94
	v_mov_b32_e32 v5, v95
	v_lshl_add_u64 v[4:5], v[4:5], 1, s[14:15]
	v_add_f32_e32 v1, v2, v1
	global_store_short_d16_hi v[4:5], v0, off
	s_waitcnt vmcnt(15)
	v_lshlrev_b32_e32 v0, 16, v11
	v_add_f32_e32 v1, v1, v0
	v_and_b32_e32 v0, 0x7f800000, v1
	v_cmp_ne_u32_e32 vcc, s31, v0
                                        ; implicit-def: $vgpr0
	s_and_saveexec_b64 s[22:23], vcc
	s_xor_b64 s[22:23], exec, s[22:23]
; %bb.77:                               ;   in Loop: Header=BB272_8 Depth=1
	v_bfe_u32 v0, v1, 16, 1
	v_add3_u32 v0, v1, v0, s33
                                        ; implicit-def: $vgpr1
; %bb.78:                               ;   in Loop: Header=BB272_8 Depth=1
	s_andn2_saveexec_b64 s[22:23], s[22:23]
	s_cbranch_execz .LBB272_6
; %bb.79:                               ;   in Loop: Header=BB272_8 Depth=1
	v_or_b32_e32 v0, 0x10000, v1
	v_cmp_eq_u32_sdwa vcc, v1, v95 src0_sel:WORD_0 src1_sel:DWORD
	s_nop 1
	v_cndmask_b32_e32 v0, v0, v1, vcc
	s_branch .LBB272_6
.LBB272_80:
	s_endpgm
	.section	.rodata,"a",@progbits
	.p2align	6, 0x0
	.amdhsa_kernel _Z16wvSplitK_hf_sml_I14__hip_bfloat16Li64ELi4ELi16ELi8ELi1ELi4EEviiiiiiPKT_S3_S3_PS1_ii
		.amdhsa_group_segment_fixed_size 65536
		.amdhsa_private_segment_fixed_size 0
		.amdhsa_kernarg_size 64
		.amdhsa_user_sgpr_count 2
		.amdhsa_user_sgpr_dispatch_ptr 0
		.amdhsa_user_sgpr_queue_ptr 0
		.amdhsa_user_sgpr_kernarg_segment_ptr 1
		.amdhsa_user_sgpr_dispatch_id 0
		.amdhsa_user_sgpr_kernarg_preload_length 0
		.amdhsa_user_sgpr_kernarg_preload_offset 0
		.amdhsa_user_sgpr_private_segment_size 0
		.amdhsa_uses_dynamic_stack 0
		.amdhsa_enable_private_segment 0
		.amdhsa_system_sgpr_workgroup_id_x 1
		.amdhsa_system_sgpr_workgroup_id_y 0
		.amdhsa_system_sgpr_workgroup_id_z 0
		.amdhsa_system_sgpr_workgroup_info 0
		.amdhsa_system_vgpr_workitem_id 1
		.amdhsa_next_free_vgpr 111
		.amdhsa_next_free_sgpr 34
		.amdhsa_accum_offset 112
		.amdhsa_reserve_vcc 1
		.amdhsa_float_round_mode_32 0
		.amdhsa_float_round_mode_16_64 0
		.amdhsa_float_denorm_mode_32 3
		.amdhsa_float_denorm_mode_16_64 3
		.amdhsa_dx10_clamp 1
		.amdhsa_ieee_mode 1
		.amdhsa_fp16_overflow 0
		.amdhsa_tg_split 0
		.amdhsa_exception_fp_ieee_invalid_op 0
		.amdhsa_exception_fp_denorm_src 0
		.amdhsa_exception_fp_ieee_div_zero 0
		.amdhsa_exception_fp_ieee_overflow 0
		.amdhsa_exception_fp_ieee_underflow 0
		.amdhsa_exception_fp_ieee_inexact 0
		.amdhsa_exception_int_div_zero 0
	.end_amdhsa_kernel
	.section	.text._Z16wvSplitK_hf_sml_I14__hip_bfloat16Li64ELi4ELi16ELi8ELi1ELi4EEviiiiiiPKT_S3_S3_PS1_ii,"axG",@progbits,_Z16wvSplitK_hf_sml_I14__hip_bfloat16Li64ELi4ELi16ELi8ELi1ELi4EEviiiiiiPKT_S3_S3_PS1_ii,comdat
.Lfunc_end272:
	.size	_Z16wvSplitK_hf_sml_I14__hip_bfloat16Li64ELi4ELi16ELi8ELi1ELi4EEviiiiiiPKT_S3_S3_PS1_ii, .Lfunc_end272-_Z16wvSplitK_hf_sml_I14__hip_bfloat16Li64ELi4ELi16ELi8ELi1ELi4EEviiiiiiPKT_S3_S3_PS1_ii
                                        ; -- End function
	.section	.AMDGPU.csdata,"",@progbits
; Kernel info:
; codeLenInByte = 5992
; NumSgprs: 40
; NumVgprs: 111
; NumAgprs: 0
; TotalNumVgprs: 111
; ScratchSize: 0
; MemoryBound: 0
; FloatMode: 240
; IeeeMode: 1
; LDSByteSize: 65536 bytes/workgroup (compile time only)
; SGPRBlocks: 4
; VGPRBlocks: 13
; NumSGPRsForWavesPerEU: 40
; NumVGPRsForWavesPerEU: 111
; AccumOffset: 112
; Occupancy: 4
; WaveLimiterHint : 0
; COMPUTE_PGM_RSRC2:SCRATCH_EN: 0
; COMPUTE_PGM_RSRC2:USER_SGPR: 2
; COMPUTE_PGM_RSRC2:TRAP_HANDLER: 0
; COMPUTE_PGM_RSRC2:TGID_X_EN: 1
; COMPUTE_PGM_RSRC2:TGID_Y_EN: 0
; COMPUTE_PGM_RSRC2:TGID_Z_EN: 0
; COMPUTE_PGM_RSRC2:TIDIG_COMP_CNT: 1
; COMPUTE_PGM_RSRC3_GFX90A:ACCUM_OFFSET: 27
; COMPUTE_PGM_RSRC3_GFX90A:TG_SPLIT: 0
	.section	.text._Z12wvSplitK_hf_I14__hip_bfloat16Li64ELi4ELi16ELi8ELi1ELi4EEviiiiiiPKT_S3_S3_PS1_ii,"axG",@progbits,_Z12wvSplitK_hf_I14__hip_bfloat16Li64ELi4ELi16ELi8ELi1ELi4EEviiiiiiPKT_S3_S3_PS1_ii,comdat
	.protected	_Z12wvSplitK_hf_I14__hip_bfloat16Li64ELi4ELi16ELi8ELi1ELi4EEviiiiiiPKT_S3_S3_PS1_ii ; -- Begin function _Z12wvSplitK_hf_I14__hip_bfloat16Li64ELi4ELi16ELi8ELi1ELi4EEviiiiiiPKT_S3_S3_PS1_ii
	.globl	_Z12wvSplitK_hf_I14__hip_bfloat16Li64ELi4ELi16ELi8ELi1ELi4EEviiiiiiPKT_S3_S3_PS1_ii
	.p2align	8
	.type	_Z12wvSplitK_hf_I14__hip_bfloat16Li64ELi4ELi16ELi8ELi1ELi4EEviiiiiiPKT_S3_S3_PS1_ii,@function
_Z12wvSplitK_hf_I14__hip_bfloat16Li64ELi4ELi16ELi8ELi1ELi4EEviiiiiiPKT_S3_S3_PS1_ii: ; @_Z12wvSplitK_hf_I14__hip_bfloat16Li64ELi4ELi16ELi8ELi1ELi4EEviiiiiiPKT_S3_S3_PS1_ii
; %bb.0:
	s_load_dwordx2 s[8:9], s[0:1], 0x38
	s_load_dwordx4 s[12:15], s[0:1], 0x0
	s_load_dwordx2 s[20:21], s[0:1], 0x10
	v_bfe_u32 v1, v0, 10, 10
	s_mov_b32 s4, 1
	s_waitcnt lgkmcnt(0)
	s_mul_i32 s2, s2, s8
	v_add_lshl_u32 v102, s2, v1, 2
	v_add_u32_e32 v2, 4, v102
	s_mov_b32 s5, s4
	v_cmp_gt_u32_e32 vcc, s15, v102
	v_cmp_le_u32_e64 s[2:3], s15, v2
	s_mov_b32 s6, s4
	s_mov_b32 s7, s4
	v_mov_b64_e32 v[2:3], s[4:5]
	s_and_b64 s[10:11], vcc, s[2:3]
	v_mov_b64_e32 v[4:5], s[6:7]
	s_and_saveexec_b64 s[2:3], s[10:11]
	s_cbranch_execz .LBB273_6
; %bb.1:
	s_add_i32 s22, s15, -4
	v_mov_b64_e32 v[2:3], s[4:5]
	v_cmp_ne_u32_e32 vcc, s22, v102
	v_mov_b64_e32 v[4:5], s[6:7]
	s_and_saveexec_b64 s[10:11], vcc
	s_cbranch_execz .LBB273_5
; %bb.2:
	v_subrev_u32_e32 v2, s22, v102
	v_cmp_lt_u32_e32 vcc, 1, v2
	s_mov_b64 s[16:17], 0
	s_mov_b64 s[18:19], 0
	v_cndmask_b32_e32 v6, 1, v2, vcc
	s_mov_b32 s5, s4
	s_mov_b32 s6, s4
	;; [unrolled: 1-line block ×3, first 2 shown]
.LBB273_3:                              ; =>This Inner Loop Header: Depth=1
	s_cmp_lg_u32 s18, 3
	s_cselect_b32 s7, s7, 0
	s_cmp_lg_u32 s18, 2
	s_cselect_b32 s6, s6, 0
	;; [unrolled: 2-line block ×4, first 2 shown]
	s_add_u32 s18, s18, 1
	s_addc_u32 s19, s19, 0
	v_cmp_eq_u32_e32 vcc, s18, v6
	v_mov_b64_e32 v[2:3], s[4:5]
	s_or_b64 s[16:17], vcc, s[16:17]
	v_mov_b64_e32 v[4:5], s[6:7]
	s_andn2_b64 exec, exec, s[16:17]
	s_cbranch_execnz .LBB273_3
; %bb.4:
	s_or_b64 exec, exec, s[16:17]
	v_mov_b32_e32 v102, s22
.LBB273_5:
	s_or_b64 exec, exec, s[10:11]
.LBB273_6:
	s_or_b64 exec, exec, s[2:3]
	s_load_dwordx4 s[16:19], s[0:1], 0x20
	v_and_b32_e32 v8, 0x3ff, v0
	v_lshlrev_b32_e32 v0, 3, v8
	s_lshl_b32 s33, s14, 2
	v_lshl_add_u32 v9, v1, 9, v0
	s_min_u32 s10, s33, 0x8000
	v_cmp_gt_u32_e32 vcc, s10, v9
	s_and_saveexec_b64 s[2:3], vcc
	s_cbranch_execz .LBB273_9
; %bb.7:
	v_mov_b32_e32 v11, 0
	v_lshlrev_b32_e32 v10, 10, v1
	v_lshlrev_b32_e32 v12, 4, v8
	v_mov_b32_e32 v13, v11
	v_lshl_add_u64 v[6:7], v[10:11], 0, v[12:13]
	s_waitcnt lgkmcnt(0)
	v_lshl_add_u64 v[6:7], s[16:17], 0, v[6:7]
	v_add_u32_e32 v10, v10, v12
	s_mov_b64 s[4:5], 0
	s_mov_b64 s[6:7], 0x4000
.LBB273_8:                              ; =>This Inner Loop Header: Depth=1
	global_load_dwordx4 v[12:15], v[6:7], off
	v_add_u32_e32 v9, 0x2000, v9
	v_cmp_le_u32_e32 vcc, s10, v9
	v_lshl_add_u64 v[6:7], v[6:7], 0, s[6:7]
	s_or_b64 s[4:5], vcc, s[4:5]
	s_waitcnt vmcnt(0)
	ds_write_b128 v10, v[12:15]
	v_add_u32_e32 v10, 0x4000, v10
	s_andn2_b64 exec, exec, s[4:5]
	s_cbranch_execnz .LBB273_8
.LBB273_9:
	s_or_b64 exec, exec, s[2:3]
	v_cmp_gt_u32_e32 vcc, s8, v1
	v_cmp_gt_u32_e64 s[2:3], s15, v102
	s_and_b64 s[2:3], vcc, s[2:3]
	s_waitcnt lgkmcnt(0)
	s_barrier
	s_and_saveexec_b64 s[4:5], s[2:3]
	s_cbranch_execz .LBB273_138
; %bb.10:
	s_cmp_lg_u32 s12, 0
	s_cselect_b64 s[2:3], -1, 0
	s_add_i32 s38, s12, -8
	s_add_i32 s39, s15, -1
	s_mul_i32 s4, s8, s9
	s_cmp_lg_u64 s[18:19], 0
	s_cselect_b64 s[28:29], -1, 0
	s_lshl_b32 s40, s4, 2
	s_abs_i32 s4, s21
	v_cvt_f32_u32_e32 v1, s20
	v_cvt_f32_u32_e32 v6, s4
	s_sub_i32 s5, 0, s20
	s_add_i32 s21, s15, -4
	v_rcp_iflag_f32_e32 v1, v1
	v_rcp_iflag_f32_e32 v6, v6
	s_load_dwordx2 s[22:23], s[0:1], 0x18
	s_load_dwordx2 s[24:25], s[0:1], 0x30
	v_cmp_eq_u32_e64 s[0:1], 63, v8
	v_mul_f32_e32 v1, 0x4f7ffffe, v1
	v_mul_f32_e32 v6, 0x4f7ffffe, v6
	v_cvt_u32_f32_e32 v1, v1
	v_cvt_u32_f32_e32 v6, v6
	s_mov_b64 s[26:27], 0
	v_mov_b32_e32 v105, 0
	v_mul_lo_u32 v7, s5, v1
	s_sub_i32 s5, 0, s4
	v_readfirstlane_b32 s6, v6
	s_mul_i32 s5, s5, s6
	s_mul_hi_u32 s5, s6, s5
	s_add_i32 s6, s6, s5
	s_sub_i32 s5, 1, s4
	s_cmp_lt_u32 s4, 2
	s_cselect_b32 s5, s5, 1
	s_sub_i32 s7, s5, s4
	s_cmp_ge_u32 s5, s4
	s_cselect_b32 s41, s7, s5
	s_lshr_b32 s5, s6, 31
	s_mul_i32 s5, s5, s4
	s_sub_i32 s5, 2, s5
	s_sub_i32 s7, s5, s4
	s_cmp_ge_u32 s5, s4
	s_cselect_b32 s5, s7, s5
	s_sub_i32 s7, s5, s4
	s_cmp_ge_u32 s5, s4
	s_cselect_b32 s42, s7, s5
	s_mul_hi_u32 s5, s6, 3
	s_mul_i32 s5, s5, s4
	s_sub_i32 s5, 3, s5
	s_sub_i32 s6, s5, s4
	s_cmp_ge_u32 s5, s4
	s_cselect_b32 s5, s6, s5
	v_mul_hi_u32 v7, v1, v7
	s_sub_i32 s6, s5, s4
	v_add_u32_e32 v1, v1, v7
	s_cmp_ge_u32 s5, s4
	s_cselect_b32 s43, s6, s5
	s_lshl_b32 s44, s14, 1
	v_mad_u64_u32 v[106:107], s[4:5], s14, 3, v[0:1]
	v_cndmask_b32_e64 v6, 0, 1, s[2:3]
	s_mul_i32 s41, s41, s20
	s_mul_i32 s42, s42, s20
	;; [unrolled: 1-line block ×3, first 2 shown]
	v_lshlrev_b32_e32 v124, 4, v8
	v_add_u32_e32 v125, s44, v0
	s_mul_i32 s45, s14, 6
	v_add_u32_e32 v107, s14, v0
	v_cmp_ne_u32_e64 s[2:3], 1, v6
	s_movk_i32 s14, 0x7fff
	s_mov_b32 s46, 0x7f800000
	s_branch .LBB273_13
.LBB273_11:                             ;   in Loop: Header=BB273_13 Depth=1
	s_or_b64 exec, exec, s[8:9]
	v_mov_b32_e32 v102, s21
.LBB273_12:                             ;   in Loop: Header=BB273_13 Depth=1
	s_or_b64 exec, exec, s[6:7]
	v_cmp_le_u32_e32 vcc, s15, v102
	s_or_b64 s[26:27], vcc, s[26:27]
	s_andn2_b64 exec, exec, s[26:27]
	s_cbranch_execz .LBB273_138
.LBB273_13:                             ; =>This Loop Header: Depth=1
                                        ;     Child Loop BB273_17 Depth 2
                                        ;     Child Loop BB273_136 Depth 2
	s_and_b64 vcc, exec, s[2:3]
	v_add_u32_e32 v112, 1, v102
	v_add_u32_e32 v110, 2, v102
	;; [unrolled: 1-line block ×3, first 2 shown]
	s_waitcnt vmcnt(2)
	v_mov_b32_e32 v17, v105
	s_waitcnt vmcnt(1)
	v_mov_b32_e32 v16, v105
	;; [unrolled: 2-line block ×3, first 2 shown]
	v_mov_b32_e32 v14, v105
	v_mov_b32_e32 v9, v105
	;; [unrolled: 1-line block ×61, first 2 shown]
	s_cbranch_vccnz .LBB273_34
; %bb.14:                               ;   in Loop: Header=BB273_13 Depth=1
	v_min_u32_e32 v6, s39, v102
	v_mul_lo_u32 v114, v6, s13
	v_min_u32_e32 v6, s39, v112
	v_mul_lo_u32 v116, v6, s13
	v_min_u32_e32 v6, s39, v110
	v_mul_lo_u32 v118, v6, s13
	v_min_u32_e32 v6, s39, v108
	v_mov_b32_e32 v22, 0
	v_mov_b32_e32 v115, v105
	;; [unrolled: 1-line block ×4, first 2 shown]
	v_mul_lo_u32 v120, v6, s13
	v_mov_b32_e32 v121, v105
	s_mov_b32 s4, 0
	v_mov_b32_e32 v103, v124
	s_mov_b32 s10, 0
	v_mov_b32_e32 v23, v22
	v_mov_b32_e32 v24, v22
	;; [unrolled: 1-line block ×63, first 2 shown]
	s_branch .LBB273_17
.LBB273_15:                             ;   in Loop: Header=BB273_17 Depth=2
	s_or_b64 exec, exec, s[8:9]
.LBB273_16:                             ;   in Loop: Header=BB273_17 Depth=2
	s_or_b64 exec, exec, s[6:7]
	s_waitcnt vmcnt(0) lgkmcnt(0)
	v_mfma_f32_4x4x4_16b_bf16 v[66:69], v[86:87], v[78:79], v[66:69]
	s_addk_i32 s10, 0x200
	v_mfma_f32_4x4x4_16b_bf16 v[62:65], v[86:87], v[74:75], v[62:65]
	v_add_u32_e32 v103, 0x400, v103
	v_mfma_f32_4x4x4_16b_bf16 v[58:61], v[86:87], v[82:83], v[58:61]
	s_cmp_ge_u32 s10, s12
	v_mfma_f32_4x4x4_16b_bf16 v[54:57], v[86:87], v[70:71], v[54:57]
	v_mfma_f32_4x4x4_16b_bf16 v[50:53], v[90:91], v[78:79], v[50:53]
	;; [unrolled: 1-line block ×29, first 2 shown]
	s_cbranch_scc1 .LBB273_34
.LBB273_17:                             ;   Parent Loop BB273_13 Depth=1
                                        ; =>  This Inner Loop Header: Depth=2
	v_add_u32_e32 v122, s10, v0
	v_min_u32_e32 v104, s38, v122
	s_waitcnt lgkmcnt(0)
	v_lshl_add_u64 v[70:71], v[104:105], 1, s[22:23]
	v_lshl_add_u64 v[72:73], v[114:115], 1, v[70:71]
	;; [unrolled: 1-line block ×3, first 2 shown]
	global_load_dwordx4 v[78:81], v[72:73], off nt
	s_nop 0
	global_load_dwordx4 v[74:77], v[74:75], off nt
	v_lshl_add_u64 v[72:73], v[118:119], 1, v[70:71]
	v_lshl_add_u64 v[70:71], v[120:121], 1, v[70:71]
	global_load_dwordx4 v[82:85], v[72:73], off nt
	s_nop 0
	global_load_dwordx4 v[70:73], v[70:71], off nt
	s_mov_b32 s5, s4
	v_cmp_gt_u32_e32 vcc, s12, v122
	v_mov_b64_e32 v[86:87], s[4:5]
	v_mov_b32_e32 v95, 0
	v_mov_b32_e32 v94, 0
	;; [unrolled: 1-line block ×4, first 2 shown]
	v_mov_b64_e32 v[88:89], s[4:5]
	v_mov_b64_e32 v[90:91], s[4:5]
	;; [unrolled: 1-line block ×5, first 2 shown]
	s_and_saveexec_b64 s[6:7], vcc
	s_cbranch_execz .LBB273_16
; %bb.18:                               ;   in Loop: Header=BB273_17 Depth=2
	v_cmp_lt_u32_e32 vcc, s14, v122
                                        ; implicit-def: $vgpr86_vgpr87
	s_and_saveexec_b64 s[8:9], vcc
	s_xor_b64 s[8:9], exec, s[8:9]
	s_cbranch_execz .LBB273_20
; %bb.19:                               ;   in Loop: Header=BB273_17 Depth=2
	v_mov_b32_e32 v123, v105
	v_lshl_add_u64 v[86:87], v[122:123], 1, s[16:17]
	global_load_dwordx4 v[86:89], v[86:87], off
.LBB273_20:                             ;   in Loop: Header=BB273_17 Depth=2
	s_andn2_saveexec_b64 s[8:9], s[8:9]
	s_cbranch_execz .LBB273_22
; %bb.21:                               ;   in Loop: Header=BB273_17 Depth=2
	s_waitcnt vmcnt(0)
	ds_read_b128 v[86:89], v103
.LBB273_22:                             ;   in Loop: Header=BB273_17 Depth=2
	s_or_b64 exec, exec, s[8:9]
	v_add_u32_e32 v104, s10, v107
	v_cmp_lt_u32_e32 vcc, s14, v104
                                        ; implicit-def: $vgpr90_vgpr91
	s_and_saveexec_b64 s[8:9], vcc
	s_xor_b64 s[8:9], exec, s[8:9]
	s_cbranch_execz .LBB273_24
; %bb.23:                               ;   in Loop: Header=BB273_17 Depth=2
	v_lshl_add_u64 v[90:91], v[104:105], 1, s[16:17]
	global_load_dwordx4 v[90:93], v[90:91], off
.LBB273_24:                             ;   in Loop: Header=BB273_17 Depth=2
	s_andn2_saveexec_b64 s[8:9], s[8:9]
	s_cbranch_execz .LBB273_26
; %bb.25:                               ;   in Loop: Header=BB273_17 Depth=2
	s_waitcnt vmcnt(0)
	v_add_u32_e32 v90, s44, v103
	ds_read_b128 v[90:93], v90
.LBB273_26:                             ;   in Loop: Header=BB273_17 Depth=2
	s_or_b64 exec, exec, s[8:9]
	v_add_u32_e32 v104, s10, v125
	v_cmp_lt_u32_e32 vcc, s14, v104
                                        ; implicit-def: $vgpr98_vgpr99
	s_and_saveexec_b64 s[8:9], vcc
	s_xor_b64 s[8:9], exec, s[8:9]
	s_cbranch_execz .LBB273_28
; %bb.27:                               ;   in Loop: Header=BB273_17 Depth=2
	v_lshl_add_u64 v[94:95], v[104:105], 1, s[16:17]
	global_load_dwordx4 v[98:101], v[94:95], off
.LBB273_28:                             ;   in Loop: Header=BB273_17 Depth=2
	s_andn2_saveexec_b64 s[8:9], s[8:9]
	s_cbranch_execz .LBB273_30
; %bb.29:                               ;   in Loop: Header=BB273_17 Depth=2
	v_add_u32_e32 v94, s33, v103
	s_waitcnt vmcnt(0)
	ds_read2_b32 v[98:99], v94 offset1:1
	ds_read2_b32 v[100:101], v94 offset0:2 offset1:3
.LBB273_30:                             ;   in Loop: Header=BB273_17 Depth=2
	s_or_b64 exec, exec, s[8:9]
	v_add_u32_e32 v104, s10, v106
	v_cmp_lt_u32_e32 vcc, s14, v104
                                        ; implicit-def: $vgpr95
	s_and_saveexec_b64 s[8:9], vcc
	s_xor_b64 s[8:9], exec, s[8:9]
	s_cbranch_execz .LBB273_32
; %bb.31:                               ;   in Loop: Header=BB273_17 Depth=2
	v_lshl_add_u64 v[94:95], v[104:105], 1, s[16:17]
	global_load_dwordx4 v[94:97], v[94:95], off
.LBB273_32:                             ;   in Loop: Header=BB273_17 Depth=2
	s_andn2_saveexec_b64 s[8:9], s[8:9]
	s_cbranch_execz .LBB273_15
; %bb.33:                               ;   in Loop: Header=BB273_17 Depth=2
	s_waitcnt vmcnt(0)
	v_add_u32_e32 v94, s45, v103
	ds_read_b128 v[94:97], v94
	s_branch .LBB273_15
.LBB273_34:                             ;   in Loop: Header=BB273_13 Depth=1
	v_cvt_i32_f32_e32 v63, v63
	v_cvt_i32_f32_e32 v64, v64
	;; [unrolled: 1-line block ×4, first 2 shown]
	v_cvt_f32_i32_dpp v63, v63 row_shl:1 row_mask:0xf bank_mask:0xf bound_ctrl:1
	v_cvt_f32_i32_dpp v64, v64 row_shl:2 row_mask:0xf bank_mask:0xf bound_ctrl:1
	;; [unrolled: 1-line block ×3, first 2 shown]
	v_cvt_i32_f32_e32 v68, v68
	v_add_f32_e32 v62, v62, v63
	v_add_f32_e32 v62, v62, v64
	;; [unrolled: 1-line block ×3, first 2 shown]
	v_cvt_i32_f32_e32 v63, v62
	v_cvt_i32_f32_e32 v69, v69
	v_cvt_f32_i32_dpp v67, v67 row_shl:1 row_mask:0xf bank_mask:0xf bound_ctrl:1
	v_cvt_f32_i32_dpp v68, v68 row_shl:2 row_mask:0xf bank_mask:0xf bound_ctrl:1
	;; [unrolled: 1-line block ×4, first 2 shown]
	v_add_f32_e32 v66, v66, v67
	v_add_f32_e32 v66, v66, v68
	;; [unrolled: 1-line block ×3, first 2 shown]
	v_cvt_i32_f32_e32 v63, v62
	v_add_f32_e32 v66, v66, v69
	v_cvt_i32_f32_e32 v59, v59
	v_cvt_i32_f32_e32 v67, v66
	v_cvt_f32_i32_dpp v63, v63 row_shl:8 row_mask:0xf bank_mask:0xf bound_ctrl:1
	v_cvt_i32_f32_e32 v60, v60
	v_cvt_i32_f32_e32 v61, v61
	v_cvt_f32_i32_dpp v59, v59 row_shl:1 row_mask:0xf bank_mask:0xf bound_ctrl:1
	v_cvt_f32_i32_dpp v67, v67 row_shl:4 row_mask:0xf bank_mask:0xf bound_ctrl:1
	v_add_f32_e32 v62, v62, v63
	v_cvt_f32_i32_dpp v60, v60 row_shl:2 row_mask:0xf bank_mask:0xf bound_ctrl:1
	v_cvt_f32_i32_dpp v61, v61 row_shl:3 row_mask:0xf bank_mask:0xf bound_ctrl:1
	v_cvt_i32_f32_e32 v62, v62
	v_cvt_i32_f32_e32 v55, v55
	v_add_f32_e32 v58, v58, v59
	v_cvt_i32_f32_e32 v56, v56
	v_add_f32_e32 v64, v66, v67
	v_add_f32_e32 v58, v58, v60
	v_cvt_i32_f32_e32 v57, v57
	v_cvt_i32_f32_e32 v65, v64
	v_add_f32_e32 v58, v58, v61
	v_cvt_f32_i32_dpp v61, v62 row_shr:15 row_mask:0xf bank_mask:0xf bound_ctrl:1
	v_cvt_f32_i32_dpp v55, v55 row_shl:1 row_mask:0xf bank_mask:0xf bound_ctrl:1
	v_cvt_f32_i32_dpp v56, v56 row_shl:2 row_mask:0xf bank_mask:0xf bound_ctrl:1
	;; [unrolled: 1-line block ×4, first 2 shown]
	v_cvt_i32_f32_e32 v59, v58
	v_cvt_i32_f32_e32 v62, v61
	v_add_f32_e32 v54, v54, v55
	v_add_f32_e32 v54, v54, v56
	;; [unrolled: 1-line block ×4, first 2 shown]
	v_cvt_f32_i32_dpp v59, v59 row_shl:4 row_mask:0xf bank_mask:0xf bound_ctrl:1
	v_cvt_f32_i32_dpp v62, v62 row_bcast:15 row_mask:0xf bank_mask:0xf bound_ctrl:1
	v_cvt_i32_f32_e32 v55, v57
	v_cvt_i32_f32_e32 v64, v64
	;; [unrolled: 1-line block ×4, first 2 shown]
	v_add_f32_e32 v59, v58, v59
	v_add_f32_e32 v54, v61, v62
	v_cvt_f32_i32_dpp v62, v55 row_shl:4 row_mask:0xf bank_mask:0xf bound_ctrl:1
	v_cvt_i32_f32_e32 v53, v53
	v_cvt_f32_i32_dpp v64, v64 row_shr:15 row_mask:0xf bank_mask:0xf bound_ctrl:1
	v_cvt_i32_f32_e32 v63, v59
	v_cvt_i32_f32_e32 v61, v54
	v_cvt_f32_i32_dpp v51, v51 row_shl:1 row_mask:0xf bank_mask:0xf bound_ctrl:1
	v_cvt_f32_i32_dpp v52, v52 row_shl:2 row_mask:0xf bank_mask:0xf bound_ctrl:1
	v_add_f32_e32 v57, v57, v62
	v_cvt_f32_i32_dpp v53, v53 row_shl:3 row_mask:0xf bank_mask:0xf bound_ctrl:1
	v_cvt_i32_f32_e32 v60, v64
	v_cvt_f32_i32_dpp v63, v63 row_shl:8 row_mask:0xf bank_mask:0xf bound_ctrl:1
	v_mov_b32_dpp v55, v61 row_bcast:31 row_mask:0xf bank_mask:0xf bound_ctrl:1
	v_cvt_i32_f32_e32 v61, v57
	v_add_f32_e32 v50, v50, v51
	v_add_f32_e32 v50, v50, v52
	;; [unrolled: 1-line block ×3, first 2 shown]
	v_cvt_f32_i32_dpp v60, v60 row_bcast:15 row_mask:0xf bank_mask:0xf bound_ctrl:1
	v_add_f32_e32 v59, v59, v63
	v_cvt_f32_i32_dpp v61, v61 row_shl:8 row_mask:0xf bank_mask:0xf bound_ctrl:1
	v_cvt_i32_f32_e32 v50, v51
	v_cvt_i32_f32_e32 v59, v59
	;; [unrolled: 1-line block ×4, first 2 shown]
	v_add_f32_e32 v58, v64, v60
	v_add_f32_e32 v53, v57, v61
	v_cvt_f32_i32_dpp v57, v50 row_shl:4 row_mask:0xf bank_mask:0xf bound_ctrl:1
	v_cvt_i32_f32_e32 v49, v49
	v_cvt_i32_f32_e32 v60, v58
	v_cvt_f32_i32_dpp v59, v59 row_shr:15 row_mask:0xf bank_mask:0xf bound_ctrl:1
	v_cvt_f32_i32_dpp v47, v47 row_shl:1 row_mask:0xf bank_mask:0xf bound_ctrl:1
	v_cvt_f32_i32_dpp v48, v48 row_shl:2 row_mask:0xf bank_mask:0xf bound_ctrl:1
	v_add_f32_e32 v51, v51, v57
	v_cvt_f32_i32_dpp v49, v49 row_shl:3 row_mask:0xf bank_mask:0xf bound_ctrl:1
	v_mov_b32_dpp v56, v60 row_bcast:31 row_mask:0xf bank_mask:0xf bound_ctrl:1
	v_cvt_i32_f32_e32 v60, v59
	v_cvt_i32_f32_e32 v57, v51
	v_add_f32_e32 v46, v46, v47
	v_add_f32_e32 v46, v46, v48
	;; [unrolled: 1-line block ×3, first 2 shown]
	v_cvt_f32_i32_dpp v52, v60 row_bcast:15 row_mask:0xf bank_mask:0xf bound_ctrl:1
	v_cvt_f32_i32_dpp v57, v57 row_shl:8 row_mask:0xf bank_mask:0xf bound_ctrl:1
	v_cvt_i32_f32_e32 v47, v46
	v_cvt_i32_f32_e32 v53, v53
	v_add_f32_e32 v50, v59, v52
	v_add_f32_e32 v49, v51, v57
	v_cvt_f32_i32_dpp v51, v47 row_shl:4 row_mask:0xf bank_mask:0xf bound_ctrl:1
	v_cvt_i32_f32_e32 v52, v50
	v_cvt_f32_i32_dpp v53, v53 row_shr:15 row_mask:0xf bank_mask:0xf bound_ctrl:1
	v_cvt_i32_f32_e32 v43, v43
	v_add_f32_e32 v51, v46, v51
	v_cvt_i32_f32_e32 v44, v44
	v_cvt_i32_f32_e32 v48, v53
	v_mov_b32_dpp v47, v52 row_bcast:31 row_mask:0xf bank_mask:0xf bound_ctrl:1
	v_cvt_i32_f32_e32 v52, v51
	v_cvt_i32_f32_e32 v45, v45
	v_cvt_f32_i32_dpp v43, v43 row_shl:1 row_mask:0xf bank_mask:0xf bound_ctrl:1
	v_cvt_f32_i32_dpp v44, v44 row_shl:2 row_mask:0xf bank_mask:0xf bound_ctrl:1
	v_cvt_f32_i32_dpp v48, v48 row_bcast:15 row_mask:0xf bank_mask:0xf bound_ctrl:1
	v_cvt_f32_i32_dpp v52, v52 row_shl:8 row_mask:0xf bank_mask:0xf bound_ctrl:1
	v_cvt_f32_i32_dpp v45, v45 row_shl:3 row_mask:0xf bank_mask:0xf bound_ctrl:1
	v_cvt_i32_f32_e32 v49, v49
	v_add_f32_e32 v42, v42, v43
	v_add_f32_e32 v42, v42, v44
	;; [unrolled: 1-line block ×5, first 2 shown]
	v_cvt_i32_f32_e32 v48, v46
	v_cvt_i32_f32_e32 v51, v51
	;; [unrolled: 1-line block ×3, first 2 shown]
	v_cvt_f32_i32_dpp v49, v49 row_shr:15 row_mask:0xf bank_mask:0xf bound_ctrl:1
	v_cvt_i32_f32_e32 v39, v39
	v_cvt_i32_f32_e32 v40, v40
	v_mov_b32_dpp v43, v48 row_bcast:31 row_mask:0xf bank_mask:0xf bound_ctrl:1
	v_cvt_f32_i32_dpp v48, v51 row_shr:15 row_mask:0xf bank_mask:0xf bound_ctrl:1
	v_cvt_f32_i32_dpp v51, v42 row_shl:4 row_mask:0xf bank_mask:0xf bound_ctrl:1
	v_cvt_i32_f32_e32 v41, v41
	v_cvt_i32_f32_e32 v53, v49
	v_cvt_f32_i32_dpp v39, v39 row_shl:1 row_mask:0xf bank_mask:0xf bound_ctrl:1
	v_cvt_f32_i32_dpp v40, v40 row_shl:2 row_mask:0xf bank_mask:0xf bound_ctrl:1
	v_add_f32_e32 v44, v44, v51
	v_cvt_f32_i32_dpp v41, v41 row_shl:3 row_mask:0xf bank_mask:0xf bound_ctrl:1
	v_cvt_f32_i32_dpp v45, v53 row_bcast:15 row_mask:0xf bank_mask:0xf bound_ctrl:1
	v_cvt_i32_f32_e32 v51, v44
	v_add_f32_e32 v38, v38, v39
	v_add_f32_e32 v38, v38, v40
	;; [unrolled: 1-line block ×3, first 2 shown]
	v_cvt_i32_f32_e32 v35, v35
	v_add_f32_e32 v42, v49, v45
	v_cvt_i32_f32_e32 v49, v48
	v_cvt_f32_i32_dpp v51, v51 row_shl:8 row_mask:0xf bank_mask:0xf bound_ctrl:1
	v_cvt_i32_f32_e32 v38, v40
	v_cvt_i32_f32_e32 v36, v36
	;; [unrolled: 1-line block ×3, first 2 shown]
	v_cvt_f32_i32_dpp v35, v35 row_shl:1 row_mask:0xf bank_mask:0xf bound_ctrl:1
	v_cvt_f32_i32_dpp v41, v49 row_bcast:15 row_mask:0xf bank_mask:0xf bound_ctrl:1
	v_add_f32_e32 v39, v44, v51
	v_cvt_f32_i32_dpp v49, v38 row_shl:4 row_mask:0xf bank_mask:0xf bound_ctrl:1
	v_cvt_f32_i32_dpp v36, v36 row_shl:2 row_mask:0xf bank_mask:0xf bound_ctrl:1
	v_cvt_i32_f32_e32 v44, v39
	v_cvt_f32_i32_dpp v37, v37 row_shl:3 row_mask:0xf bank_mask:0xf bound_ctrl:1
	v_add_f32_e32 v34, v34, v35
	v_add_f32_e32 v40, v40, v49
	;; [unrolled: 1-line block ×4, first 2 shown]
	v_cvt_f32_i32_dpp v41, v44 row_shr:15 row_mask:0xf bank_mask:0xf bound_ctrl:1
	v_cvt_i32_f32_e32 v44, v40
	v_add_f32_e32 v34, v34, v37
	v_cvt_i32_f32_e32 v35, v34
	v_cvt_i32_f32_e32 v36, v41
	v_cvt_f32_i32_dpp v44, v44 row_shl:8 row_mask:0xf bank_mask:0xf bound_ctrl:1
	v_cvt_i32_f32_e32 v31, v31
	v_cvt_f32_i32_dpp v35, v35 row_shl:4 row_mask:0xf bank_mask:0xf bound_ctrl:1
	v_cvt_i32_f32_e32 v32, v32
	v_add_f32_e32 v37, v40, v44
	v_cvt_i32_f32_e32 v37, v37
	v_cvt_f32_i32_dpp v36, v36 row_bcast:15 row_mask:0xf bank_mask:0xf bound_ctrl:1
	v_add_f32_e32 v44, v34, v35
	v_cvt_i32_f32_e32 v33, v33
	v_cvt_i32_f32_e32 v35, v44
	v_cvt_f32_i32_dpp v31, v31 row_shl:1 row_mask:0xf bank_mask:0xf bound_ctrl:1
	v_cvt_f32_i32_dpp v32, v32 row_shl:2 row_mask:0xf bank_mask:0xf bound_ctrl:1
	v_cvt_i32_f32_e32 v45, v42
	v_cvt_f32_i32_dpp v37, v37 row_shr:15 row_mask:0xf bank_mask:0xf bound_ctrl:1
	v_add_f32_e32 v34, v41, v36
	v_cvt_f32_i32_dpp v33, v33 row_shl:3 row_mask:0xf bank_mask:0xf bound_ctrl:1
	v_cvt_i32_f32_e32 v41, v34
	v_cvt_f32_i32_dpp v48, v35 row_shl:8 row_mask:0xf bank_mask:0xf bound_ctrl:1
	v_add_f32_e32 v30, v30, v31
	v_cvt_i32_f32_e32 v27, v27
	v_add_f32_e32 v30, v30, v32
	v_cvt_i32_f32_e32 v28, v28
	v_mov_b32_dpp v39, v45 row_bcast:31 row_mask:0xf bank_mask:0xf bound_ctrl:1
	v_cvt_i32_f32_e32 v40, v38
	v_cvt_i32_f32_e32 v45, v37
	v_add_f32_e32 v31, v30, v33
	v_cvt_i32_f32_e32 v29, v29
	v_mov_b32_dpp v35, v41 row_bcast:31 row_mask:0xf bank_mask:0xf bound_ctrl:1
	v_add_f32_e32 v41, v44, v48
	v_cvt_i32_f32_e32 v32, v31
	v_cvt_i32_f32_e32 v41, v41
	v_cvt_f32_i32_dpp v27, v27 row_shl:1 row_mask:0xf bank_mask:0xf bound_ctrl:1
	v_cvt_f32_i32_dpp v28, v28 row_shl:2 row_mask:0xf bank_mask:0xf bound_ctrl:1
	v_mov_b32_dpp v36, v40 row_bcast:31 row_mask:0xf bank_mask:0xf bound_ctrl:1
	v_cvt_f32_i32_dpp v40, v45 row_bcast:15 row_mask:0xf bank_mask:0xf bound_ctrl:1
	v_cvt_f32_i32_dpp v29, v29 row_shl:3 row_mask:0xf bank_mask:0xf bound_ctrl:1
	v_cvt_f32_i32_dpp v32, v32 row_shl:4 row_mask:0xf bank_mask:0xf bound_ctrl:1
	v_cvt_f32_i32_dpp v41, v41 row_shr:15 row_mask:0xf bank_mask:0xf bound_ctrl:1
	v_add_f32_e32 v26, v26, v27
	v_add_f32_e32 v26, v26, v28
	v_cvt_i32_f32_e32 v23, v23
	v_add_f32_e32 v30, v37, v40
	v_add_f32_e32 v28, v26, v29
	v_cvt_i32_f32_e32 v24, v24
	v_cvt_i32_f32_e32 v33, v30
	v_add_f32_e32 v31, v31, v32
	v_cvt_i32_f32_e32 v26, v28
	v_cvt_i32_f32_e32 v25, v25
	;; [unrolled: 1-line block ×4, first 2 shown]
	v_cvt_f32_i32_dpp v23, v23 row_shl:1 row_mask:0xf bank_mask:0xf bound_ctrl:1
	v_cvt_f32_i32_dpp v24, v24 row_shl:2 row_mask:0xf bank_mask:0xf bound_ctrl:1
	v_mov_b32_dpp v27, v33 row_bcast:31 row_mask:0xf bank_mask:0xf bound_ctrl:1
	v_cvt_f32_i32_dpp v33, v26 row_shl:4 row_mask:0xf bank_mask:0xf bound_ctrl:1
	v_cvt_f32_i32_dpp v25, v25 row_shl:3 row_mask:0xf bank_mask:0xf bound_ctrl:1
	v_cvt_f32_i32_dpp v29, v37 row_bcast:15 row_mask:0xf bank_mask:0xf bound_ctrl:1
	v_cvt_f32_i32_dpp v32, v32 row_shl:8 row_mask:0xf bank_mask:0xf bound_ctrl:1
	v_add_f32_e32 v22, v22, v23
	v_add_f32_e32 v22, v22, v24
	;; [unrolled: 1-line block ×6, first 2 shown]
	v_cvt_i32_f32_e32 v31, v28
	v_cvt_i32_f32_e32 v23, v22
	;; [unrolled: 1-line block ×4, first 2 shown]
	v_cvt_f32_i32_dpp v31, v31 row_shl:8 row_mask:0xf bank_mask:0xf bound_ctrl:1
	v_cvt_f32_i32_dpp v23, v23 row_shl:4 row_mask:0xf bank_mask:0xf bound_ctrl:1
	v_cvt_f32_i32_dpp v24, v29 row_shr:15 row_mask:0xf bank_mask:0xf bound_ctrl:1
	v_cvt_i32_f32_e32 v7, v7
	v_add_f32_e32 v25, v28, v31
	v_add_f32_e32 v31, v22, v23
	v_cvt_i32_f32_e32 v25, v25
	v_cvt_i32_f32_e32 v29, v24
	;; [unrolled: 1-line block ×10, first 2 shown]
	v_cvt_f32_i32_dpp v25, v25 row_shr:15 row_mask:0xf bank_mask:0xf bound_ctrl:1
	v_cvt_f32_i32_dpp v29, v29 row_bcast:15 row_mask:0xf bank_mask:0xf bound_ctrl:1
	v_cvt_f32_i32_dpp v32, v22 row_shl:8 row_mask:0xf bank_mask:0xf bound_ctrl:1
	v_cvt_f32_i32_dpp v11, v11 row_shl:1 row_mask:0xf bank_mask:0xf bound_ctrl:1
	;; [unrolled: 1-line block ×6, first 2 shown]
	v_cvt_i32_f32_e32 v9, v9
	v_cvt_f32_i32_dpp v20, v20 row_shl:2 row_mask:0xf bank_mask:0xf bound_ctrl:1
	v_cvt_f32_i32_dpp v13, v13 row_shl:3 row_mask:0xf bank_mask:0xf bound_ctrl:1
	;; [unrolled: 1-line block ×3, first 2 shown]
	v_mov_b32_dpp v23, v28 row_bcast:31 row_mask:0xf bank_mask:0xf bound_ctrl:1
	v_cvt_i32_f32_e32 v28, v25
	v_add_f32_e32 v22, v24, v29
	v_add_f32_e32 v29, v31, v32
	;; [unrolled: 1-line block ×4, first 2 shown]
	v_cvt_i32_f32_e32 v29, v29
	v_add_f32_e32 v18, v18, v19
	v_add_f32_e32 v10, v10, v12
	;; [unrolled: 1-line block ×3, first 2 shown]
	v_cvt_f32_i32_dpp v7, v9 row_shl:3 row_mask:0xf bank_mask:0xf bound_ctrl:1
	v_cvt_i32_f32_e32 v8, v15
	v_add_f32_e32 v18, v18, v20
	v_add_f32_e32 v10, v10, v13
	v_cvt_i32_f32_e32 v9, v16
	v_add_f32_e32 v20, v18, v21
	v_cvt_i32_f32_e32 v11, v10
	v_cvt_i32_f32_e32 v15, v17
	v_cvt_f32_i32_dpp v28, v28 row_bcast:15 row_mask:0xf bank_mask:0xf bound_ctrl:1
	v_cvt_i32_f32_e32 v18, v20
	v_cvt_f32_i32_dpp v29, v29 row_shr:15 row_mask:0xf bank_mask:0xf bound_ctrl:1
	v_add_f32_e32 v6, v6, v7
	v_cvt_f32_i32_dpp v7, v8 row_shl:1 row_mask:0xf bank_mask:0xf bound_ctrl:1
	v_cvt_f32_i32_dpp v8, v9 row_shl:2 row_mask:0xf bank_mask:0xf bound_ctrl:1
	;; [unrolled: 1-line block ×4, first 2 shown]
	v_add_f32_e32 v19, v25, v28
	v_cvt_f32_i32_dpp v25, v18 row_shl:4 row_mask:0xf bank_mask:0xf bound_ctrl:1
	v_cvt_i32_f32_e32 v24, v22
	v_cvt_i32_f32_e32 v31, v29
	v_add_f32_e32 v7, v14, v7
	v_add_f32_e32 v7, v7, v8
	;; [unrolled: 1-line block ×5, first 2 shown]
	v_cvt_i32_f32_e32 v11, v10
	v_cvt_i32_f32_e32 v15, v6
	;; [unrolled: 1-line block ×3, first 2 shown]
	v_mov_b32_dpp v21, v24 row_bcast:31 row_mask:0xf bank_mask:0xf bound_ctrl:1
	v_cvt_f32_i32_dpp v24, v31 row_bcast:15 row_mask:0xf bank_mask:0xf bound_ctrl:1
	v_cvt_i32_f32_e32 v20, v25
	v_cvt_f32_i32_dpp v9, v11 row_shl:8 row_mask:0xf bank_mask:0xf bound_ctrl:1
	v_cvt_f32_i32_dpp v11, v15 row_shl:4 row_mask:0xf bank_mask:0xf bound_ctrl:1
	;; [unrolled: 1-line block ×3, first 2 shown]
	v_add_f32_e32 v18, v29, v24
	v_cvt_f32_i32_dpp v29, v20 row_shl:8 row_mask:0xf bank_mask:0xf bound_ctrl:1
	v_add_f32_e32 v6, v6, v11
	v_add_f32_e32 v7, v7, v8
	;; [unrolled: 1-line block ×4, first 2 shown]
	v_cvt_i32_f32_e32 v10, v6
	v_cvt_i32_f32_e32 v8, v7
	;; [unrolled: 1-line block ×4, first 2 shown]
	v_cvt_f32_i32_dpp v10, v10 row_shl:8 row_mask:0xf bank_mask:0xf bound_ctrl:1
	v_cvt_f32_i32_dpp v8, v8 row_shl:8 row_mask:0xf bank_mask:0xf bound_ctrl:1
	v_cvt_f32_i32_dpp v13, v13 row_shr:15 row_mask:0xf bank_mask:0xf bound_ctrl:1
	v_cvt_f32_i32_dpp v9, v9 row_shr:15 row_mask:0xf bank_mask:0xf bound_ctrl:1
	v_add_f32_e32 v6, v6, v10
	v_add_f32_e32 v7, v7, v8
	v_cvt_i32_f32_e32 v11, v13
	v_cvt_i32_f32_e32 v6, v6
	;; [unrolled: 1-line block ×4, first 2 shown]
	v_cvt_f32_i32_dpp v8, v11 row_bcast:15 row_mask:0xf bank_mask:0xf bound_ctrl:1
	v_cvt_f32_i32_dpp v6, v6 row_shr:15 row_mask:0xf bank_mask:0xf bound_ctrl:1
	v_cvt_f32_i32_dpp v7, v7 row_shr:15 row_mask:0xf bank_mask:0xf bound_ctrl:1
	v_cvt_f32_i32_dpp v10, v10 row_bcast:15 row_mask:0xf bank_mask:0xf bound_ctrl:1
	v_add_f32_e32 v13, v13, v8
	v_cvt_i32_f32_e32 v8, v6
	v_cvt_i32_f32_e32 v11, v7
	v_add_f32_e32 v10, v9, v10
	v_cvt_i32_f32_e32 v28, v19
	v_cvt_f32_i32_dpp v8, v8 row_bcast:15 row_mask:0xf bank_mask:0xf bound_ctrl:1
	v_cvt_f32_i32_dpp v9, v11 row_bcast:15 row_mask:0xf bank_mask:0xf bound_ctrl:1
	v_cvt_i32_f32_e32 v24, v18
	v_cvt_i32_f32_e32 v14, v13
	v_add_f32_e32 v8, v6, v8
	v_add_f32_e32 v6, v7, v9
	v_cvt_i32_f32_e32 v11, v10
	v_cvt_i32_f32_e32 v15, v8
	;; [unrolled: 1-line block ×3, first 2 shown]
	v_mov_b32_dpp v20, v28 row_bcast:31 row_mask:0xf bank_mask:0xf bound_ctrl:1
	v_mov_b32_dpp v12, v24 row_bcast:31 row_mask:0xf bank_mask:0xf bound_ctrl:1
	;; [unrolled: 1-line block ×6, first 2 shown]
	s_and_saveexec_b64 s[30:31], s[0:1]
	s_cbranch_execz .LBB273_133
; %bb.35:                               ;   in Loop: Header=BB273_13 Depth=1
	s_andn2_b64 vcc, exec, s[28:29]
	v_mov_b32_e32 v48, 0
	v_mov_b32_e32 v45, 0
	;; [unrolled: 1-line block ×16, first 2 shown]
	s_cbranch_vccnz .LBB273_37
; %bb.36:                               ;   in Loop: Header=BB273_13 Depth=1
	v_mul_hi_u32 v15, v102, v1
	v_mul_lo_u32 v15, v15, s20
	v_sub_u32_e32 v15, v102, v15
	v_subrev_u32_e32 v16, s20, v15
	v_cmp_le_u32_e32 vcc, s20, v15
	v_mov_b32_e32 v25, v105
	v_mov_b32_e32 v45, v105
	v_cndmask_b32_e32 v15, v15, v16, vcc
	v_subrev_u32_e32 v16, s20, v15
	v_cmp_le_u32_e32 vcc, s20, v15
	v_mov_b32_e32 v53, v105
	v_mov_b32_e32 v61, v105
	v_cndmask_b32_e32 v104, v15, v16, vcc
	v_mul_hi_u32 v15, v112, v1
	v_mul_lo_u32 v15, v15, s20
	v_sub_u32_e32 v15, v112, v15
	v_subrev_u32_e32 v24, s20, v15
	v_cmp_le_u32_e32 vcc, s20, v15
	v_add_u32_e32 v44, s41, v104
	v_lshl_add_u64 v[62:63], v[44:45], 1, s[18:19]
	v_cndmask_b32_e32 v15, v15, v24, vcc
	v_subrev_u32_e32 v24, s20, v15
	v_cmp_le_u32_e32 vcc, s20, v15
	v_lshl_add_u64 v[16:17], v[104:105], 1, s[18:19]
	s_nop 0
	v_cndmask_b32_e32 v24, v15, v24, vcc
	v_mul_hi_u32 v15, v110, v1
	v_mul_lo_u32 v15, v15, s20
	v_sub_u32_e32 v15, v110, v15
	v_lshl_add_u64 v[28:29], v[24:25], 1, s[18:19]
	v_subrev_u32_e32 v25, s20, v15
	v_cmp_le_u32_e32 vcc, s20, v15
	v_add_u32_e32 v44, s41, v24
	v_lshl_add_u64 v[64:65], v[44:45], 1, s[18:19]
	v_cndmask_b32_e32 v15, v15, v25, vcc
	v_subrev_u32_e32 v25, s20, v15
	v_cmp_le_u32_e32 vcc, s20, v15
	s_nop 1
	v_cndmask_b32_e32 v52, v15, v25, vcc
	v_mul_hi_u32 v15, v108, v1
	v_mul_lo_u32 v15, v15, s20
	v_sub_u32_e32 v15, v108, v15
	v_subrev_u32_e32 v25, s20, v15
	v_cmp_le_u32_e32 vcc, s20, v15
	v_add_u32_e32 v44, s41, v52
	v_lshl_add_u64 v[32:33], v[52:53], 1, s[18:19]
	v_cndmask_b32_e32 v15, v15, v25, vcc
	v_subrev_u32_e32 v25, s20, v15
	v_cmp_le_u32_e32 vcc, s20, v15
	v_lshl_add_u64 v[66:67], v[44:45], 1, s[18:19]
	s_nop 0
	v_cndmask_b32_e32 v60, v15, v25, vcc
	v_lshl_add_u64 v[40:41], v[60:61], 1, s[18:19]
	v_add_u32_e32 v44, s41, v60
	v_lshl_add_u64 v[68:69], v[44:45], 1, s[18:19]
	global_load_ushort v48, v[16:17], off
	global_load_ushort v45, v[28:29], off
	;; [unrolled: 1-line block ×3, first 2 shown]
	s_nop 0
	global_load_ushort v41, v[40:41], off
	s_nop 0
	global_load_ushort v40, v[62:63], off
	global_load_ushort v37, v[64:65], off
	;; [unrolled: 1-line block ×3, first 2 shown]
                                        ; kill: killed $vgpr64_vgpr65
                                        ; kill: killed $vgpr66_vgpr67
	global_load_ushort v32, v[68:69], off
	v_add_u32_e32 v16, s42, v104
	v_add_u32_e32 v104, s43, v104
	v_lshl_add_u64 v[66:67], v[104:105], 1, s[18:19]
	v_add_u32_e32 v104, s43, v24
	v_mov_b32_e32 v17, v105
	v_add_u32_e32 v28, s42, v24
	v_mov_b32_e32 v29, v105
	v_lshl_add_u64 v[68:69], v[104:105], 1, s[18:19]
	v_add_u32_e32 v104, s43, v52
	v_lshl_add_u64 v[16:17], v[16:17], 1, s[18:19]
	v_lshl_add_u64 v[28:29], v[28:29], 1, s[18:19]
	v_add_u32_e32 v62, s42, v52
	v_mov_b32_e32 v63, v105
	v_add_u32_e32 v64, s42, v60
	v_mov_b32_e32 v65, v105
	v_lshl_add_u64 v[52:53], v[104:105], 1, s[18:19]
	v_add_u32_e32 v104, s43, v60
	v_lshl_add_u64 v[62:63], v[62:63], 1, s[18:19]
	v_lshl_add_u64 v[64:65], v[64:65], 1, s[18:19]
	;; [unrolled: 1-line block ×3, first 2 shown]
	global_load_ushort v31, v[16:17], off
	s_nop 0
	global_load_ushort v29, v[28:29], off
	s_nop 0
	global_load_ushort v28, v[62:63], off
	global_load_ushort v25, v[64:65], off
	;; [unrolled: 1-line block ×6, first 2 shown]
.LBB273_37:                             ;   in Loop: Header=BB273_13 Depth=1
	v_cmp_ne_u32_e32 vcc, 0, v2
	s_and_saveexec_b64 s[6:7], vcc
	s_cbranch_execnz .LBB273_53
; %bb.38:                               ;   in Loop: Header=BB273_13 Depth=1
	s_or_b64 exec, exec, s[6:7]
	v_cmp_ne_u32_e64 s[4:5], 0, v3
	s_and_saveexec_b64 s[8:9], s[4:5]
	s_cbranch_execnz .LBB273_58
.LBB273_39:                             ;   in Loop: Header=BB273_13 Depth=1
	s_or_b64 exec, exec, s[8:9]
	v_cmp_ne_u32_e64 s[6:7], 0, v4
	s_and_saveexec_b64 s[10:11], s[6:7]
	s_cbranch_execnz .LBB273_63
.LBB273_40:                             ;   in Loop: Header=BB273_13 Depth=1
	s_or_b64 exec, exec, s[10:11]
	v_cmp_ne_u32_e64 s[8:9], 0, v5
	s_and_saveexec_b64 s[34:35], s[8:9]
	s_cbranch_execnz .LBB273_68
.LBB273_41:                             ;   in Loop: Header=BB273_13 Depth=1
	s_or_b64 exec, exec, s[34:35]
	v_add_u32_e32 v104, s15, v102
	s_and_saveexec_b64 s[34:35], vcc
	s_cbranch_execnz .LBB273_73
.LBB273_42:                             ;   in Loop: Header=BB273_13 Depth=1
	s_or_b64 exec, exec, s[34:35]
	s_and_saveexec_b64 s[34:35], s[4:5]
	s_cbranch_execnz .LBB273_78
.LBB273_43:                             ;   in Loop: Header=BB273_13 Depth=1
	s_or_b64 exec, exec, s[34:35]
	s_and_saveexec_b64 s[34:35], s[6:7]
	s_cbranch_execnz .LBB273_83
.LBB273_44:                             ;   in Loop: Header=BB273_13 Depth=1
	s_or_b64 exec, exec, s[34:35]
	s_and_saveexec_b64 s[34:35], s[8:9]
	s_cbranch_execnz .LBB273_88
.LBB273_45:                             ;   in Loop: Header=BB273_13 Depth=1
	s_or_b64 exec, exec, s[34:35]
	v_add_u32_e32 v104, s15, v104
	s_and_saveexec_b64 s[34:35], vcc
	s_cbranch_execnz .LBB273_93
.LBB273_46:                             ;   in Loop: Header=BB273_13 Depth=1
	s_or_b64 exec, exec, s[34:35]
	s_and_saveexec_b64 s[34:35], s[4:5]
	s_cbranch_execnz .LBB273_98
.LBB273_47:                             ;   in Loop: Header=BB273_13 Depth=1
	s_or_b64 exec, exec, s[34:35]
	s_and_saveexec_b64 s[34:35], s[6:7]
	s_cbranch_execnz .LBB273_103
.LBB273_48:                             ;   in Loop: Header=BB273_13 Depth=1
	s_or_b64 exec, exec, s[34:35]
	s_and_saveexec_b64 s[34:35], s[8:9]
	s_cbranch_execnz .LBB273_108
.LBB273_49:                             ;   in Loop: Header=BB273_13 Depth=1
	s_or_b64 exec, exec, s[34:35]
	v_add_u32_e32 v104, s15, v104
	s_and_saveexec_b64 s[10:11], vcc
	s_cbranch_execnz .LBB273_113
.LBB273_50:                             ;   in Loop: Header=BB273_13 Depth=1
	s_or_b64 exec, exec, s[10:11]
	s_and_saveexec_b64 s[10:11], s[4:5]
	s_cbranch_execnz .LBB273_118
.LBB273_51:                             ;   in Loop: Header=BB273_13 Depth=1
	s_or_b64 exec, exec, s[10:11]
	s_and_saveexec_b64 s[4:5], s[6:7]
	s_cbranch_execnz .LBB273_123
.LBB273_52:                             ;   in Loop: Header=BB273_13 Depth=1
	s_or_b64 exec, exec, s[4:5]
	s_and_b64 exec, exec, s[8:9]
	s_cbranch_execnz .LBB273_128
	s_branch .LBB273_133
.LBB273_53:                             ;   in Loop: Header=BB273_13 Depth=1
	v_cvt_f32_i32_e32 v49, v56
	s_waitcnt vmcnt(15)
	v_lshlrev_b32_e32 v48, 16, v48
	v_add_f32_e32 v49, v58, v49
	v_add_f32_e32 v49, v49, v48
	v_and_b32_e32 v48, 0x7f800000, v49
	v_cmp_ne_u32_e64 s[4:5], s46, v48
                                        ; implicit-def: $vgpr48
	s_and_saveexec_b64 s[8:9], s[4:5]
	s_xor_b64 s[4:5], exec, s[8:9]
; %bb.54:                               ;   in Loop: Header=BB273_13 Depth=1
	v_bfe_u32 v48, v49, 16, 1
	v_add3_u32 v48, v49, v48, s14
                                        ; implicit-def: $vgpr49
; %bb.55:                               ;   in Loop: Header=BB273_13 Depth=1
	s_andn2_saveexec_b64 s[8:9], s[4:5]
; %bb.56:                               ;   in Loop: Header=BB273_13 Depth=1
	v_or_b32_e32 v48, 0x10000, v49
	v_cmp_eq_u32_sdwa s[4:5], v49, v105 src0_sel:WORD_0 src1_sel:DWORD
	s_nop 1
	v_cndmask_b32_e64 v48, v48, v49, s[4:5]
; %bb.57:                               ;   in Loop: Header=BB273_13 Depth=1
	s_or_b64 exec, exec, s[8:9]
	v_mov_b32_e32 v103, v105
	s_waitcnt lgkmcnt(0)
	v_lshl_add_u64 v[52:53], v[102:103], 1, s[24:25]
	global_store_short_d16_hi v[52:53], v48, off
	s_or_b64 exec, exec, s[6:7]
	v_cmp_ne_u32_e64 s[4:5], 0, v3
	s_and_saveexec_b64 s[8:9], s[4:5]
	s_cbranch_execz .LBB273_39
.LBB273_58:                             ;   in Loop: Header=BB273_13 Depth=1
	s_waitcnt vmcnt(15)
	v_cvt_f32_i32_e32 v48, v55
	s_waitcnt vmcnt(14)
	v_lshlrev_b32_e32 v45, 16, v45
	v_add_f32_e32 v48, v54, v48
	v_add_f32_e32 v48, v48, v45
	v_and_b32_e32 v45, 0x7f800000, v48
	v_cmp_ne_u32_e64 s[6:7], s46, v45
                                        ; implicit-def: $vgpr45
	s_and_saveexec_b64 s[10:11], s[6:7]
	s_xor_b64 s[6:7], exec, s[10:11]
; %bb.59:                               ;   in Loop: Header=BB273_13 Depth=1
	v_bfe_u32 v45, v48, 16, 1
	v_add3_u32 v45, v48, v45, s14
                                        ; implicit-def: $vgpr48
; %bb.60:                               ;   in Loop: Header=BB273_13 Depth=1
	s_andn2_saveexec_b64 s[10:11], s[6:7]
; %bb.61:                               ;   in Loop: Header=BB273_13 Depth=1
	v_or_b32_e32 v45, 0x10000, v48
	v_cmp_eq_u32_sdwa s[6:7], v48, v105 src0_sel:WORD_0 src1_sel:DWORD
	s_nop 1
	v_cndmask_b32_e64 v45, v45, v48, s[6:7]
; %bb.62:                               ;   in Loop: Header=BB273_13 Depth=1
	s_or_b64 exec, exec, s[10:11]
	v_mov_b32_e32 v113, v105
	s_waitcnt lgkmcnt(0)
	v_lshl_add_u64 v[48:49], v[112:113], 1, s[24:25]
	global_store_short_d16_hi v[48:49], v45, off
	s_or_b64 exec, exec, s[8:9]
	v_cmp_ne_u32_e64 s[6:7], 0, v4
	s_and_saveexec_b64 s[10:11], s[6:7]
	s_cbranch_execz .LBB273_40
.LBB273_63:                             ;   in Loop: Header=BB273_13 Depth=1
	s_waitcnt vmcnt(14)
	v_cvt_f32_i32_e32 v45, v47
	s_waitcnt vmcnt(13)
	v_lshlrev_b32_e32 v44, 16, v44
	v_add_f32_e32 v45, v50, v45
	v_add_f32_e32 v45, v45, v44
	v_and_b32_e32 v44, 0x7f800000, v45
	v_cmp_ne_u32_e64 s[8:9], s46, v44
                                        ; implicit-def: $vgpr44
	s_and_saveexec_b64 s[34:35], s[8:9]
	s_xor_b64 s[8:9], exec, s[34:35]
; %bb.64:                               ;   in Loop: Header=BB273_13 Depth=1
	v_bfe_u32 v44, v45, 16, 1
	v_add3_u32 v44, v45, v44, s14
                                        ; implicit-def: $vgpr45
; %bb.65:                               ;   in Loop: Header=BB273_13 Depth=1
	s_andn2_saveexec_b64 s[34:35], s[8:9]
; %bb.66:                               ;   in Loop: Header=BB273_13 Depth=1
	v_or_b32_e32 v44, 0x10000, v45
	v_cmp_eq_u32_sdwa s[8:9], v45, v105 src0_sel:WORD_0 src1_sel:DWORD
	s_nop 1
	v_cndmask_b32_e64 v44, v44, v45, s[8:9]
; %bb.67:                               ;   in Loop: Header=BB273_13 Depth=1
	s_or_b64 exec, exec, s[34:35]
	v_mov_b32_e32 v111, v105
	s_waitcnt lgkmcnt(0)
	v_lshl_add_u64 v[48:49], v[110:111], 1, s[24:25]
	global_store_short_d16_hi v[48:49], v44, off
	s_or_b64 exec, exec, s[10:11]
	v_cmp_ne_u32_e64 s[8:9], 0, v5
	s_and_saveexec_b64 s[34:35], s[8:9]
	s_cbranch_execz .LBB273_41
.LBB273_68:                             ;   in Loop: Header=BB273_13 Depth=1
	v_cvt_f32_i32_e32 v43, v43
	s_waitcnt vmcnt(12)
	v_lshlrev_b32_e32 v41, 16, v41
	v_add_f32_e32 v43, v46, v43
	v_add_f32_e32 v43, v43, v41
	v_and_b32_e32 v41, 0x7f800000, v43
	v_cmp_ne_u32_e64 s[10:11], s46, v41
                                        ; implicit-def: $vgpr41
	s_and_saveexec_b64 s[36:37], s[10:11]
	s_xor_b64 s[10:11], exec, s[36:37]
; %bb.69:                               ;   in Loop: Header=BB273_13 Depth=1
	v_bfe_u32 v41, v43, 16, 1
	v_add3_u32 v41, v43, v41, s14
                                        ; implicit-def: $vgpr43
; %bb.70:                               ;   in Loop: Header=BB273_13 Depth=1
	s_andn2_saveexec_b64 s[36:37], s[10:11]
; %bb.71:                               ;   in Loop: Header=BB273_13 Depth=1
	v_or_b32_e32 v41, 0x10000, v43
	v_cmp_eq_u32_sdwa s[10:11], v43, v105 src0_sel:WORD_0 src1_sel:DWORD
	s_nop 1
	v_cndmask_b32_e64 v41, v41, v43, s[10:11]
; %bb.72:                               ;   in Loop: Header=BB273_13 Depth=1
	s_or_b64 exec, exec, s[36:37]
	v_mov_b32_e32 v109, v105
	s_waitcnt lgkmcnt(0)
	v_lshl_add_u64 v[44:45], v[108:109], 1, s[24:25]
	global_store_short_d16_hi v[44:45], v41, off
	s_or_b64 exec, exec, s[34:35]
	v_add_u32_e32 v104, s15, v102
	s_and_saveexec_b64 s[34:35], vcc
	s_cbranch_execz .LBB273_42
.LBB273_73:                             ;   in Loop: Header=BB273_13 Depth=1
	v_cvt_f32_i32_e32 v39, v39
	s_waitcnt vmcnt(11)
	v_lshlrev_b32_e32 v40, 16, v40
	v_add_f32_e32 v39, v42, v39
	v_add_f32_e32 v40, v39, v40
	v_and_b32_e32 v39, 0x7f800000, v40
	v_cmp_ne_u32_e64 s[10:11], s46, v39
                                        ; implicit-def: $vgpr39
	s_and_saveexec_b64 s[36:37], s[10:11]
	s_xor_b64 s[10:11], exec, s[36:37]
; %bb.74:                               ;   in Loop: Header=BB273_13 Depth=1
	v_bfe_u32 v39, v40, 16, 1
	v_add3_u32 v39, v40, v39, s14
                                        ; implicit-def: $vgpr40
; %bb.75:                               ;   in Loop: Header=BB273_13 Depth=1
	s_andn2_saveexec_b64 s[36:37], s[10:11]
; %bb.76:                               ;   in Loop: Header=BB273_13 Depth=1
	v_or_b32_e32 v39, 0x10000, v40
	v_cmp_eq_u32_sdwa s[10:11], v40, v105 src0_sel:WORD_0 src1_sel:DWORD
	s_nop 1
	v_cndmask_b32_e64 v39, v39, v40, s[10:11]
; %bb.77:                               ;   in Loop: Header=BB273_13 Depth=1
	s_or_b64 exec, exec, s[36:37]
	s_waitcnt lgkmcnt(0)
	v_lshl_add_u64 v[40:41], v[104:105], 1, s[24:25]
	global_store_short_d16_hi v[40:41], v39, off
	s_or_b64 exec, exec, s[34:35]
	s_and_saveexec_b64 s[34:35], s[4:5]
	s_cbranch_execz .LBB273_43
.LBB273_78:                             ;   in Loop: Header=BB273_13 Depth=1
	v_cvt_f32_i32_e32 v36, v36
	s_waitcnt vmcnt(10)
	v_lshlrev_b32_e32 v37, 16, v37
	v_add_f32_e32 v36, v38, v36
	v_add_f32_e32 v37, v36, v37
	v_and_b32_e32 v36, 0x7f800000, v37
	v_cmp_ne_u32_e64 s[10:11], s46, v36
                                        ; implicit-def: $vgpr36
	s_and_saveexec_b64 s[36:37], s[10:11]
	s_xor_b64 s[10:11], exec, s[36:37]
; %bb.79:                               ;   in Loop: Header=BB273_13 Depth=1
	v_bfe_u32 v36, v37, 16, 1
	v_add3_u32 v36, v37, v36, s14
                                        ; implicit-def: $vgpr37
; %bb.80:                               ;   in Loop: Header=BB273_13 Depth=1
	s_andn2_saveexec_b64 s[36:37], s[10:11]
; %bb.81:                               ;   in Loop: Header=BB273_13 Depth=1
	v_or_b32_e32 v36, 0x10000, v37
	v_cmp_eq_u32_sdwa s[10:11], v37, v105 src0_sel:WORD_0 src1_sel:DWORD
	s_nop 1
	v_cndmask_b32_e64 v36, v36, v37, s[10:11]
; %bb.82:                               ;   in Loop: Header=BB273_13 Depth=1
	s_or_b64 exec, exec, s[36:37]
	v_add_u32_e32 v38, 1, v104
	v_mov_b32_e32 v39, v105
	s_waitcnt lgkmcnt(0)
	v_lshl_add_u64 v[38:39], v[38:39], 1, s[24:25]
	global_store_short_d16_hi v[38:39], v36, off
	s_or_b64 exec, exec, s[34:35]
	s_and_saveexec_b64 s[34:35], s[6:7]
	s_cbranch_execz .LBB273_44
.LBB273_83:                             ;   in Loop: Header=BB273_13 Depth=1
	v_cvt_f32_i32_e32 v35, v35
	s_waitcnt vmcnt(9)
	v_lshlrev_b32_e32 v33, 16, v33
	v_add_f32_e32 v34, v34, v35
	v_add_f32_e32 v34, v34, v33
	v_and_b32_e32 v33, 0x7f800000, v34
	v_cmp_ne_u32_e64 s[10:11], s46, v33
                                        ; implicit-def: $vgpr33
	s_and_saveexec_b64 s[36:37], s[10:11]
	s_xor_b64 s[10:11], exec, s[36:37]
; %bb.84:                               ;   in Loop: Header=BB273_13 Depth=1
	v_bfe_u32 v33, v34, 16, 1
	v_add3_u32 v33, v34, v33, s14
                                        ; implicit-def: $vgpr34
; %bb.85:                               ;   in Loop: Header=BB273_13 Depth=1
	s_andn2_saveexec_b64 s[36:37], s[10:11]
; %bb.86:                               ;   in Loop: Header=BB273_13 Depth=1
	v_or_b32_e32 v33, 0x10000, v34
	v_cmp_eq_u32_sdwa s[10:11], v34, v105 src0_sel:WORD_0 src1_sel:DWORD
	s_nop 1
	v_cndmask_b32_e64 v33, v33, v34, s[10:11]
; %bb.87:                               ;   in Loop: Header=BB273_13 Depth=1
	s_or_b64 exec, exec, s[36:37]
	v_add_u32_e32 v34, 2, v104
	v_mov_b32_e32 v35, v105
	s_waitcnt lgkmcnt(0)
	v_lshl_add_u64 v[34:35], v[34:35], 1, s[24:25]
	global_store_short_d16_hi v[34:35], v33, off
	s_or_b64 exec, exec, s[34:35]
	s_and_saveexec_b64 s[34:35], s[8:9]
	s_cbranch_execz .LBB273_45
.LBB273_88:                             ;   in Loop: Header=BB273_13 Depth=1
	v_cvt_f32_i32_e32 v27, v27
	v_add_f32_e32 v27, v30, v27
	s_waitcnt vmcnt(8)
	v_lshlrev_b32_e32 v30, 16, v32
	v_add_f32_e32 v30, v27, v30
	v_and_b32_e32 v27, 0x7f800000, v30
	v_cmp_ne_u32_e64 s[10:11], s46, v27
                                        ; implicit-def: $vgpr27
	s_and_saveexec_b64 s[36:37], s[10:11]
	s_xor_b64 s[10:11], exec, s[36:37]
; %bb.89:                               ;   in Loop: Header=BB273_13 Depth=1
	v_bfe_u32 v27, v30, 16, 1
	v_add3_u32 v27, v30, v27, s14
                                        ; implicit-def: $vgpr30
; %bb.90:                               ;   in Loop: Header=BB273_13 Depth=1
	s_andn2_saveexec_b64 s[36:37], s[10:11]
; %bb.91:                               ;   in Loop: Header=BB273_13 Depth=1
	v_or_b32_e32 v27, 0x10000, v30
	v_cmp_eq_u32_sdwa s[10:11], v30, v105 src0_sel:WORD_0 src1_sel:DWORD
	s_nop 1
	v_cndmask_b32_e64 v27, v27, v30, s[10:11]
; %bb.92:                               ;   in Loop: Header=BB273_13 Depth=1
	s_or_b64 exec, exec, s[36:37]
	v_add_u32_e32 v32, 3, v104
	v_mov_b32_e32 v33, v105
	s_waitcnt lgkmcnt(0)
	v_lshl_add_u64 v[32:33], v[32:33], 1, s[24:25]
	global_store_short_d16_hi v[32:33], v27, off
	s_or_b64 exec, exec, s[34:35]
	v_add_u32_e32 v104, s15, v104
	s_and_saveexec_b64 s[34:35], vcc
	s_cbranch_execz .LBB273_46
.LBB273_93:                             ;   in Loop: Header=BB273_13 Depth=1
	v_cvt_f32_i32_e32 v23, v23
	v_add_f32_e32 v23, v26, v23
	s_waitcnt vmcnt(7)
	v_lshlrev_b32_e32 v26, 16, v31
	v_add_f32_e32 v26, v23, v26
	v_and_b32_e32 v23, 0x7f800000, v26
	v_cmp_ne_u32_e64 s[10:11], s46, v23
                                        ; implicit-def: $vgpr23
	s_and_saveexec_b64 s[36:37], s[10:11]
	s_xor_b64 s[10:11], exec, s[36:37]
; %bb.94:                               ;   in Loop: Header=BB273_13 Depth=1
	v_bfe_u32 v23, v26, 16, 1
	v_add3_u32 v23, v26, v23, s14
                                        ; implicit-def: $vgpr26
; %bb.95:                               ;   in Loop: Header=BB273_13 Depth=1
	s_andn2_saveexec_b64 s[36:37], s[10:11]
; %bb.96:                               ;   in Loop: Header=BB273_13 Depth=1
	v_or_b32_e32 v23, 0x10000, v26
	v_cmp_eq_u32_sdwa s[10:11], v26, v105 src0_sel:WORD_0 src1_sel:DWORD
	s_nop 1
	v_cndmask_b32_e64 v23, v23, v26, s[10:11]
; %bb.97:                               ;   in Loop: Header=BB273_13 Depth=1
	s_or_b64 exec, exec, s[36:37]
	s_waitcnt lgkmcnt(0)
	v_lshl_add_u64 v[26:27], v[104:105], 1, s[24:25]
	global_store_short_d16_hi v[26:27], v23, off
	s_or_b64 exec, exec, s[34:35]
	s_and_saveexec_b64 s[34:35], s[4:5]
	s_cbranch_execz .LBB273_47
.LBB273_98:                             ;   in Loop: Header=BB273_13 Depth=1
	v_cvt_f32_i32_e32 v21, v21
	v_add_f32_e32 v21, v22, v21
	s_waitcnt vmcnt(6)
	v_lshlrev_b32_e32 v22, 16, v29
	v_add_f32_e32 v22, v21, v22
	v_and_b32_e32 v21, 0x7f800000, v22
	v_cmp_ne_u32_e64 s[10:11], s46, v21
                                        ; implicit-def: $vgpr21
	s_and_saveexec_b64 s[36:37], s[10:11]
	s_xor_b64 s[10:11], exec, s[36:37]
; %bb.99:                               ;   in Loop: Header=BB273_13 Depth=1
	v_bfe_u32 v21, v22, 16, 1
	v_add3_u32 v21, v22, v21, s14
                                        ; implicit-def: $vgpr22
; %bb.100:                              ;   in Loop: Header=BB273_13 Depth=1
	s_andn2_saveexec_b64 s[36:37], s[10:11]
; %bb.101:                              ;   in Loop: Header=BB273_13 Depth=1
	v_or_b32_e32 v21, 0x10000, v22
	v_cmp_eq_u32_sdwa s[10:11], v22, v105 src0_sel:WORD_0 src1_sel:DWORD
	s_nop 1
	v_cndmask_b32_e64 v21, v21, v22, s[10:11]
; %bb.102:                              ;   in Loop: Header=BB273_13 Depth=1
	s_or_b64 exec, exec, s[36:37]
	v_add_u32_e32 v22, 1, v104
	v_mov_b32_e32 v23, v105
	s_waitcnt lgkmcnt(0)
	v_lshl_add_u64 v[22:23], v[22:23], 1, s[24:25]
	global_store_short_d16_hi v[22:23], v21, off
	s_or_b64 exec, exec, s[34:35]
	s_and_saveexec_b64 s[34:35], s[6:7]
	s_cbranch_execz .LBB273_48
.LBB273_103:                            ;   in Loop: Header=BB273_13 Depth=1
	v_cvt_f32_i32_e32 v20, v20
	v_add_f32_e32 v19, v19, v20
	s_waitcnt vmcnt(5)
	v_lshlrev_b32_e32 v20, 16, v28
	v_add_f32_e32 v20, v19, v20
	v_and_b32_e32 v19, 0x7f800000, v20
	v_cmp_ne_u32_e64 s[10:11], s46, v19
                                        ; implicit-def: $vgpr19
	s_and_saveexec_b64 s[36:37], s[10:11]
	s_xor_b64 s[10:11], exec, s[36:37]
; %bb.104:                              ;   in Loop: Header=BB273_13 Depth=1
	v_bfe_u32 v19, v20, 16, 1
	v_add3_u32 v19, v20, v19, s14
                                        ; implicit-def: $vgpr20
; %bb.105:                              ;   in Loop: Header=BB273_13 Depth=1
	s_andn2_saveexec_b64 s[36:37], s[10:11]
; %bb.106:                              ;   in Loop: Header=BB273_13 Depth=1
	v_or_b32_e32 v19, 0x10000, v20
	v_cmp_eq_u32_sdwa s[10:11], v20, v105 src0_sel:WORD_0 src1_sel:DWORD
	s_nop 1
	v_cndmask_b32_e64 v19, v19, v20, s[10:11]
; %bb.107:                              ;   in Loop: Header=BB273_13 Depth=1
	s_or_b64 exec, exec, s[36:37]
	v_add_u32_e32 v20, 2, v104
	v_mov_b32_e32 v21, v105
	s_waitcnt lgkmcnt(0)
	v_lshl_add_u64 v[20:21], v[20:21], 1, s[24:25]
	global_store_short_d16_hi v[20:21], v19, off
	s_or_b64 exec, exec, s[34:35]
	s_and_saveexec_b64 s[34:35], s[8:9]
	s_cbranch_execz .LBB273_49
.LBB273_108:                            ;   in Loop: Header=BB273_13 Depth=1
	v_cvt_f32_i32_e32 v12, v12
	v_add_f32_e32 v12, v18, v12
	s_waitcnt vmcnt(4)
	v_lshlrev_b32_e32 v18, 16, v25
	v_add_f32_e32 v18, v12, v18
	v_and_b32_e32 v12, 0x7f800000, v18
	v_cmp_ne_u32_e64 s[10:11], s46, v12
                                        ; implicit-def: $vgpr12
	s_and_saveexec_b64 s[36:37], s[10:11]
	s_xor_b64 s[10:11], exec, s[36:37]
; %bb.109:                              ;   in Loop: Header=BB273_13 Depth=1
	v_bfe_u32 v12, v18, 16, 1
	v_add3_u32 v12, v18, v12, s14
                                        ; implicit-def: $vgpr18
; %bb.110:                              ;   in Loop: Header=BB273_13 Depth=1
	s_andn2_saveexec_b64 s[36:37], s[10:11]
; %bb.111:                              ;   in Loop: Header=BB273_13 Depth=1
	v_or_b32_e32 v12, 0x10000, v18
	v_cmp_eq_u32_sdwa s[10:11], v18, v105 src0_sel:WORD_0 src1_sel:DWORD
	s_nop 1
	v_cndmask_b32_e64 v12, v12, v18, s[10:11]
; %bb.112:                              ;   in Loop: Header=BB273_13 Depth=1
	s_or_b64 exec, exec, s[36:37]
	v_add_u32_e32 v18, 3, v104
	v_mov_b32_e32 v19, v105
	s_waitcnt lgkmcnt(0)
	v_lshl_add_u64 v[18:19], v[18:19], 1, s[24:25]
	global_store_short_d16_hi v[18:19], v12, off
	s_or_b64 exec, exec, s[34:35]
	v_add_u32_e32 v104, s15, v104
	s_and_saveexec_b64 s[10:11], vcc
	s_cbranch_execz .LBB273_50
.LBB273_113:                            ;   in Loop: Header=BB273_13 Depth=1
	v_cvt_f32_i32_e32 v12, v14
	v_add_f32_e32 v12, v13, v12
	s_waitcnt vmcnt(3)
	v_lshlrev_b32_e32 v13, 16, v24
	v_add_f32_e32 v13, v12, v13
	v_and_b32_e32 v12, 0x7f800000, v13
	v_cmp_ne_u32_e32 vcc, s46, v12
                                        ; implicit-def: $vgpr12
	s_and_saveexec_b64 s[34:35], vcc
	s_xor_b64 s[34:35], exec, s[34:35]
; %bb.114:                              ;   in Loop: Header=BB273_13 Depth=1
	v_bfe_u32 v12, v13, 16, 1
	v_add3_u32 v12, v13, v12, s14
                                        ; implicit-def: $vgpr13
; %bb.115:                              ;   in Loop: Header=BB273_13 Depth=1
	s_andn2_saveexec_b64 s[34:35], s[34:35]
; %bb.116:                              ;   in Loop: Header=BB273_13 Depth=1
	v_or_b32_e32 v12, 0x10000, v13
	v_cmp_eq_u32_sdwa vcc, v13, v105 src0_sel:WORD_0 src1_sel:DWORD
	s_nop 1
	v_cndmask_b32_e32 v12, v12, v13, vcc
; %bb.117:                              ;   in Loop: Header=BB273_13 Depth=1
	s_or_b64 exec, exec, s[34:35]
	s_waitcnt lgkmcnt(0)
	v_lshl_add_u64 v[18:19], v[104:105], 1, s[24:25]
	global_store_short_d16_hi v[18:19], v12, off
	s_or_b64 exec, exec, s[10:11]
	s_and_saveexec_b64 s[10:11], s[4:5]
	s_cbranch_execz .LBB273_51
.LBB273_118:                            ;   in Loop: Header=BB273_13 Depth=1
	v_cvt_f32_i32_e32 v11, v11
	v_add_f32_e32 v10, v10, v11
	s_waitcnt vmcnt(2)
	v_lshlrev_b32_e32 v11, 16, v17
	v_add_f32_e32 v11, v10, v11
	v_and_b32_e32 v10, 0x7f800000, v11
	v_cmp_ne_u32_e32 vcc, s46, v10
                                        ; implicit-def: $vgpr10
	s_and_saveexec_b64 s[4:5], vcc
	s_xor_b64 s[4:5], exec, s[4:5]
; %bb.119:                              ;   in Loop: Header=BB273_13 Depth=1
	v_bfe_u32 v10, v11, 16, 1
	v_add3_u32 v10, v11, v10, s14
                                        ; implicit-def: $vgpr11
; %bb.120:                              ;   in Loop: Header=BB273_13 Depth=1
	s_andn2_saveexec_b64 s[4:5], s[4:5]
; %bb.121:                              ;   in Loop: Header=BB273_13 Depth=1
	v_or_b32_e32 v10, 0x10000, v11
	v_cmp_eq_u32_sdwa vcc, v11, v105 src0_sel:WORD_0 src1_sel:DWORD
	s_nop 1
	v_cndmask_b32_e32 v10, v10, v11, vcc
; %bb.122:                              ;   in Loop: Header=BB273_13 Depth=1
	s_or_b64 exec, exec, s[4:5]
	v_add_u32_e32 v12, 1, v104
	v_mov_b32_e32 v13, v105
	s_waitcnt lgkmcnt(0)
	v_lshl_add_u64 v[12:13], v[12:13], 1, s[24:25]
	global_store_short_d16_hi v[12:13], v10, off
	s_or_b64 exec, exec, s[10:11]
	s_and_saveexec_b64 s[4:5], s[6:7]
	s_cbranch_execz .LBB273_52
.LBB273_123:                            ;   in Loop: Header=BB273_13 Depth=1
	v_cvt_f32_i32_e32 v9, v9
	v_add_f32_e32 v8, v8, v9
	s_waitcnt vmcnt(1)
	v_lshlrev_b32_e32 v9, 16, v16
	v_add_f32_e32 v9, v8, v9
	v_and_b32_e32 v8, 0x7f800000, v9
	v_cmp_ne_u32_e32 vcc, s46, v8
                                        ; implicit-def: $vgpr8
	s_and_saveexec_b64 s[6:7], vcc
	s_xor_b64 s[6:7], exec, s[6:7]
; %bb.124:                              ;   in Loop: Header=BB273_13 Depth=1
	v_bfe_u32 v8, v9, 16, 1
	v_add3_u32 v8, v9, v8, s14
                                        ; implicit-def: $vgpr9
; %bb.125:                              ;   in Loop: Header=BB273_13 Depth=1
	s_andn2_saveexec_b64 s[6:7], s[6:7]
; %bb.126:                              ;   in Loop: Header=BB273_13 Depth=1
	v_or_b32_e32 v8, 0x10000, v9
	v_cmp_eq_u32_sdwa vcc, v9, v105 src0_sel:WORD_0 src1_sel:DWORD
	s_nop 1
	v_cndmask_b32_e32 v8, v8, v9, vcc
; %bb.127:                              ;   in Loop: Header=BB273_13 Depth=1
	s_or_b64 exec, exec, s[6:7]
	v_add_u32_e32 v10, 2, v104
	v_mov_b32_e32 v11, v105
	s_waitcnt lgkmcnt(0)
	v_lshl_add_u64 v[10:11], v[10:11], 1, s[24:25]
	global_store_short_d16_hi v[10:11], v8, off
	s_or_b64 exec, exec, s[4:5]
	s_and_b64 exec, exec, s[8:9]
	s_cbranch_execz .LBB273_133
.LBB273_128:                            ;   in Loop: Header=BB273_13 Depth=1
	v_cvt_f32_i32_e32 v7, v7
	v_add_f32_e32 v6, v6, v7
	s_waitcnt vmcnt(0)
	v_lshlrev_b32_e32 v7, 16, v15
	v_add_f32_e32 v7, v6, v7
	v_and_b32_e32 v6, 0x7f800000, v7
	v_cmp_ne_u32_e32 vcc, s46, v6
                                        ; implicit-def: $vgpr6
	s_and_saveexec_b64 s[4:5], vcc
	s_xor_b64 s[4:5], exec, s[4:5]
; %bb.129:                              ;   in Loop: Header=BB273_13 Depth=1
	v_bfe_u32 v6, v7, 16, 1
	v_add3_u32 v6, v7, v6, s14
                                        ; implicit-def: $vgpr7
; %bb.130:                              ;   in Loop: Header=BB273_13 Depth=1
	s_andn2_saveexec_b64 s[4:5], s[4:5]
; %bb.131:                              ;   in Loop: Header=BB273_13 Depth=1
	v_or_b32_e32 v6, 0x10000, v7
	v_cmp_eq_u32_sdwa vcc, v7, v105 src0_sel:WORD_0 src1_sel:DWORD
	s_nop 1
	v_cndmask_b32_e32 v6, v6, v7, vcc
; %bb.132:                              ;   in Loop: Header=BB273_13 Depth=1
	s_or_b64 exec, exec, s[4:5]
	v_add_u32_e32 v104, 3, v104
	s_waitcnt lgkmcnt(0)
	v_lshl_add_u64 v[8:9], v[104:105], 1, s[24:25]
	global_store_short_d16_hi v[8:9], v6, off
.LBB273_133:                            ;   in Loop: Header=BB273_13 Depth=1
	s_or_b64 exec, exec, s[30:31]
	v_add_u32_e32 v102, s40, v102
	v_add_u32_e32 v6, 4, v102
	v_cmp_gt_u32_e32 vcc, s15, v102
	v_cmp_le_u32_e64 s[4:5], s15, v6
	s_and_b64 s[4:5], vcc, s[4:5]
	s_and_saveexec_b64 s[6:7], s[4:5]
	s_cbranch_execz .LBB273_12
; %bb.134:                              ;   in Loop: Header=BB273_13 Depth=1
	v_cmp_ne_u32_e32 vcc, s21, v102
	s_and_saveexec_b64 s[8:9], vcc
	s_cbranch_execz .LBB273_11
; %bb.135:                              ;   in Loop: Header=BB273_13 Depth=1
	v_subrev_u32_e32 v6, s21, v102
	v_cmp_lt_u32_e32 vcc, 1, v6
	s_mov_b64 s[10:11], 0
	s_mov_b64 s[30:31], 0
	v_cndmask_b32_e32 v6, 1, v6, vcc
.LBB273_136:                            ;   Parent Loop BB273_13 Depth=1
                                        ; =>  This Inner Loop Header: Depth=2
	s_cmp_lg_u32 s30, 3
	s_cselect_b64 vcc, -1, 0
	s_cmp_lg_u32 s30, 2
	v_cndmask_b32_e32 v5, 0, v5, vcc
	s_cselect_b64 vcc, -1, 0
	s_cmp_lg_u32 s30, 1
	v_cndmask_b32_e32 v4, 0, v4, vcc
	;; [unrolled: 3-line block ×3, first 2 shown]
	s_cselect_b64 vcc, -1, 0
	s_add_u32 s30, s30, 1
	s_addc_u32 s31, s31, 0
	v_cmp_eq_u32_e64 s[4:5], s30, v6
	s_or_b64 s[10:11], s[4:5], s[10:11]
	v_cndmask_b32_e32 v2, 0, v2, vcc
	s_andn2_b64 exec, exec, s[10:11]
	s_cbranch_execnz .LBB273_136
; %bb.137:                              ;   in Loop: Header=BB273_13 Depth=1
	s_or_b64 exec, exec, s[10:11]
	s_branch .LBB273_11
.LBB273_138:
	s_endpgm
	.section	.rodata,"a",@progbits
	.p2align	6, 0x0
	.amdhsa_kernel _Z12wvSplitK_hf_I14__hip_bfloat16Li64ELi4ELi16ELi8ELi1ELi4EEviiiiiiPKT_S3_S3_PS1_ii
		.amdhsa_group_segment_fixed_size 65536
		.amdhsa_private_segment_fixed_size 0
		.amdhsa_kernarg_size 64
		.amdhsa_user_sgpr_count 2
		.amdhsa_user_sgpr_dispatch_ptr 0
		.amdhsa_user_sgpr_queue_ptr 0
		.amdhsa_user_sgpr_kernarg_segment_ptr 1
		.amdhsa_user_sgpr_dispatch_id 0
		.amdhsa_user_sgpr_kernarg_preload_length 0
		.amdhsa_user_sgpr_kernarg_preload_offset 0
		.amdhsa_user_sgpr_private_segment_size 0
		.amdhsa_uses_dynamic_stack 0
		.amdhsa_enable_private_segment 0
		.amdhsa_system_sgpr_workgroup_id_x 1
		.amdhsa_system_sgpr_workgroup_id_y 0
		.amdhsa_system_sgpr_workgroup_id_z 0
		.amdhsa_system_sgpr_workgroup_info 0
		.amdhsa_system_vgpr_workitem_id 1
		.amdhsa_next_free_vgpr 126
		.amdhsa_next_free_sgpr 47
		.amdhsa_accum_offset 128
		.amdhsa_reserve_vcc 1
		.amdhsa_float_round_mode_32 0
		.amdhsa_float_round_mode_16_64 0
		.amdhsa_float_denorm_mode_32 3
		.amdhsa_float_denorm_mode_16_64 3
		.amdhsa_dx10_clamp 1
		.amdhsa_ieee_mode 1
		.amdhsa_fp16_overflow 0
		.amdhsa_tg_split 0
		.amdhsa_exception_fp_ieee_invalid_op 0
		.amdhsa_exception_fp_denorm_src 0
		.amdhsa_exception_fp_ieee_div_zero 0
		.amdhsa_exception_fp_ieee_overflow 0
		.amdhsa_exception_fp_ieee_underflow 0
		.amdhsa_exception_fp_ieee_inexact 0
		.amdhsa_exception_int_div_zero 0
	.end_amdhsa_kernel
	.section	.text._Z12wvSplitK_hf_I14__hip_bfloat16Li64ELi4ELi16ELi8ELi1ELi4EEviiiiiiPKT_S3_S3_PS1_ii,"axG",@progbits,_Z12wvSplitK_hf_I14__hip_bfloat16Li64ELi4ELi16ELi8ELi1ELi4EEviiiiiiPKT_S3_S3_PS1_ii,comdat
.Lfunc_end273:
	.size	_Z12wvSplitK_hf_I14__hip_bfloat16Li64ELi4ELi16ELi8ELi1ELi4EEviiiiiiPKT_S3_S3_PS1_ii, .Lfunc_end273-_Z12wvSplitK_hf_I14__hip_bfloat16Li64ELi4ELi16ELi8ELi1ELi4EEviiiiiiPKT_S3_S3_PS1_ii
                                        ; -- End function
	.section	.AMDGPU.csdata,"",@progbits
; Kernel info:
; codeLenInByte = 7168
; NumSgprs: 53
; NumVgprs: 126
; NumAgprs: 0
; TotalNumVgprs: 126
; ScratchSize: 0
; MemoryBound: 1
; FloatMode: 240
; IeeeMode: 1
; LDSByteSize: 65536 bytes/workgroup (compile time only)
; SGPRBlocks: 6
; VGPRBlocks: 15
; NumSGPRsForWavesPerEU: 53
; NumVGPRsForWavesPerEU: 126
; AccumOffset: 128
; Occupancy: 4
; WaveLimiterHint : 0
; COMPUTE_PGM_RSRC2:SCRATCH_EN: 0
; COMPUTE_PGM_RSRC2:USER_SGPR: 2
; COMPUTE_PGM_RSRC2:TRAP_HANDLER: 0
; COMPUTE_PGM_RSRC2:TGID_X_EN: 1
; COMPUTE_PGM_RSRC2:TGID_Y_EN: 0
; COMPUTE_PGM_RSRC2:TGID_Z_EN: 0
; COMPUTE_PGM_RSRC2:TIDIG_COMP_CNT: 1
; COMPUTE_PGM_RSRC3_GFX90A:ACCUM_OFFSET: 31
; COMPUTE_PGM_RSRC3_GFX90A:TG_SPLIT: 0
	.section	.text._Z16wvSplitK_hf_big_I14__hip_bfloat16Li64ELi4ELi16ELi8ELi1ELi4EEviiiiiiPKT_S3_S3_PS1_ii,"axG",@progbits,_Z16wvSplitK_hf_big_I14__hip_bfloat16Li64ELi4ELi16ELi8ELi1ELi4EEviiiiiiPKT_S3_S3_PS1_ii,comdat
	.protected	_Z16wvSplitK_hf_big_I14__hip_bfloat16Li64ELi4ELi16ELi8ELi1ELi4EEviiiiiiPKT_S3_S3_PS1_ii ; -- Begin function _Z16wvSplitK_hf_big_I14__hip_bfloat16Li64ELi4ELi16ELi8ELi1ELi4EEviiiiiiPKT_S3_S3_PS1_ii
	.globl	_Z16wvSplitK_hf_big_I14__hip_bfloat16Li64ELi4ELi16ELi8ELi1ELi4EEviiiiiiPKT_S3_S3_PS1_ii
	.p2align	8
	.type	_Z16wvSplitK_hf_big_I14__hip_bfloat16Li64ELi4ELi16ELi8ELi1ELi4EEviiiiiiPKT_S3_S3_PS1_ii,@function
_Z16wvSplitK_hf_big_I14__hip_bfloat16Li64ELi4ELi16ELi8ELi1ELi4EEviiiiiiPKT_S3_S3_PS1_ii: ; @_Z16wvSplitK_hf_big_I14__hip_bfloat16Li64ELi4ELi16ELi8ELi1ELi4EEviiiiiiPKT_S3_S3_PS1_ii
; %bb.0:
	s_load_dwordx2 s[8:9], s[0:1], 0x38
	v_bfe_u32 v7, v0, 10, 10
	s_waitcnt lgkmcnt(0)
	v_cmp_gt_u32_e32 vcc, s8, v7
	s_and_saveexec_b64 s[4:5], vcc
	s_cbranch_execz .LBB274_134
; %bb.1:
	s_load_dwordx4 s[24:27], s[0:1], 0x0
	s_mul_i32 s2, s2, s8
	v_add_lshl_u32 v102, s2, v7, 2
	s_mov_b32 s4, 1
	v_add_u32_e32 v1, 4, v102
	s_mov_b32 s5, s4
	s_waitcnt lgkmcnt(0)
	v_cmp_gt_u32_e32 vcc, s27, v102
	v_cmp_le_u32_e64 s[2:3], s27, v1
	s_mov_b32 s6, s4
	s_mov_b32 s7, s4
	v_mov_b64_e32 v[2:3], s[4:5]
	s_and_b64 s[10:11], vcc, s[2:3]
	v_mov_b64_e32 v[4:5], s[6:7]
	s_and_saveexec_b64 s[2:3], s[10:11]
	s_cbranch_execz .LBB274_7
; %bb.2:
	s_add_i32 s16, s27, -4
	v_mov_b64_e32 v[2:3], s[4:5]
	v_cmp_ne_u32_e32 vcc, s16, v102
	v_mov_b64_e32 v[4:5], s[6:7]
	s_and_saveexec_b64 s[10:11], vcc
	s_cbranch_execz .LBB274_6
; %bb.3:
	v_subrev_u32_e32 v1, s16, v102
	v_cmp_lt_u32_e32 vcc, 1, v1
	s_mov_b64 s[12:13], 0
	s_mov_b64 s[14:15], 0
	v_cndmask_b32_e32 v6, 1, v1, vcc
	s_mov_b32 s5, s4
	s_mov_b32 s6, s4
	;; [unrolled: 1-line block ×3, first 2 shown]
.LBB274_4:                              ; =>This Inner Loop Header: Depth=1
	s_cmp_lg_u32 s14, 3
	s_cselect_b32 s7, s7, 0
	s_cmp_lg_u32 s14, 2
	s_cselect_b32 s6, s6, 0
	;; [unrolled: 2-line block ×4, first 2 shown]
	s_add_u32 s14, s14, 1
	s_addc_u32 s15, s15, 0
	v_cmp_eq_u32_e32 vcc, s14, v6
	v_mov_b64_e32 v[2:3], s[4:5]
	s_or_b64 s[12:13], vcc, s[12:13]
	v_mov_b64_e32 v[4:5], s[6:7]
	s_andn2_b64 exec, exec, s[12:13]
	s_cbranch_execnz .LBB274_4
; %bb.5:
	s_or_b64 exec, exec, s[12:13]
	v_mov_b32_e32 v102, s16
.LBB274_6:
	s_or_b64 exec, exec, s[10:11]
.LBB274_7:
	s_or_b64 exec, exec, s[2:3]
	s_lshl_b32 s2, s8, 2
	s_abs_i32 s3, s2
	v_cvt_f32_u32_e32 v1, s3
	s_sub_i32 s6, 0, s3
	s_abs_i32 s5, s27
	s_ashr_i32 s4, s27, 31
	v_rcp_iflag_f32_e32 v1, v1
	s_nop 0
	v_mul_f32_e32 v1, 0x4f7ffffe, v1
	v_cvt_u32_f32_e32 v1, v1
	s_nop 0
	v_readfirstlane_b32 s7, v1
	s_mul_i32 s6, s6, s7
	s_mul_hi_u32 s6, s7, s6
	s_add_i32 s7, s7, s6
	s_mul_hi_u32 s6, s5, s7
	s_mul_i32 s6, s6, s3
	s_sub_i32 s5, s5, s6
	s_sub_i32 s6, s5, s3
	s_cmp_ge_u32 s5, s3
	s_cselect_b32 s5, s6, s5
	s_sub_i32 s6, s5, s3
	s_cmp_ge_u32 s5, s3
	s_cselect_b32 s3, s6, s5
	s_xor_b32 s3, s3, s4
	s_sub_i32 s3, s3, s4
	s_add_i32 s2, s2, s27
	s_sub_i32 s2, s2, s3
	s_cmp_eq_u32 s3, 0
	s_cselect_b32 s33, s27, s2
	v_cmp_gt_u32_e32 vcc, s33, v102
	s_and_b64 exec, exec, vcc
	s_cbranch_execz .LBB274_134
; %bb.8:
	s_load_dwordx8 s[16:23], s[0:1], 0x10
	s_min_u32 s44, s26, 0x2000
	s_cmp_lg_u32 s24, 0
	s_load_dwordx2 s[14:15], s[0:1], 0x30
	s_cselect_b64 s[2:3], -1, 0
	s_cmp_lg_u32 s26, 0
	s_mul_i32 s0, s9, s8
	s_cselect_b64 s[4:5], -1, 0
	s_lshl_b32 s45, s8, 9
	s_add_i32 s46, s24, -8
	s_add_i32 s47, s27, -1
	s_lshl_b32 s48, s0, 2
	s_waitcnt lgkmcnt(0)
	s_cmp_lg_u64 s[22:23], 0
	s_cselect_b64 s[30:31], -1, 0
	s_abs_i32 s6, s17
	v_cvt_f32_u32_e32 v1, s16
	v_cvt_f32_u32_e32 v6, s6
	s_sub_i32 s7, 0, s16
	s_add_i32 s17, s27, -4
	v_rcp_iflag_f32_e32 v1, v1
	v_rcp_iflag_f32_e32 v6, v6
	v_and_b32_e32 v0, 0x3ff, v0
	v_lshlrev_b32_e32 v105, 3, v0
	v_mul_f32_e32 v1, 0x4f7ffffe, v1
	v_mul_f32_e32 v6, 0x4f7ffffe, v6
	v_cvt_u32_f32_e32 v1, v1
	v_cvt_u32_f32_e32 v6, v6
	v_cmp_eq_u32_e64 s[0:1], 63, v0
	v_lshlrev_b32_e32 v0, 4, v0
	v_mul_lo_u32 v8, s7, v1
	s_sub_i32 s7, 0, s6
	v_readfirstlane_b32 s9, v6
	s_mul_i32 s7, s7, s9
	s_mul_hi_u32 s7, s9, s7
	s_add_i32 s9, s9, s7
	s_sub_i32 s7, 1, s6
	s_cmp_lt_u32 s6, 2
	s_cselect_b32 s7, s7, 1
	s_sub_i32 s10, s7, s6
	s_cmp_ge_u32 s7, s6
	s_cselect_b32 s49, s10, s7
	s_lshr_b32 s7, s9, 31
	s_mul_i32 s7, s7, s6
	s_sub_i32 s7, 2, s7
	s_sub_i32 s10, s7, s6
	s_cmp_ge_u32 s7, s6
	s_cselect_b32 s7, s10, s7
	s_sub_i32 s10, s7, s6
	s_cmp_ge_u32 s7, s6
	s_cselect_b32 s50, s10, s7
	s_mul_hi_u32 s7, s9, 3
	s_mul_i32 s7, s7, s6
	s_sub_i32 s7, 3, s7
	s_sub_i32 s9, s7, s6
	s_cmp_ge_u32 s7, s6
	s_cselect_b32 s7, s9, s7
	s_sub_i32 s9, s7, s6
	s_cmp_ge_u32 s7, s6
	v_lshl_add_u32 v117, v7, 10, v0
	v_lshl_add_u32 v104, v7, 9, v105
	v_cndmask_b32_e64 v0, 0, 1, s[2:3]
	v_mul_hi_u32 v8, v1, v8
	s_cselect_b32 s51, s9, s7
	s_add_u32 s34, s14, 2
	v_mad_u64_u32 v[106:107], s[6:7], s26, 3, v[104:105]
	v_cmp_ne_u32_e64 s[2:3], 1, v0
	v_cndmask_b32_e64 v0, 0, 1, s[4:5]
	s_mov_b64 s[28:29], 0
	v_add_u32_e32 v116, v1, v8
	v_mov_b32_e32 v1, 0
	s_mul_i32 s49, s49, s16
	s_mul_i32 s50, s50, s16
	;; [unrolled: 1-line block ×3, first 2 shown]
	s_addc_u32 s35, s15, 0
	s_mul_i32 s52, s44, 6
	s_lshl_b32 s53, s8, 10
	s_lshl_b32 s54, s44, 2
	;; [unrolled: 1-line block ×3, first 2 shown]
	v_lshl_add_u32 v118, s26, 1, v104
	v_add_u32_e32 v107, s26, v104
	s_mov_b32 s56, 0x7f800000
	s_movk_i32 s57, 0x7fff
	v_cmp_ne_u32_e64 s[4:5], 1, v0
	s_branch .LBB274_12
.LBB274_9:                              ;   in Loop: Header=BB274_12 Depth=1
	s_or_b64 exec, exec, s[10:11]
	v_mov_b32_e32 v102, s17
.LBB274_10:                             ;   in Loop: Header=BB274_12 Depth=1
	s_or_b64 exec, exec, s[8:9]
.LBB274_11:                             ;   in Loop: Header=BB274_12 Depth=1
	s_or_b64 exec, exec, s[36:37]
	v_cmp_le_u32_e32 vcc, s33, v102
	s_or_b64 s[28:29], vcc, s[28:29]
	s_andn2_b64 exec, exec, s[28:29]
	s_cbranch_execz .LBB274_134
.LBB274_12:                             ; =>This Loop Header: Depth=1
                                        ;     Child Loop BB274_16 Depth 2
                                        ;       Child Loop BB274_21 Depth 3
                                        ;     Child Loop BB274_132 Depth 2
	s_and_b64 vcc, exec, s[2:3]
	v_mov_b32_e32 v9, v1
	v_mov_b32_e32 v8, v1
	s_waitcnt vmcnt(12)
	v_mov_b32_e32 v7, v1
	v_mov_b32_e32 v6, v1
	;; [unrolled: 1-line block ×6, first 2 shown]
	s_waitcnt vmcnt(0)
	v_mov_b32_e32 v17, v1
	v_mov_b32_e32 v16, v1
	;; [unrolled: 1-line block ×56, first 2 shown]
	s_cbranch_vccnz .LBB274_27
; %bb.13:                               ;   in Loop: Header=BB274_12 Depth=1
	v_min_u32_e32 v0, s47, v102
	v_mul_lo_u32 v108, v0, s25
	v_add_u32_e32 v0, 1, v102
	v_min_u32_e32 v0, s47, v0
	v_mul_lo_u32 v110, v0, s25
	v_add_u32_e32 v0, 2, v102
	;; [unrolled: 3-line block ×3, first 2 shown]
	v_min_u32_e32 v0, s47, v0
	v_mov_b32_e32 v22, 0
	v_cmp_gt_u32_e64 s[6:7], s27, v102
	v_mov_b32_e32 v109, v1
	v_mov_b32_e32 v111, v1
	;; [unrolled: 1-line block ×3, first 2 shown]
	v_mul_lo_u32 v114, v0, s25
	v_mov_b32_e32 v115, v1
	s_mov_b32 s36, 0
	s_mov_b32 s37, 0
	v_mov_b32_e32 v23, v22
	v_mov_b32_e32 v24, v22
	;; [unrolled: 1-line block ×63, first 2 shown]
	s_branch .LBB274_16
.LBB274_14:                             ;   in Loop: Header=BB274_16 Depth=2
	s_or_b64 exec, exec, s[10:11]
	s_waitcnt vmcnt(3) lgkmcnt(3)
	v_mfma_f32_4x4x4_16b_bf16 v[66:69], v[98:99], v[74:75], v[66:69]
	s_waitcnt vmcnt(2)
	v_mfma_f32_4x4x4_16b_bf16 v[62:65], v[98:99], v[70:71], v[62:65]
	s_waitcnt vmcnt(1)
	;; [unrolled: 2-line block ×3, first 2 shown]
	v_mfma_f32_4x4x4_16b_bf16 v[54:57], v[98:99], v[78:79], v[54:57]
	s_waitcnt lgkmcnt(2)
	v_mfma_f32_4x4x4_16b_bf16 v[50:53], v[90:91], v[74:75], v[50:53]
	v_mfma_f32_4x4x4_16b_bf16 v[46:49], v[90:91], v[70:71], v[46:49]
	v_mfma_f32_4x4x4_16b_bf16 v[42:45], v[90:91], v[82:83], v[42:45]
	v_mfma_f32_4x4x4_16b_bf16 v[38:41], v[90:91], v[78:79], v[38:41]
	s_waitcnt lgkmcnt(1)
	v_mfma_f32_4x4x4_16b_bf16 v[34:37], v[94:95], v[74:75], v[34:37]
	v_mfma_f32_4x4x4_16b_bf16 v[30:33], v[94:95], v[70:71], v[30:33]
	v_mfma_f32_4x4x4_16b_bf16 v[26:29], v[94:95], v[82:83], v[26:29]
	;; [unrolled: 5-line block ×3, first 2 shown]
	v_mfma_f32_4x4x4_16b_bf16 v[6:9], v[86:87], v[78:79], v[6:9]
	v_mfma_f32_4x4x4_16b_bf16 v[66:69], v[100:101], v[76:77], v[66:69]
	;; [unrolled: 1-line block ×17, first 2 shown]
.LBB274_15:                             ;   in Loop: Header=BB274_16 Depth=2
	s_or_b64 exec, exec, s[8:9]
	s_addk_i32 s37, 0x200
	s_cmp_ge_u32 s37, s24
	s_cbranch_scc1 .LBB274_27
.LBB274_16:                             ;   Parent Loop BB274_12 Depth=1
                                        ; =>  This Loop Header: Depth=2
                                        ;       Child Loop BB274_21 Depth 3
	s_cmp_eq_u32 s37, 0
	s_cselect_b64 s[8:9], -1, 0
	s_add_i32 s10, s36, s44
	s_cmp_eq_u32 s37, s10
	s_cselect_b64 s[12:13], -1, 0
	s_or_b64 s[12:13], s[8:9], s[12:13]
	s_andn2_b64 vcc, exec, s[12:13]
	s_cbranch_vccz .LBB274_18
; %bb.17:                               ;   in Loop: Header=BB274_16 Depth=2
	s_and_saveexec_b64 s[8:9], s[6:7]
	s_cbranch_execz .LBB274_15
	s_branch .LBB274_25
.LBB274_18:                             ;   in Loop: Header=BB274_16 Depth=2
	s_and_b64 s[8:9], s[8:9], exec
	s_cselect_b32 s36, s36, s10
	s_and_b64 vcc, exec, s[4:5]
	s_barrier
	s_cbranch_vccnz .LBB274_24
; %bb.19:                               ;   in Loop: Header=BB274_16 Depth=2
	v_add_u32_e32 v70, s36, v118
	v_add_u32_e32 v71, s36, v106
	;; [unrolled: 1-line block ×4, first 2 shown]
	s_mov_b32 s38, 0
	s_mov_b64 s[10:11], 0
	v_mov_b32_e32 v74, v117
                                        ; implicit-def: $sgpr12_sgpr13
	s_branch .LBB274_21
.LBB274_20:                             ;   in Loop: Header=BB274_21 Depth=3
	s_or_b64 exec, exec, s[8:9]
	s_and_b64 s[8:9], exec, s[12:13]
	s_or_b64 s[10:11], s[8:9], s[10:11]
	s_andn2_b64 exec, exec, s[10:11]
	s_cbranch_execz .LBB274_23
.LBB274_21:                             ;   Parent Loop BB274_12 Depth=1
                                        ;     Parent Loop BB274_16 Depth=2
                                        ; =>    This Inner Loop Header: Depth=3
	v_add_u32_e32 v75, s38, v104
	v_add_u32_e32 v0, s38, v73
	v_cmp_gt_u32_e32 vcc, s26, v0
	v_cmp_gt_u32_e64 s[8:9], s44, v75
	s_and_b64 s[40:41], s[8:9], vcc
	s_or_b64 s[12:13], s[12:13], exec
	s_and_saveexec_b64 s[8:9], s[40:41]
	s_cbranch_execz .LBB274_20
; %bb.22:                               ;   in Loop: Header=BB274_21 Depth=3
	v_lshl_add_u64 v[76:77], v[0:1], 1, s[20:21]
	v_add_u32_e32 v0, s38, v72
	v_lshl_add_u64 v[80:81], v[0:1], 1, s[20:21]
	v_add_u32_e32 v0, s38, v70
	global_load_dwordx4 v[76:79], v[76:77], off
	s_nop 0
	global_load_dwordx4 v[80:83], v[80:81], off
	v_lshl_add_u64 v[84:85], v[0:1], 1, s[20:21]
	v_add_u32_e32 v0, s38, v71
	global_load_dwordx4 v[84:87], v[84:85], off
	v_lshl_add_u64 v[88:89], v[0:1], 1, s[20:21]
	global_load_dwordx4 v[88:91], v[88:89], off
	s_add_i32 s38, s38, s45
	s_cmp_ge_u32 s38, s44
	s_cselect_b64 s[40:41], -1, 0
	s_andn2_b64 s[12:13], s[12:13], exec
	s_and_b64 s[40:41], s[40:41], exec
	v_add_u32_e32 v0, s55, v74
	v_add_u32_e32 v75, s54, v74
	;; [unrolled: 1-line block ×3, first 2 shown]
	s_or_b64 s[12:13], s[12:13], s[40:41]
	s_waitcnt vmcnt(3)
	ds_write_b128 v74, v[76:79]
	v_add_u32_e32 v74, s53, v74
	s_waitcnt vmcnt(2)
	ds_write2_b64 v0, v[80:81], v[82:83] offset1:1
	s_waitcnt vmcnt(1)
	ds_write2_b32 v75, v84, v85 offset1:1
	ds_write2_b32 v75, v86, v87 offset0:2 offset1:3
	s_waitcnt vmcnt(0)
	ds_write2_b64 v92, v[88:89], v[90:91] offset1:1
	s_branch .LBB274_20
.LBB274_23:                             ;   in Loop: Header=BB274_16 Depth=2
	s_or_b64 exec, exec, s[10:11]
.LBB274_24:                             ;   in Loop: Header=BB274_16 Depth=2
	s_waitcnt lgkmcnt(0)
	s_barrier
	s_and_saveexec_b64 s[8:9], s[6:7]
	s_cbranch_execz .LBB274_15
.LBB274_25:                             ;   in Loop: Header=BB274_16 Depth=2
	v_add_u32_e32 v103, s37, v105
	v_min_u32_e32 v0, s46, v103
	v_lshl_add_u64 v[78:79], v[0:1], 1, s[18:19]
	v_lshl_add_u64 v[70:71], v[108:109], 1, v[78:79]
	;; [unrolled: 1-line block ×5, first 2 shown]
	global_load_dwordx4 v[74:77], v[70:71], off nt
	s_nop 0
	global_load_dwordx4 v[70:73], v[72:73], off nt
	s_nop 0
	;; [unrolled: 2-line block ×3, first 2 shown]
	global_load_dwordx4 v[78:81], v[78:79], off nt
	v_cmp_gt_u32_e32 vcc, s24, v103
	v_mov_b32_e32 v88, 0
	v_mov_b32_e32 v89, 0
	;; [unrolled: 1-line block ×16, first 2 shown]
	s_and_saveexec_b64 s[10:11], vcc
	s_cbranch_execz .LBB274_14
; %bb.26:                               ;   in Loop: Header=BB274_16 Depth=2
	v_subrev_u32_e32 v0, s36, v103
	v_lshlrev_b32_e32 v0, 1, v0
	v_add_u32_e32 v86, s55, v0
	ds_read_b128 v[98:101], v0
	ds_read_b128 v[90:93], v86
	v_add_u32_e32 v0, s55, v86
	v_add_u32_e32 v86, s55, v0
	ds_read_b128 v[94:97], v0
	ds_read_b128 v[86:89], v86
	s_branch .LBB274_14
.LBB274_27:                             ;   in Loop: Header=BB274_12 Depth=1
	v_cmp_le_u32_e32 vcc, s27, v102
	s_and_saveexec_b64 s[6:7], vcc
	s_xor_b64 s[6:7], exec, s[6:7]
; %bb.28:                               ;   in Loop: Header=BB274_12 Depth=1
	v_add_u32_e32 v102, s48, v102
                                        ; implicit-def: $vgpr9
                                        ; implicit-def: $vgpr13
                                        ; implicit-def: $vgpr17
                                        ; implicit-def: $vgpr21
                                        ; implicit-def: $vgpr69
                                        ; implicit-def: $vgpr65
                                        ; implicit-def: $vgpr61
                                        ; implicit-def: $vgpr57
                                        ; implicit-def: $vgpr53
                                        ; implicit-def: $vgpr49
                                        ; implicit-def: $vgpr45
                                        ; implicit-def: $vgpr41
                                        ; implicit-def: $vgpr37
                                        ; implicit-def: $vgpr33
                                        ; implicit-def: $vgpr29
                                        ; implicit-def: $vgpr25
; %bb.29:                               ;   in Loop: Header=BB274_12 Depth=1
	s_andn2_saveexec_b64 s[36:37], s[6:7]
	s_cbranch_execz .LBB274_11
; %bb.30:                               ;   in Loop: Header=BB274_12 Depth=1
	v_cvt_i32_f32_e32 v0, v67
	v_cvt_i32_f32_e32 v67, v68
	;; [unrolled: 1-line block ×4, first 2 shown]
	v_cvt_f32_i32_dpp v0, v0 row_shl:1 row_mask:0xf bank_mask:0xf bound_ctrl:1
	v_cvt_f32_i32_dpp v67, v67 row_shl:2 row_mask:0xf bank_mask:0xf bound_ctrl:1
	v_cvt_i32_f32_e32 v64, v64
	v_cvt_f32_i32_dpp v68, v68 row_shl:3 row_mask:0xf bank_mask:0xf bound_ctrl:1
	v_cvt_i32_f32_e32 v65, v65
	v_add_f32_e32 v0, v66, v0
	v_cvt_f32_i32_dpp v63, v63 row_shl:1 row_mask:0xf bank_mask:0xf bound_ctrl:1
	v_add_f32_e32 v0, v0, v67
	v_cvt_f32_i32_dpp v64, v64 row_shl:2 row_mask:0xf bank_mask:0xf bound_ctrl:1
	;; [unrolled: 2-line block ×3, first 2 shown]
	v_cvt_i32_f32_e32 v66, v0
	v_add_f32_e32 v62, v62, v63
	v_add_f32_e32 v62, v62, v64
	v_add_f32_e32 v62, v62, v65
	v_cvt_f32_i32_dpp v66, v66 row_shl:4 row_mask:0xf bank_mask:0xf bound_ctrl:1
	v_cvt_i32_f32_e32 v63, v62
	v_cvt_i32_f32_e32 v59, v59
	;; [unrolled: 1-line block ×3, first 2 shown]
	v_add_f32_e32 v0, v0, v66
	v_cvt_f32_i32_dpp v63, v63 row_shl:4 row_mask:0xf bank_mask:0xf bound_ctrl:1
	v_cvt_i32_f32_e32 v64, v0
	v_cvt_i32_f32_e32 v61, v61
	v_cvt_f32_i32_dpp v59, v59 row_shl:1 row_mask:0xf bank_mask:0xf bound_ctrl:1
	v_add_f32_e32 v62, v62, v63
	v_cvt_f32_i32_dpp v64, v64 row_shl:8 row_mask:0xf bank_mask:0xf bound_ctrl:1
	v_cvt_i32_f32_e32 v63, v62
	v_cvt_f32_i32_dpp v60, v60 row_shl:2 row_mask:0xf bank_mask:0xf bound_ctrl:1
	v_cvt_f32_i32_dpp v61, v61 row_shl:3 row_mask:0xf bank_mask:0xf bound_ctrl:1
	v_add_f32_e32 v0, v0, v64
	v_cvt_f32_i32_dpp v63, v63 row_shl:8 row_mask:0xf bank_mask:0xf bound_ctrl:1
	v_cvt_i32_f32_e32 v0, v0
	v_add_f32_e32 v58, v58, v59
	v_add_f32_e32 v58, v58, v60
	;; [unrolled: 1-line block ×3, first 2 shown]
	v_cvt_f32_i32_dpp v0, v0 row_shr:15 row_mask:0xf bank_mask:0xf bound_ctrl:1
	v_cvt_i32_f32_e32 v62, v62
	v_cvt_i32_f32_e32 v55, v55
	v_add_f32_e32 v58, v58, v61
	v_cvt_i32_f32_e32 v56, v56
	v_cvt_i32_f32_e32 v59, v58
	;; [unrolled: 1-line block ×4, first 2 shown]
	v_cvt_f32_i32_dpp v61, v62 row_shr:15 row_mask:0xf bank_mask:0xf bound_ctrl:1
	v_cvt_f32_i32_dpp v55, v55 row_shl:1 row_mask:0xf bank_mask:0xf bound_ctrl:1
	v_cvt_f32_i32_dpp v56, v56 row_shl:2 row_mask:0xf bank_mask:0xf bound_ctrl:1
	;; [unrolled: 1-line block ×4, first 2 shown]
	v_cvt_f32_i32_dpp v60, v60 row_bcast:15 row_mask:0xf bank_mask:0xf bound_ctrl:1
	v_cvt_i32_f32_e32 v62, v61
	v_add_f32_e32 v54, v54, v55
	v_cvt_i32_f32_e32 v51, v51
	v_add_f32_e32 v54, v54, v56
	;; [unrolled: 2-line block ×3, first 2 shown]
	v_add_f32_e32 v57, v54, v57
	v_cvt_i32_f32_e32 v53, v53
	v_cvt_i32_f32_e32 v63, v59
	v_add_f32_e32 v58, v0, v60
	v_cvt_f32_i32_dpp v60, v62 row_bcast:15 row_mask:0xf bank_mask:0xf bound_ctrl:1
	v_cvt_i32_f32_e32 v55, v57
	v_cvt_f32_i32_dpp v51, v51 row_shl:1 row_mask:0xf bank_mask:0xf bound_ctrl:1
	v_cvt_f32_i32_dpp v52, v52 row_shl:2 row_mask:0xf bank_mask:0xf bound_ctrl:1
	;; [unrolled: 1-line block ×4, first 2 shown]
	v_add_f32_e32 v54, v61, v60
	v_cvt_f32_i32_dpp v61, v55 row_shl:4 row_mask:0xf bank_mask:0xf bound_ctrl:1
	v_cvt_i32_f32_e32 v60, v54
	v_add_f32_e32 v50, v50, v51
	v_add_f32_e32 v50, v50, v52
	;; [unrolled: 1-line block ×5, first 2 shown]
	v_cvt_i32_f32_e32 v50, v51
	v_cvt_i32_f32_e32 v59, v59
	v_mov_b32_dpp v55, v60 row_bcast:31 row_mask:0xf bank_mask:0xf bound_ctrl:1
	v_cvt_i32_f32_e32 v60, v57
	v_cvt_i32_f32_e32 v47, v47
	v_cvt_f32_i32_dpp v53, v50 row_shl:4 row_mask:0xf bank_mask:0xf bound_ctrl:1
	v_cvt_i32_f32_e32 v48, v48
	v_cvt_i32_f32_e32 v0, v58
	v_cvt_f32_i32_dpp v59, v59 row_shr:15 row_mask:0xf bank_mask:0xf bound_ctrl:1
	v_cvt_f32_i32_dpp v60, v60 row_shl:8 row_mask:0xf bank_mask:0xf bound_ctrl:1
	v_cvt_i32_f32_e32 v49, v49
	v_cvt_f32_i32_dpp v47, v47 row_shl:1 row_mask:0xf bank_mask:0xf bound_ctrl:1
	v_add_f32_e32 v51, v51, v53
	v_cvt_f32_i32_dpp v48, v48 row_shl:2 row_mask:0xf bank_mask:0xf bound_ctrl:1
	v_mov_b32_dpp v56, v0 row_bcast:31 row_mask:0xf bank_mask:0xf bound_ctrl:1
	v_cvt_i32_f32_e32 v0, v59
	v_add_f32_e32 v52, v57, v60
	v_cvt_i32_f32_e32 v53, v51
	v_cvt_f32_i32_dpp v49, v49 row_shl:3 row_mask:0xf bank_mask:0xf bound_ctrl:1
	v_cvt_i32_f32_e32 v52, v52
	v_add_f32_e32 v46, v46, v47
	v_add_f32_e32 v46, v46, v48
	v_cvt_f32_i32_dpp v0, v0 row_bcast:15 row_mask:0xf bank_mask:0xf bound_ctrl:1
	v_cvt_f32_i32_dpp v53, v53 row_shl:8 row_mask:0xf bank_mask:0xf bound_ctrl:1
	v_add_f32_e32 v46, v46, v49
	v_cvt_f32_i32_dpp v52, v52 row_shr:15 row_mask:0xf bank_mask:0xf bound_ctrl:1
	v_cvt_i32_f32_e32 v47, v46
	v_add_f32_e32 v50, v59, v0
	v_add_f32_e32 v49, v51, v53
	v_cvt_i32_f32_e32 v0, v50
	v_cvt_i32_f32_e32 v48, v52
	;; [unrolled: 1-line block ×3, first 2 shown]
	v_cvt_f32_i32_dpp v51, v47 row_shl:4 row_mask:0xf bank_mask:0xf bound_ctrl:1
	v_cvt_i32_f32_e32 v43, v43
	v_mov_b32_dpp v47, v0 row_bcast:31 row_mask:0xf bank_mask:0xf bound_ctrl:1
	v_cvt_f32_i32_dpp v0, v48 row_bcast:15 row_mask:0xf bank_mask:0xf bound_ctrl:1
	v_cvt_f32_i32_dpp v48, v49 row_shr:15 row_mask:0xf bank_mask:0xf bound_ctrl:1
	v_add_f32_e32 v49, v46, v51
	v_cvt_i32_f32_e32 v44, v44
	v_cvt_i32_f32_e32 v51, v49
	;; [unrolled: 1-line block ×3, first 2 shown]
	v_cvt_f32_i32_dpp v43, v43 row_shl:1 row_mask:0xf bank_mask:0xf bound_ctrl:1
	v_cvt_f32_i32_dpp v44, v44 row_shl:2 row_mask:0xf bank_mask:0xf bound_ctrl:1
	v_cvt_f32_i32_dpp v51, v51 row_shl:8 row_mask:0xf bank_mask:0xf bound_ctrl:1
	v_cvt_f32_i32_dpp v45, v45 row_shl:3 row_mask:0xf bank_mask:0xf bound_ctrl:1
	v_add_f32_e32 v42, v42, v43
	v_add_f32_e32 v42, v42, v44
	v_cvt_i32_f32_e32 v39, v39
	v_add_f32_e32 v46, v52, v0
	v_add_f32_e32 v49, v49, v51
	v_add_f32_e32 v44, v42, v45
	v_cvt_i32_f32_e32 v40, v40
	v_cvt_i32_f32_e32 v0, v46
	v_cvt_i32_f32_e32 v49, v49
	v_cvt_i32_f32_e32 v42, v44
	v_cvt_i32_f32_e32 v41, v41
	v_cvt_i32_f32_e32 v52, v48
	v_cvt_f32_i32_dpp v39, v39 row_shl:1 row_mask:0xf bank_mask:0xf bound_ctrl:1
	v_cvt_f32_i32_dpp v40, v40 row_shl:2 row_mask:0xf bank_mask:0xf bound_ctrl:1
	v_mov_b32_dpp v43, v0 row_bcast:31 row_mask:0xf bank_mask:0xf bound_ctrl:1
	v_cvt_f32_i32_dpp v0, v49 row_shr:15 row_mask:0xf bank_mask:0xf bound_ctrl:1
	v_cvt_f32_i32_dpp v49, v42 row_shl:4 row_mask:0xf bank_mask:0xf bound_ctrl:1
	v_cvt_f32_i32_dpp v41, v41 row_shl:3 row_mask:0xf bank_mask:0xf bound_ctrl:1
	v_cvt_f32_i32_dpp v45, v52 row_bcast:15 row_mask:0xf bank_mask:0xf bound_ctrl:1
	v_add_f32_e32 v38, v38, v39
	v_add_f32_e32 v38, v38, v40
	;; [unrolled: 1-line block ×5, first 2 shown]
	v_cvt_i32_f32_e32 v48, v0
	v_cvt_i32_f32_e32 v49, v44
	;; [unrolled: 1-line block ×4, first 2 shown]
	v_cvt_f32_i32_dpp v41, v48 row_bcast:15 row_mask:0xf bank_mask:0xf bound_ctrl:1
	v_cvt_f32_i32_dpp v49, v49 row_shl:8 row_mask:0xf bank_mask:0xf bound_ctrl:1
	v_cvt_f32_i32_dpp v48, v38 row_shl:4 row_mask:0xf bank_mask:0xf bound_ctrl:1
	v_cvt_i32_f32_e32 v36, v36
	v_cvt_i32_f32_e32 v37, v37
	v_cvt_f32_i32_dpp v35, v35 row_shl:1 row_mask:0xf bank_mask:0xf bound_ctrl:1
	v_add_f32_e32 v39, v44, v49
	v_add_f32_e32 v40, v40, v48
	v_cvt_f32_i32_dpp v36, v36 row_shl:2 row_mask:0xf bank_mask:0xf bound_ctrl:1
	v_cvt_i32_f32_e32 v44, v39
	v_add_f32_e32 v38, v0, v41
	v_cvt_i32_f32_e32 v41, v40
	v_cvt_f32_i32_dpp v37, v37 row_shl:3 row_mask:0xf bank_mask:0xf bound_ctrl:1
	v_add_f32_e32 v34, v34, v35
	v_add_f32_e32 v34, v34, v36
	v_cvt_f32_i32_dpp v0, v44 row_shr:15 row_mask:0xf bank_mask:0xf bound_ctrl:1
	v_cvt_f32_i32_dpp v41, v41 row_shl:8 row_mask:0xf bank_mask:0xf bound_ctrl:1
	v_add_f32_e32 v34, v34, v37
	v_cvt_i32_f32_e32 v35, v34
	v_cvt_i32_f32_e32 v36, v0
	v_add_f32_e32 v37, v40, v41
	v_cvt_i32_f32_e32 v37, v37
	v_cvt_f32_i32_dpp v35, v35 row_shl:4 row_mask:0xf bank_mask:0xf bound_ctrl:1
	v_cvt_i32_f32_e32 v31, v31
	v_cvt_f32_i32_dpp v36, v36 row_bcast:15 row_mask:0xf bank_mask:0xf bound_ctrl:1
	v_cvt_i32_f32_e32 v32, v32
	v_cvt_f32_i32_dpp v37, v37 row_shr:15 row_mask:0xf bank_mask:0xf bound_ctrl:1
	v_add_f32_e32 v41, v34, v35
	v_cvt_i32_f32_e32 v33, v33
	v_cvt_i32_f32_e32 v45, v42
	;; [unrolled: 1-line block ×3, first 2 shown]
	v_cvt_f32_i32_dpp v31, v31 row_shl:1 row_mask:0xf bank_mask:0xf bound_ctrl:1
	v_cvt_i32_f32_e32 v27, v27
	v_add_f32_e32 v34, v0, v36
	v_cvt_f32_i32_dpp v32, v32 row_shl:2 row_mask:0xf bank_mask:0xf bound_ctrl:1
	v_cvt_i32_f32_e32 v28, v28
	v_cvt_i32_f32_e32 v0, v34
	;; [unrolled: 1-line block ×3, first 2 shown]
	v_cvt_f32_i32_dpp v33, v33 row_shl:3 row_mask:0xf bank_mask:0xf bound_ctrl:1
	v_cvt_i32_f32_e32 v29, v29
	v_mov_b32_dpp v39, v45 row_bcast:31 row_mask:0xf bank_mask:0xf bound_ctrl:1
	v_cvt_i32_f32_e32 v40, v38
	v_cvt_f32_i32_dpp v45, v35 row_shl:8 row_mask:0xf bank_mask:0xf bound_ctrl:1
	v_add_f32_e32 v30, v30, v31
	v_cvt_f32_i32_dpp v27, v27 row_shl:1 row_mask:0xf bank_mask:0xf bound_ctrl:1
	v_add_f32_e32 v30, v30, v32
	v_cvt_f32_i32_dpp v28, v28 row_shl:2 row_mask:0xf bank_mask:0xf bound_ctrl:1
	v_mov_b32_dpp v35, v0 row_bcast:31 row_mask:0xf bank_mask:0xf bound_ctrl:1
	v_cvt_f32_i32_dpp v0, v44 row_bcast:15 row_mask:0xf bank_mask:0xf bound_ctrl:1
	v_add_f32_e32 v31, v30, v33
	v_cvt_f32_i32_dpp v29, v29 row_shl:3 row_mask:0xf bank_mask:0xf bound_ctrl:1
	v_mov_b32_dpp v36, v40 row_bcast:31 row_mask:0xf bank_mask:0xf bound_ctrl:1
	v_add_f32_e32 v40, v41, v45
	v_cvt_i32_f32_e32 v32, v31
	v_cvt_i32_f32_e32 v40, v40
	v_add_f32_e32 v26, v26, v27
	v_add_f32_e32 v26, v26, v28
	v_cvt_i32_f32_e32 v23, v23
	v_add_f32_e32 v30, v37, v0
	v_add_f32_e32 v28, v26, v29
	v_cvt_i32_f32_e32 v24, v24
	v_cvt_i32_f32_e32 v0, v30
	v_cvt_f32_i32_dpp v32, v32 row_shl:4 row_mask:0xf bank_mask:0xf bound_ctrl:1
	v_cvt_i32_f32_e32 v26, v28
	v_cvt_i32_f32_e32 v25, v25
	v_cvt_f32_i32_dpp v40, v40 row_shr:15 row_mask:0xf bank_mask:0xf bound_ctrl:1
	v_cvt_f32_i32_dpp v23, v23 row_shl:1 row_mask:0xf bank_mask:0xf bound_ctrl:1
	v_cvt_f32_i32_dpp v24, v24 row_shl:2 row_mask:0xf bank_mask:0xf bound_ctrl:1
	v_add_f32_e32 v31, v31, v32
	v_mov_b32_dpp v27, v0 row_bcast:31 row_mask:0xf bank_mask:0xf bound_ctrl:1
	v_cvt_f32_i32_dpp v0, v26 row_shl:4 row_mask:0xf bank_mask:0xf bound_ctrl:1
	v_cvt_f32_i32_dpp v25, v25 row_shl:3 row_mask:0xf bank_mask:0xf bound_ctrl:1
	v_cvt_i32_f32_e32 v33, v40
	v_cvt_i32_f32_e32 v32, v31
	v_add_f32_e32 v22, v22, v23
	v_add_f32_e32 v22, v22, v24
	;; [unrolled: 1-line block ×4, first 2 shown]
	v_cvt_f32_i32_dpp v29, v33 row_bcast:15 row_mask:0xf bank_mask:0xf bound_ctrl:1
	v_cvt_f32_i32_dpp v32, v32 row_shl:8 row_mask:0xf bank_mask:0xf bound_ctrl:1
	v_cvt_i32_f32_e32 v28, v0
	v_cvt_i32_f32_e32 v23, v22
	v_add_f32_e32 v26, v40, v29
	v_add_f32_e32 v29, v31, v32
	v_cvt_f32_i32_dpp v28, v28 row_shl:8 row_mask:0xf bank_mask:0xf bound_ctrl:1
	v_cvt_f32_i32_dpp v23, v23 row_shl:4 row_mask:0xf bank_mask:0xf bound_ctrl:1
	v_cvt_i32_f32_e32 v29, v29
	v_cvt_i32_f32_e32 v19, v19
	v_add_f32_e32 v0, v0, v28
	v_add_f32_e32 v23, v22, v23
	v_cvt_f32_i32_dpp v25, v29 row_shr:15 row_mask:0xf bank_mask:0xf bound_ctrl:1
	v_cvt_i32_f32_e32 v0, v0
	v_cvt_i32_f32_e32 v22, v23
	;; [unrolled: 1-line block ×5, first 2 shown]
	v_cvt_f32_i32_dpp v0, v0 row_shr:15 row_mask:0xf bank_mask:0xf bound_ctrl:1
	v_cvt_f32_i32_dpp v31, v22 row_shl:8 row_mask:0xf bank_mask:0xf bound_ctrl:1
	v_cvt_f32_i32_dpp v19, v19 row_shl:1 row_mask:0xf bank_mask:0xf bound_ctrl:1
	v_cvt_i32_f32_e32 v15, v15
	v_cvt_f32_i32_dpp v20, v20 row_shl:2 row_mask:0xf bank_mask:0xf bound_ctrl:1
	v_cvt_i32_f32_e32 v16, v16
	;; [unrolled: 2-line block ×3, first 2 shown]
	v_cvt_i32_f32_e32 v11, v11
	v_cvt_f32_i32_dpp v28, v28 row_bcast:15 row_mask:0xf bank_mask:0xf bound_ctrl:1
	v_cvt_i32_f32_e32 v29, v0
	v_add_f32_e32 v23, v23, v31
	v_cvt_i32_f32_e32 v23, v23
	v_add_f32_e32 v18, v18, v19
	v_cvt_f32_i32_dpp v15, v15 row_shl:1 row_mask:0xf bank_mask:0xf bound_ctrl:1
	v_cvt_i32_f32_e32 v7, v7
	v_add_f32_e32 v18, v18, v20
	v_cvt_f32_i32_dpp v16, v16 row_shl:2 row_mask:0xf bank_mask:0xf bound_ctrl:1
	v_cvt_i32_f32_e32 v12, v12
	v_cvt_i32_f32_e32 v8, v8
	v_add_f32_e32 v20, v18, v21
	v_cvt_f32_i32_dpp v17, v17 row_shl:3 row_mask:0xf bank_mask:0xf bound_ctrl:1
	v_cvt_f32_i32_dpp v11, v11 row_shl:1 row_mask:0xf bank_mask:0xf bound_ctrl:1
	v_cvt_i32_f32_e32 v13, v13
	v_cvt_i32_f32_e32 v9, v9
	v_add_f32_e32 v22, v25, v28
	v_cvt_f32_i32_dpp v28, v29 row_bcast:15 row_mask:0xf bank_mask:0xf bound_ctrl:1
	v_cvt_i32_f32_e32 v18, v20
	v_cvt_f32_i32_dpp v23, v23 row_shr:15 row_mask:0xf bank_mask:0xf bound_ctrl:1
	v_add_f32_e32 v14, v14, v15
	v_cvt_f32_i32_dpp v7, v7 row_shl:1 row_mask:0xf bank_mask:0xf bound_ctrl:1
	v_add_f32_e32 v14, v14, v16
	v_cvt_f32_i32_dpp v12, v12 row_shl:2 row_mask:0xf bank_mask:0xf bound_ctrl:1
	v_cvt_f32_i32_dpp v8, v8 row_shl:2 row_mask:0xf bank_mask:0xf bound_ctrl:1
	v_add_f32_e32 v15, v14, v17
	v_add_f32_e32 v10, v10, v11
	v_cvt_f32_i32_dpp v11, v13 row_shl:3 row_mask:0xf bank_mask:0xf bound_ctrl:1
	v_cvt_f32_i32_dpp v9, v9 row_shl:3 row_mask:0xf bank_mask:0xf bound_ctrl:1
	v_add_f32_e32 v19, v0, v28
	v_cvt_f32_i32_dpp v0, v18 row_shl:4 row_mask:0xf bank_mask:0xf bound_ctrl:1
	v_cvt_i32_f32_e32 v16, v15
	v_cvt_i32_f32_e32 v25, v22
	;; [unrolled: 1-line block ×3, first 2 shown]
	v_add_f32_e32 v6, v6, v7
	v_add_f32_e32 v10, v10, v12
	;; [unrolled: 1-line block ×6, first 2 shown]
	v_cvt_f32_i32_dpp v16, v16 row_shl:4 row_mask:0xf bank_mask:0xf bound_ctrl:1
	v_cvt_i32_f32_e32 v11, v10
	v_cvt_i32_f32_e32 v7, v6
	v_mov_b32_dpp v21, v25 row_bcast:31 row_mask:0xf bank_mask:0xf bound_ctrl:1
	v_cvt_f32_i32_dpp v25, v29 row_bcast:15 row_mask:0xf bank_mask:0xf bound_ctrl:1
	v_cvt_i32_f32_e32 v20, v0
	v_add_f32_e32 v15, v15, v16
	v_cvt_f32_i32_dpp v9, v11 row_shl:4 row_mask:0xf bank_mask:0xf bound_ctrl:1
	v_cvt_f32_i32_dpp v7, v7 row_shl:4 row_mask:0xf bank_mask:0xf bound_ctrl:1
	v_add_f32_e32 v18, v23, v25
	v_cvt_f32_i32_dpp v25, v20 row_shl:8 row_mask:0xf bank_mask:0xf bound_ctrl:1
	v_cvt_i32_f32_e32 v16, v15
	v_add_f32_e32 v9, v10, v9
	v_add_f32_e32 v6, v6, v7
	v_add_f32_e32 v0, v0, v25
	v_cvt_f32_i32_dpp v8, v16 row_shl:8 row_mask:0xf bank_mask:0xf bound_ctrl:1
	v_cvt_i32_f32_e32 v10, v9
	v_cvt_i32_f32_e32 v7, v6
	;; [unrolled: 1-line block ×3, first 2 shown]
	v_add_f32_e32 v8, v15, v8
	v_cvt_f32_i32_dpp v10, v10 row_shl:8 row_mask:0xf bank_mask:0xf bound_ctrl:1
	v_cvt_f32_i32_dpp v7, v7 row_shl:8 row_mask:0xf bank_mask:0xf bound_ctrl:1
	v_cvt_f32_i32_dpp v0, v0 row_shr:15 row_mask:0xf bank_mask:0xf bound_ctrl:1
	v_cvt_i32_f32_e32 v8, v8
	v_add_f32_e32 v9, v9, v10
	v_add_f32_e32 v6, v6, v7
	v_cvt_i32_f32_e32 v11, v0
	v_cvt_f32_i32_dpp v8, v8 row_shr:15 row_mask:0xf bank_mask:0xf bound_ctrl:1
	v_cvt_i32_f32_e32 v9, v9
	v_cvt_i32_f32_e32 v6, v6
	v_cvt_f32_i32_dpp v7, v11 row_bcast:15 row_mask:0xf bank_mask:0xf bound_ctrl:1
	v_cvt_i32_f32_e32 v10, v8
	v_cvt_f32_i32_dpp v9, v9 row_shr:15 row_mask:0xf bank_mask:0xf bound_ctrl:1
	v_cvt_f32_i32_dpp v6, v6 row_shr:15 row_mask:0xf bank_mask:0xf bound_ctrl:1
	v_add_f32_e32 v15, v0, v7
	v_cvt_f32_i32_dpp v7, v10 row_bcast:15 row_mask:0xf bank_mask:0xf bound_ctrl:1
	v_cvt_i32_f32_e32 v0, v9
	v_cvt_i32_f32_e32 v10, v6
	;; [unrolled: 1-line block ×3, first 2 shown]
	v_add_f32_e32 v12, v8, v7
	v_cvt_f32_i32_dpp v0, v0 row_bcast:15 row_mask:0xf bank_mask:0xf bound_ctrl:1
	v_cvt_f32_i32_dpp v7, v10 row_bcast:15 row_mask:0xf bank_mask:0xf bound_ctrl:1
	v_cvt_i32_f32_e32 v28, v19
	v_cvt_i32_f32_e32 v23, v18
	v_add_f32_e32 v10, v9, v0
	v_add_f32_e32 v8, v6, v7
	v_cvt_i32_f32_e32 v11, v15
	v_cvt_i32_f32_e32 v13, v12
	;; [unrolled: 1-line block ×4, first 2 shown]
	v_mov_b32_dpp v24, v24 row_bcast:31 row_mask:0xf bank_mask:0xf bound_ctrl:1
	v_mov_b32_dpp v20, v28 row_bcast:31 row_mask:0xf bank_mask:0xf bound_ctrl:1
	;; [unrolled: 1-line block ×7, first 2 shown]
	s_and_saveexec_b64 s[38:39], s[0:1]
	s_cbranch_execz .LBB274_129
; %bb.31:                               ;   in Loop: Header=BB274_12 Depth=1
	s_andn2_b64 vcc, exec, s[30:31]
	v_mov_b32_e32 v49, 0
	v_add_u32_e32 v0, 2, v102
	v_add_u32_e32 v6, 3, v102
	v_mov_b32_e32 v48, 0
	v_mov_b32_e32 v45, 0
	;; [unrolled: 1-line block ×15, first 2 shown]
	s_cbranch_vccnz .LBB274_33
; %bb.32:                               ;   in Loop: Header=BB274_12 Depth=1
	v_mul_hi_u32 v7, v102, v116
	v_mul_lo_u32 v7, v7, s16
	v_sub_u32_e32 v7, v102, v7
	v_subrev_u32_e32 v17, s16, v7
	v_cmp_le_u32_e32 vcc, s16, v7
	v_mov_b32_e32 v49, v1
	v_mov_b32_e32 v29, v1
	v_cndmask_b32_e32 v7, v7, v17, vcc
	v_subrev_u32_e32 v17, s16, v7
	v_cmp_le_u32_e32 vcc, s16, v7
	v_mov_b32_e32 v53, v1
	v_mov_b32_e32 v61, v1
	v_cndmask_b32_e32 v28, v7, v17, vcc
	v_add_u32_e32 v7, 1, v102
	v_mul_hi_u32 v17, v7, v116
	v_mul_lo_u32 v17, v17, s16
	v_sub_u32_e32 v7, v7, v17
	v_subrev_u32_e32 v17, s16, v7
	v_cmp_le_u32_e32 vcc, s16, v7
	v_add_u32_e32 v48, s49, v28
	v_lshl_add_u64 v[66:67], v[48:49], 1, s[22:23]
	v_cndmask_b32_e32 v7, v7, v17, vcc
	v_subrev_u32_e32 v17, s16, v7
	v_cmp_le_u32_e32 vcc, s16, v7
	v_lshl_add_u64 v[32:33], v[28:29], 1, s[22:23]
	v_mov_b32_e32 v63, v1
	v_cndmask_b32_e32 v52, v7, v17, vcc
	v_mul_hi_u32 v7, v0, v116
	v_mul_lo_u32 v7, v7, s16
	v_sub_u32_e32 v7, v0, v7
	v_subrev_u32_e32 v17, s16, v7
	v_cmp_le_u32_e32 vcc, s16, v7
	v_add_u32_e32 v48, s49, v52
	v_lshl_add_u64 v[68:69], v[48:49], 1, s[22:23]
	v_cndmask_b32_e32 v7, v7, v17, vcc
	v_subrev_u32_e32 v17, s16, v7
	v_cmp_le_u32_e32 vcc, s16, v7
	v_lshl_add_u64 v[40:41], v[52:53], 1, s[22:23]
	s_nop 0
	v_cndmask_b32_e32 v60, v7, v17, vcc
	v_mul_hi_u32 v7, v6, v116
	v_mul_lo_u32 v7, v7, s16
	v_sub_u32_e32 v7, v6, v7
	v_subrev_u32_e32 v17, s16, v7
	v_cmp_le_u32_e32 vcc, s16, v7
	v_add_u32_e32 v48, s49, v60
	v_lshl_add_u64 v[44:45], v[60:61], 1, s[22:23]
	v_cndmask_b32_e32 v7, v7, v17, vcc
	v_subrev_u32_e32 v17, s16, v7
	v_cmp_le_u32_e32 vcc, s16, v7
	v_lshl_add_u64 v[70:71], v[48:49], 1, s[22:23]
	s_nop 0
	v_cndmask_b32_e32 v62, v7, v17, vcc
	v_add_u32_e32 v48, s49, v62
	v_lshl_add_u64 v[64:65], v[62:63], 1, s[22:23]
	v_lshl_add_u64 v[72:73], v[48:49], 1, s[22:23]
	global_load_ushort v49, v[32:33], off
	global_load_ushort v48, v[40:41], off
	s_nop 0
	global_load_ushort v45, v[44:45], off
	s_nop 0
	global_load_ushort v7, v[64:65], off
	global_load_ushort v44, v[66:67], off
	;; [unrolled: 1-line block ×4, first 2 shown]
                                        ; kill: killed $vgpr68_vgpr69
                                        ; kill: killed $vgpr70_vgpr71
	global_load_ushort v37, v[72:73], off
	v_add_u32_e32 v32, s50, v28
	v_add_u32_e32 v28, s51, v28
	v_lshl_add_u64 v[70:71], v[28:29], 1, s[22:23]
	v_add_u32_e32 v28, s51, v52
	v_mov_b32_e32 v33, v1
	v_add_u32_e32 v64, s50, v52
	v_lshl_add_u64 v[52:53], v[28:29], 1, s[22:23]
	v_add_u32_e32 v28, s51, v60
	v_lshl_add_u64 v[32:33], v[32:33], 1, s[22:23]
	v_mov_b32_e32 v65, v1
	v_add_u32_e32 v66, s50, v60
	v_mov_b32_e32 v67, v1
	v_add_u32_e32 v68, s50, v62
	v_mov_b32_e32 v69, v1
	v_lshl_add_u64 v[60:61], v[28:29], 1, s[22:23]
	v_add_u32_e32 v28, s51, v62
	v_lshl_add_u64 v[64:65], v[64:65], 1, s[22:23]
	v_lshl_add_u64 v[66:67], v[66:67], 1, s[22:23]
	;; [unrolled: 1-line block ×4, first 2 shown]
	global_load_ushort v33, v[32:33], off
	s_nop 0
	global_load_ushort v32, v[64:65], off
	global_load_ushort v31, v[66:67], off
	;; [unrolled: 1-line block ×7, first 2 shown]
.LBB274_33:                             ;   in Loop: Header=BB274_12 Depth=1
	v_cmp_ne_u32_e32 vcc, 0, v2
	s_and_saveexec_b64 s[8:9], vcc
	s_cbranch_execnz .LBB274_49
; %bb.34:                               ;   in Loop: Header=BB274_12 Depth=1
	s_or_b64 exec, exec, s[8:9]
	v_cmp_ne_u32_e64 s[6:7], 0, v3
	s_and_saveexec_b64 s[10:11], s[6:7]
	s_cbranch_execnz .LBB274_54
.LBB274_35:                             ;   in Loop: Header=BB274_12 Depth=1
	s_or_b64 exec, exec, s[10:11]
	v_cmp_ne_u32_e64 s[8:9], 0, v4
	s_and_saveexec_b64 s[12:13], s[8:9]
	s_cbranch_execnz .LBB274_59
.LBB274_36:                             ;   in Loop: Header=BB274_12 Depth=1
	s_or_b64 exec, exec, s[12:13]
	v_cmp_ne_u32_e64 s[10:11], 0, v5
	s_and_saveexec_b64 s[40:41], s[10:11]
	s_cbranch_execnz .LBB274_64
.LBB274_37:                             ;   in Loop: Header=BB274_12 Depth=1
	s_or_b64 exec, exec, s[40:41]
	v_add_u32_e32 v0, s27, v102
	s_and_saveexec_b64 s[40:41], vcc
	s_cbranch_execnz .LBB274_69
.LBB274_38:                             ;   in Loop: Header=BB274_12 Depth=1
	s_or_b64 exec, exec, s[40:41]
	s_and_saveexec_b64 s[40:41], s[6:7]
	s_cbranch_execnz .LBB274_74
.LBB274_39:                             ;   in Loop: Header=BB274_12 Depth=1
	s_or_b64 exec, exec, s[40:41]
	s_and_saveexec_b64 s[40:41], s[8:9]
	s_cbranch_execnz .LBB274_79
.LBB274_40:                             ;   in Loop: Header=BB274_12 Depth=1
	s_or_b64 exec, exec, s[40:41]
	s_and_saveexec_b64 s[40:41], s[10:11]
	s_cbranch_execnz .LBB274_84
.LBB274_41:                             ;   in Loop: Header=BB274_12 Depth=1
	s_or_b64 exec, exec, s[40:41]
	v_add_u32_e32 v0, s27, v0
	s_and_saveexec_b64 s[40:41], vcc
	s_cbranch_execnz .LBB274_89
.LBB274_42:                             ;   in Loop: Header=BB274_12 Depth=1
	s_or_b64 exec, exec, s[40:41]
	s_and_saveexec_b64 s[40:41], s[6:7]
	s_cbranch_execnz .LBB274_94
.LBB274_43:                             ;   in Loop: Header=BB274_12 Depth=1
	s_or_b64 exec, exec, s[40:41]
	s_and_saveexec_b64 s[40:41], s[8:9]
	s_cbranch_execnz .LBB274_99
.LBB274_44:                             ;   in Loop: Header=BB274_12 Depth=1
	s_or_b64 exec, exec, s[40:41]
	s_and_saveexec_b64 s[40:41], s[10:11]
	s_cbranch_execnz .LBB274_104
.LBB274_45:                             ;   in Loop: Header=BB274_12 Depth=1
	s_or_b64 exec, exec, s[40:41]
	v_add_u32_e32 v0, s27, v0
	s_and_saveexec_b64 s[12:13], vcc
	s_cbranch_execnz .LBB274_109
.LBB274_46:                             ;   in Loop: Header=BB274_12 Depth=1
	s_or_b64 exec, exec, s[12:13]
	s_and_saveexec_b64 s[12:13], s[6:7]
	s_cbranch_execnz .LBB274_114
.LBB274_47:                             ;   in Loop: Header=BB274_12 Depth=1
	s_or_b64 exec, exec, s[12:13]
	s_and_saveexec_b64 s[6:7], s[8:9]
	s_cbranch_execnz .LBB274_119
.LBB274_48:                             ;   in Loop: Header=BB274_12 Depth=1
	s_or_b64 exec, exec, s[6:7]
	s_and_b64 exec, exec, s[10:11]
	s_cbranch_execnz .LBB274_124
	s_branch .LBB274_129
.LBB274_49:                             ;   in Loop: Header=BB274_12 Depth=1
	v_cvt_f32_i32_e32 v51, v56
	s_waitcnt vmcnt(15)
	v_lshlrev_b32_e32 v49, 16, v49
	v_add_f32_e32 v51, v58, v51
	v_add_f32_e32 v51, v51, v49
	v_and_b32_e32 v49, 0x7f800000, v51
	v_cmp_ne_u32_e64 s[6:7], s56, v49
                                        ; implicit-def: $vgpr49
	s_and_saveexec_b64 s[10:11], s[6:7]
	s_xor_b64 s[6:7], exec, s[10:11]
; %bb.50:                               ;   in Loop: Header=BB274_12 Depth=1
	v_bfe_u32 v49, v51, 16, 1
	v_add3_u32 v49, v51, v49, s57
                                        ; implicit-def: $vgpr51
; %bb.51:                               ;   in Loop: Header=BB274_12 Depth=1
	s_andn2_saveexec_b64 s[10:11], s[6:7]
; %bb.52:                               ;   in Loop: Header=BB274_12 Depth=1
	v_or_b32_e32 v49, 0x10000, v51
	v_cmp_eq_u32_sdwa s[6:7], v51, v1 src0_sel:WORD_0 src1_sel:DWORD
	s_nop 1
	v_cndmask_b32_e64 v49, v49, v51, s[6:7]
; %bb.53:                               ;   in Loop: Header=BB274_12 Depth=1
	s_or_b64 exec, exec, s[10:11]
	v_mov_b32_e32 v103, v1
	v_lshl_add_u64 v[52:53], v[102:103], 1, s[14:15]
	global_store_short_d16_hi v[52:53], v49, off
	s_or_b64 exec, exec, s[8:9]
	v_cmp_ne_u32_e64 s[6:7], 0, v3
	s_and_saveexec_b64 s[10:11], s[6:7]
	s_cbranch_execz .LBB274_35
.LBB274_54:                             ;   in Loop: Header=BB274_12 Depth=1
	s_waitcnt vmcnt(15)
	v_cvt_f32_i32_e32 v49, v55
	s_waitcnt vmcnt(14)
	v_lshlrev_b32_e32 v48, 16, v48
	v_add_f32_e32 v49, v54, v49
	v_add_f32_e32 v49, v49, v48
	v_and_b32_e32 v48, 0x7f800000, v49
	v_cmp_ne_u32_e64 s[8:9], s56, v48
                                        ; implicit-def: $vgpr48
	s_and_saveexec_b64 s[12:13], s[8:9]
	s_xor_b64 s[8:9], exec, s[12:13]
; %bb.55:                               ;   in Loop: Header=BB274_12 Depth=1
	v_bfe_u32 v48, v49, 16, 1
	v_add3_u32 v48, v49, v48, s57
                                        ; implicit-def: $vgpr49
; %bb.56:                               ;   in Loop: Header=BB274_12 Depth=1
	s_andn2_saveexec_b64 s[12:13], s[8:9]
; %bb.57:                               ;   in Loop: Header=BB274_12 Depth=1
	v_or_b32_e32 v48, 0x10000, v49
	v_cmp_eq_u32_sdwa s[8:9], v49, v1 src0_sel:WORD_0 src1_sel:DWORD
	s_nop 1
	v_cndmask_b32_e64 v48, v48, v49, s[8:9]
; %bb.58:                               ;   in Loop: Header=BB274_12 Depth=1
	s_or_b64 exec, exec, s[12:13]
	v_mov_b32_e32 v103, v1
	v_lshl_add_u64 v[52:53], v[102:103], 1, s[34:35]
	global_store_short_d16_hi v[52:53], v48, off
	s_or_b64 exec, exec, s[10:11]
	v_cmp_ne_u32_e64 s[8:9], 0, v4
	s_and_saveexec_b64 s[12:13], s[8:9]
	s_cbranch_execz .LBB274_36
.LBB274_59:                             ;   in Loop: Header=BB274_12 Depth=1
	v_cvt_f32_i32_e32 v47, v47
	s_waitcnt vmcnt(13)
	v_lshlrev_b32_e32 v45, 16, v45
	v_add_f32_e32 v47, v50, v47
	v_add_f32_e32 v47, v47, v45
	v_and_b32_e32 v45, 0x7f800000, v47
	v_cmp_ne_u32_e64 s[10:11], s56, v45
                                        ; implicit-def: $vgpr45
	s_and_saveexec_b64 s[40:41], s[10:11]
	s_xor_b64 s[10:11], exec, s[40:41]
; %bb.60:                               ;   in Loop: Header=BB274_12 Depth=1
	v_bfe_u32 v45, v47, 16, 1
	v_add3_u32 v45, v47, v45, s57
                                        ; implicit-def: $vgpr47
; %bb.61:                               ;   in Loop: Header=BB274_12 Depth=1
	s_andn2_saveexec_b64 s[40:41], s[10:11]
; %bb.62:                               ;   in Loop: Header=BB274_12 Depth=1
	v_or_b32_e32 v45, 0x10000, v47
	v_cmp_eq_u32_sdwa s[10:11], v47, v1 src0_sel:WORD_0 src1_sel:DWORD
	s_nop 1
	v_cndmask_b32_e64 v45, v45, v47, s[10:11]
; %bb.63:                               ;   in Loop: Header=BB274_12 Depth=1
	s_or_b64 exec, exec, s[40:41]
	v_lshl_add_u64 v[48:49], v[0:1], 1, s[14:15]
	global_store_short_d16_hi v[48:49], v45, off
	s_or_b64 exec, exec, s[12:13]
	v_cmp_ne_u32_e64 s[10:11], 0, v5
	s_and_saveexec_b64 s[40:41], s[10:11]
	s_cbranch_execz .LBB274_37
.LBB274_64:                             ;   in Loop: Header=BB274_12 Depth=1
	v_cvt_f32_i32_e32 v0, v43
	s_waitcnt vmcnt(12)
	v_lshlrev_b32_e32 v7, 16, v7
	v_add_f32_e32 v0, v46, v0
	v_add_f32_e32 v7, v0, v7
	v_and_b32_e32 v0, 0x7f800000, v7
	v_cmp_ne_u32_e64 s[12:13], s56, v0
                                        ; implicit-def: $vgpr0
	s_and_saveexec_b64 s[42:43], s[12:13]
	s_xor_b64 s[12:13], exec, s[42:43]
; %bb.65:                               ;   in Loop: Header=BB274_12 Depth=1
	v_bfe_u32 v0, v7, 16, 1
	v_add3_u32 v0, v7, v0, s57
                                        ; implicit-def: $vgpr7
; %bb.66:                               ;   in Loop: Header=BB274_12 Depth=1
	s_andn2_saveexec_b64 s[42:43], s[12:13]
; %bb.67:                               ;   in Loop: Header=BB274_12 Depth=1
	v_or_b32_e32 v0, 0x10000, v7
	v_cmp_eq_u32_sdwa s[12:13], v7, v1 src0_sel:WORD_0 src1_sel:DWORD
	s_nop 1
	v_cndmask_b32_e64 v0, v0, v7, s[12:13]
; %bb.68:                               ;   in Loop: Header=BB274_12 Depth=1
	s_or_b64 exec, exec, s[42:43]
	v_mov_b32_e32 v7, v1
	v_lshl_add_u64 v[6:7], v[6:7], 1, s[14:15]
	global_store_short_d16_hi v[6:7], v0, off
	s_or_b64 exec, exec, s[40:41]
	v_add_u32_e32 v0, s27, v102
	s_and_saveexec_b64 s[40:41], vcc
	s_cbranch_execz .LBB274_38
.LBB274_69:                             ;   in Loop: Header=BB274_12 Depth=1
	v_cvt_f32_i32_e32 v6, v39
	s_waitcnt vmcnt(11)
	v_lshlrev_b32_e32 v7, 16, v44
	v_add_f32_e32 v6, v42, v6
	v_add_f32_e32 v7, v6, v7
	v_and_b32_e32 v6, 0x7f800000, v7
	v_cmp_ne_u32_e64 s[12:13], s56, v6
                                        ; implicit-def: $vgpr6
	s_and_saveexec_b64 s[42:43], s[12:13]
	s_xor_b64 s[12:13], exec, s[42:43]
; %bb.70:                               ;   in Loop: Header=BB274_12 Depth=1
	v_bfe_u32 v6, v7, 16, 1
	v_add3_u32 v6, v7, v6, s57
                                        ; implicit-def: $vgpr7
; %bb.71:                               ;   in Loop: Header=BB274_12 Depth=1
	s_andn2_saveexec_b64 s[42:43], s[12:13]
; %bb.72:                               ;   in Loop: Header=BB274_12 Depth=1
	v_or_b32_e32 v6, 0x10000, v7
	v_cmp_eq_u32_sdwa s[12:13], v7, v1 src0_sel:WORD_0 src1_sel:DWORD
	s_nop 1
	v_cndmask_b32_e64 v6, v6, v7, s[12:13]
; %bb.73:                               ;   in Loop: Header=BB274_12 Depth=1
	s_or_b64 exec, exec, s[42:43]
	v_lshl_add_u64 v[42:43], v[0:1], 1, s[14:15]
	global_store_short_d16_hi v[42:43], v6, off
	s_or_b64 exec, exec, s[40:41]
	s_and_saveexec_b64 s[40:41], s[6:7]
	s_cbranch_execz .LBB274_39
.LBB274_74:                             ;   in Loop: Header=BB274_12 Depth=1
	v_cvt_f32_i32_e32 v6, v36
	s_waitcnt vmcnt(10)
	v_lshlrev_b32_e32 v7, 16, v41
	v_add_f32_e32 v6, v38, v6
	v_add_f32_e32 v7, v6, v7
	v_and_b32_e32 v6, 0x7f800000, v7
	v_cmp_ne_u32_e64 s[12:13], s56, v6
                                        ; implicit-def: $vgpr6
	s_and_saveexec_b64 s[42:43], s[12:13]
	s_xor_b64 s[12:13], exec, s[42:43]
; %bb.75:                               ;   in Loop: Header=BB274_12 Depth=1
	v_bfe_u32 v6, v7, 16, 1
	v_add3_u32 v6, v7, v6, s57
                                        ; implicit-def: $vgpr7
; %bb.76:                               ;   in Loop: Header=BB274_12 Depth=1
	s_andn2_saveexec_b64 s[42:43], s[12:13]
; %bb.77:                               ;   in Loop: Header=BB274_12 Depth=1
	v_or_b32_e32 v6, 0x10000, v7
	v_cmp_eq_u32_sdwa s[12:13], v7, v1 src0_sel:WORD_0 src1_sel:DWORD
	s_nop 1
	v_cndmask_b32_e64 v6, v6, v7, s[12:13]
; %bb.78:                               ;   in Loop: Header=BB274_12 Depth=1
	s_or_b64 exec, exec, s[42:43]
	v_add_u32_e32 v38, 1, v0
	v_mov_b32_e32 v39, v1
	v_lshl_add_u64 v[38:39], v[38:39], 1, s[14:15]
	global_store_short_d16_hi v[38:39], v6, off
	s_or_b64 exec, exec, s[40:41]
	s_and_saveexec_b64 s[40:41], s[8:9]
	s_cbranch_execz .LBB274_40
.LBB274_79:                             ;   in Loop: Header=BB274_12 Depth=1
	v_cvt_f32_i32_e32 v6, v35
	s_waitcnt vmcnt(9)
	v_lshlrev_b32_e32 v7, 16, v40
	v_add_f32_e32 v6, v34, v6
	v_add_f32_e32 v7, v6, v7
	v_and_b32_e32 v6, 0x7f800000, v7
	v_cmp_ne_u32_e64 s[12:13], s56, v6
                                        ; implicit-def: $vgpr6
	s_and_saveexec_b64 s[42:43], s[12:13]
	s_xor_b64 s[12:13], exec, s[42:43]
; %bb.80:                               ;   in Loop: Header=BB274_12 Depth=1
	v_bfe_u32 v6, v7, 16, 1
	v_add3_u32 v6, v7, v6, s57
                                        ; implicit-def: $vgpr7
; %bb.81:                               ;   in Loop: Header=BB274_12 Depth=1
	s_andn2_saveexec_b64 s[42:43], s[12:13]
; %bb.82:                               ;   in Loop: Header=BB274_12 Depth=1
	v_or_b32_e32 v6, 0x10000, v7
	v_cmp_eq_u32_sdwa s[12:13], v7, v1 src0_sel:WORD_0 src1_sel:DWORD
	s_nop 1
	v_cndmask_b32_e64 v6, v6, v7, s[12:13]
; %bb.83:                               ;   in Loop: Header=BB274_12 Depth=1
	s_or_b64 exec, exec, s[42:43]
	v_add_u32_e32 v34, 2, v0
	v_mov_b32_e32 v35, v1
	v_lshl_add_u64 v[34:35], v[34:35], 1, s[14:15]
	global_store_short_d16_hi v[34:35], v6, off
	s_or_b64 exec, exec, s[40:41]
	s_and_saveexec_b64 s[40:41], s[10:11]
	s_cbranch_execz .LBB274_41
.LBB274_84:                             ;   in Loop: Header=BB274_12 Depth=1
	v_cvt_f32_i32_e32 v6, v27
	s_waitcnt vmcnt(8)
	v_lshlrev_b32_e32 v7, 16, v37
	v_add_f32_e32 v6, v30, v6
	v_add_f32_e32 v7, v6, v7
	v_and_b32_e32 v6, 0x7f800000, v7
	v_cmp_ne_u32_e64 s[12:13], s56, v6
                                        ; implicit-def: $vgpr6
	s_and_saveexec_b64 s[42:43], s[12:13]
	s_xor_b64 s[12:13], exec, s[42:43]
; %bb.85:                               ;   in Loop: Header=BB274_12 Depth=1
	v_bfe_u32 v6, v7, 16, 1
	v_add3_u32 v6, v7, v6, s57
                                        ; implicit-def: $vgpr7
; %bb.86:                               ;   in Loop: Header=BB274_12 Depth=1
	s_andn2_saveexec_b64 s[42:43], s[12:13]
; %bb.87:                               ;   in Loop: Header=BB274_12 Depth=1
	v_or_b32_e32 v6, 0x10000, v7
	v_cmp_eq_u32_sdwa s[12:13], v7, v1 src0_sel:WORD_0 src1_sel:DWORD
	s_nop 1
	v_cndmask_b32_e64 v6, v6, v7, s[12:13]
; %bb.88:                               ;   in Loop: Header=BB274_12 Depth=1
	s_or_b64 exec, exec, s[42:43]
	v_add_u32_e32 v34, 3, v0
	v_mov_b32_e32 v35, v1
	v_lshl_add_u64 v[34:35], v[34:35], 1, s[14:15]
	global_store_short_d16_hi v[34:35], v6, off
	s_or_b64 exec, exec, s[40:41]
	v_add_u32_e32 v0, s27, v0
	s_and_saveexec_b64 s[40:41], vcc
	s_cbranch_execz .LBB274_42
.LBB274_89:                             ;   in Loop: Header=BB274_12 Depth=1
	v_cvt_f32_i32_e32 v6, v24
	s_waitcnt vmcnt(7)
	v_lshlrev_b32_e32 v7, 16, v33
	v_add_f32_e32 v6, v26, v6
	v_add_f32_e32 v7, v6, v7
	v_and_b32_e32 v6, 0x7f800000, v7
	v_cmp_ne_u32_e64 s[12:13], s56, v6
                                        ; implicit-def: $vgpr6
	s_and_saveexec_b64 s[42:43], s[12:13]
	s_xor_b64 s[12:13], exec, s[42:43]
; %bb.90:                               ;   in Loop: Header=BB274_12 Depth=1
	v_bfe_u32 v6, v7, 16, 1
	v_add3_u32 v6, v7, v6, s57
                                        ; implicit-def: $vgpr7
; %bb.91:                               ;   in Loop: Header=BB274_12 Depth=1
	s_andn2_saveexec_b64 s[42:43], s[12:13]
; %bb.92:                               ;   in Loop: Header=BB274_12 Depth=1
	v_or_b32_e32 v6, 0x10000, v7
	v_cmp_eq_u32_sdwa s[12:13], v7, v1 src0_sel:WORD_0 src1_sel:DWORD
	s_nop 1
	v_cndmask_b32_e64 v6, v6, v7, s[12:13]
; %bb.93:                               ;   in Loop: Header=BB274_12 Depth=1
	s_or_b64 exec, exec, s[42:43]
	v_lshl_add_u64 v[26:27], v[0:1], 1, s[14:15]
	global_store_short_d16_hi v[26:27], v6, off
	s_or_b64 exec, exec, s[40:41]
	s_and_saveexec_b64 s[40:41], s[6:7]
	s_cbranch_execz .LBB274_43
.LBB274_94:                             ;   in Loop: Header=BB274_12 Depth=1
	v_cvt_f32_i32_e32 v6, v21
	s_waitcnt vmcnt(6)
	v_lshlrev_b32_e32 v7, 16, v32
	v_add_f32_e32 v6, v22, v6
	v_add_f32_e32 v7, v6, v7
	v_and_b32_e32 v6, 0x7f800000, v7
	v_cmp_ne_u32_e64 s[12:13], s56, v6
                                        ; implicit-def: $vgpr6
	s_and_saveexec_b64 s[42:43], s[12:13]
	s_xor_b64 s[12:13], exec, s[42:43]
; %bb.95:                               ;   in Loop: Header=BB274_12 Depth=1
	v_bfe_u32 v6, v7, 16, 1
	v_add3_u32 v6, v7, v6, s57
                                        ; implicit-def: $vgpr7
; %bb.96:                               ;   in Loop: Header=BB274_12 Depth=1
	s_andn2_saveexec_b64 s[42:43], s[12:13]
; %bb.97:                               ;   in Loop: Header=BB274_12 Depth=1
	v_or_b32_e32 v6, 0x10000, v7
	v_cmp_eq_u32_sdwa s[12:13], v7, v1 src0_sel:WORD_0 src1_sel:DWORD
	s_nop 1
	v_cndmask_b32_e64 v6, v6, v7, s[12:13]
; %bb.98:                               ;   in Loop: Header=BB274_12 Depth=1
	s_or_b64 exec, exec, s[42:43]
	v_add_u32_e32 v26, 1, v0
	v_mov_b32_e32 v27, v1
	v_lshl_add_u64 v[26:27], v[26:27], 1, s[14:15]
	global_store_short_d16_hi v[26:27], v6, off
	s_or_b64 exec, exec, s[40:41]
	s_and_saveexec_b64 s[40:41], s[8:9]
	s_cbranch_execz .LBB274_44
.LBB274_99:                             ;   in Loop: Header=BB274_12 Depth=1
	v_cvt_f32_i32_e32 v6, v20
	s_waitcnt vmcnt(5)
	v_lshlrev_b32_e32 v7, 16, v31
	v_add_f32_e32 v6, v19, v6
	v_add_f32_e32 v7, v6, v7
	v_and_b32_e32 v6, 0x7f800000, v7
	v_cmp_ne_u32_e64 s[12:13], s56, v6
                                        ; implicit-def: $vgpr6
	s_and_saveexec_b64 s[42:43], s[12:13]
	s_xor_b64 s[12:13], exec, s[42:43]
; %bb.100:                              ;   in Loop: Header=BB274_12 Depth=1
	v_bfe_u32 v6, v7, 16, 1
	v_add3_u32 v6, v7, v6, s57
                                        ; implicit-def: $vgpr7
; %bb.101:                              ;   in Loop: Header=BB274_12 Depth=1
	s_andn2_saveexec_b64 s[42:43], s[12:13]
; %bb.102:                              ;   in Loop: Header=BB274_12 Depth=1
	v_or_b32_e32 v6, 0x10000, v7
	v_cmp_eq_u32_sdwa s[12:13], v7, v1 src0_sel:WORD_0 src1_sel:DWORD
	s_nop 1
	v_cndmask_b32_e64 v6, v6, v7, s[12:13]
; %bb.103:                              ;   in Loop: Header=BB274_12 Depth=1
	s_or_b64 exec, exec, s[42:43]
	v_add_u32_e32 v20, 2, v0
	v_mov_b32_e32 v21, v1
	v_lshl_add_u64 v[20:21], v[20:21], 1, s[14:15]
	global_store_short_d16_hi v[20:21], v6, off
	s_or_b64 exec, exec, s[40:41]
	s_and_saveexec_b64 s[40:41], s[10:11]
	s_cbranch_execz .LBB274_45
.LBB274_104:                            ;   in Loop: Header=BB274_12 Depth=1
	v_cvt_f32_i32_e32 v6, v14
	s_waitcnt vmcnt(4)
	v_lshlrev_b32_e32 v7, 16, v29
	v_add_f32_e32 v6, v18, v6
	v_add_f32_e32 v7, v6, v7
	v_and_b32_e32 v6, 0x7f800000, v7
	v_cmp_ne_u32_e64 s[12:13], s56, v6
                                        ; implicit-def: $vgpr6
	s_and_saveexec_b64 s[42:43], s[12:13]
	s_xor_b64 s[12:13], exec, s[42:43]
; %bb.105:                              ;   in Loop: Header=BB274_12 Depth=1
	v_bfe_u32 v6, v7, 16, 1
	v_add3_u32 v6, v7, v6, s57
                                        ; implicit-def: $vgpr7
; %bb.106:                              ;   in Loop: Header=BB274_12 Depth=1
	s_andn2_saveexec_b64 s[42:43], s[12:13]
; %bb.107:                              ;   in Loop: Header=BB274_12 Depth=1
	v_or_b32_e32 v6, 0x10000, v7
	v_cmp_eq_u32_sdwa s[12:13], v7, v1 src0_sel:WORD_0 src1_sel:DWORD
	s_nop 1
	v_cndmask_b32_e64 v6, v6, v7, s[12:13]
; %bb.108:                              ;   in Loop: Header=BB274_12 Depth=1
	s_or_b64 exec, exec, s[42:43]
	v_add_u32_e32 v18, 3, v0
	v_mov_b32_e32 v19, v1
	v_lshl_add_u64 v[18:19], v[18:19], 1, s[14:15]
	global_store_short_d16_hi v[18:19], v6, off
	s_or_b64 exec, exec, s[40:41]
	v_add_u32_e32 v0, s27, v0
	s_and_saveexec_b64 s[12:13], vcc
	s_cbranch_execz .LBB274_46
.LBB274_109:                            ;   in Loop: Header=BB274_12 Depth=1
	v_cvt_f32_i32_e32 v6, v16
	s_waitcnt vmcnt(3)
	v_lshlrev_b32_e32 v7, 16, v28
	v_add_f32_e32 v6, v15, v6
	v_add_f32_e32 v7, v6, v7
	v_and_b32_e32 v6, 0x7f800000, v7
	v_cmp_ne_u32_e32 vcc, s56, v6
                                        ; implicit-def: $vgpr6
	s_and_saveexec_b64 s[40:41], vcc
	s_xor_b64 s[40:41], exec, s[40:41]
; %bb.110:                              ;   in Loop: Header=BB274_12 Depth=1
	v_bfe_u32 v6, v7, 16, 1
	v_add3_u32 v6, v7, v6, s57
                                        ; implicit-def: $vgpr7
; %bb.111:                              ;   in Loop: Header=BB274_12 Depth=1
	s_andn2_saveexec_b64 s[40:41], s[40:41]
; %bb.112:                              ;   in Loop: Header=BB274_12 Depth=1
	v_or_b32_e32 v6, 0x10000, v7
	v_cmp_eq_u32_sdwa vcc, v7, v1 src0_sel:WORD_0 src1_sel:DWORD
	s_nop 1
	v_cndmask_b32_e32 v6, v6, v7, vcc
; %bb.113:                              ;   in Loop: Header=BB274_12 Depth=1
	s_or_b64 exec, exec, s[40:41]
	v_lshl_add_u64 v[14:15], v[0:1], 1, s[14:15]
	global_store_short_d16_hi v[14:15], v6, off
	s_or_b64 exec, exec, s[12:13]
	s_and_saveexec_b64 s[12:13], s[6:7]
	s_cbranch_execz .LBB274_47
.LBB274_114:                            ;   in Loop: Header=BB274_12 Depth=1
	v_cvt_f32_i32_e32 v6, v13
	s_waitcnt vmcnt(2)
	v_lshlrev_b32_e32 v7, 16, v25
	v_add_f32_e32 v6, v12, v6
	v_add_f32_e32 v7, v6, v7
	v_and_b32_e32 v6, 0x7f800000, v7
	v_cmp_ne_u32_e32 vcc, s56, v6
                                        ; implicit-def: $vgpr6
	s_and_saveexec_b64 s[6:7], vcc
	s_xor_b64 s[6:7], exec, s[6:7]
; %bb.115:                              ;   in Loop: Header=BB274_12 Depth=1
	v_bfe_u32 v6, v7, 16, 1
	v_add3_u32 v6, v7, v6, s57
                                        ; implicit-def: $vgpr7
; %bb.116:                              ;   in Loop: Header=BB274_12 Depth=1
	s_andn2_saveexec_b64 s[6:7], s[6:7]
; %bb.117:                              ;   in Loop: Header=BB274_12 Depth=1
	v_or_b32_e32 v6, 0x10000, v7
	v_cmp_eq_u32_sdwa vcc, v7, v1 src0_sel:WORD_0 src1_sel:DWORD
	s_nop 1
	v_cndmask_b32_e32 v6, v6, v7, vcc
; %bb.118:                              ;   in Loop: Header=BB274_12 Depth=1
	s_or_b64 exec, exec, s[6:7]
	v_add_u32_e32 v12, 1, v0
	v_mov_b32_e32 v13, v1
	v_lshl_add_u64 v[12:13], v[12:13], 1, s[14:15]
	global_store_short_d16_hi v[12:13], v6, off
	s_or_b64 exec, exec, s[12:13]
	s_and_saveexec_b64 s[6:7], s[8:9]
	s_cbranch_execz .LBB274_48
.LBB274_119:                            ;   in Loop: Header=BB274_12 Depth=1
	v_cvt_f32_i32_e32 v6, v11
	s_waitcnt vmcnt(1)
	v_lshlrev_b32_e32 v7, 16, v23
	v_add_f32_e32 v6, v10, v6
	v_add_f32_e32 v7, v6, v7
	v_and_b32_e32 v6, 0x7f800000, v7
	v_cmp_ne_u32_e32 vcc, s56, v6
                                        ; implicit-def: $vgpr6
	s_and_saveexec_b64 s[8:9], vcc
	s_xor_b64 s[8:9], exec, s[8:9]
; %bb.120:                              ;   in Loop: Header=BB274_12 Depth=1
	v_bfe_u32 v6, v7, 16, 1
	v_add3_u32 v6, v7, v6, s57
                                        ; implicit-def: $vgpr7
; %bb.121:                              ;   in Loop: Header=BB274_12 Depth=1
	s_andn2_saveexec_b64 s[8:9], s[8:9]
; %bb.122:                              ;   in Loop: Header=BB274_12 Depth=1
	v_or_b32_e32 v6, 0x10000, v7
	v_cmp_eq_u32_sdwa vcc, v7, v1 src0_sel:WORD_0 src1_sel:DWORD
	s_nop 1
	v_cndmask_b32_e32 v6, v6, v7, vcc
; %bb.123:                              ;   in Loop: Header=BB274_12 Depth=1
	s_or_b64 exec, exec, s[8:9]
	v_add_u32_e32 v10, 2, v0
	v_mov_b32_e32 v11, v1
	v_lshl_add_u64 v[10:11], v[10:11], 1, s[14:15]
	global_store_short_d16_hi v[10:11], v6, off
	s_or_b64 exec, exec, s[6:7]
	s_and_b64 exec, exec, s[10:11]
	s_cbranch_execz .LBB274_129
.LBB274_124:                            ;   in Loop: Header=BB274_12 Depth=1
	v_cvt_f32_i32_e32 v6, v9
	s_waitcnt vmcnt(0)
	v_lshlrev_b32_e32 v7, 16, v17
	v_add_f32_e32 v6, v8, v6
	v_add_f32_e32 v7, v6, v7
	v_and_b32_e32 v6, 0x7f800000, v7
	v_cmp_ne_u32_e32 vcc, s56, v6
                                        ; implicit-def: $vgpr6
	s_and_saveexec_b64 s[6:7], vcc
	s_xor_b64 s[6:7], exec, s[6:7]
; %bb.125:                              ;   in Loop: Header=BB274_12 Depth=1
	v_bfe_u32 v6, v7, 16, 1
	v_add3_u32 v6, v7, v6, s57
                                        ; implicit-def: $vgpr7
; %bb.126:                              ;   in Loop: Header=BB274_12 Depth=1
	s_andn2_saveexec_b64 s[6:7], s[6:7]
; %bb.127:                              ;   in Loop: Header=BB274_12 Depth=1
	v_or_b32_e32 v6, 0x10000, v7
	v_cmp_eq_u32_sdwa vcc, v7, v1 src0_sel:WORD_0 src1_sel:DWORD
	s_nop 1
	v_cndmask_b32_e32 v6, v6, v7, vcc
; %bb.128:                              ;   in Loop: Header=BB274_12 Depth=1
	s_or_b64 exec, exec, s[6:7]
	v_add_u32_e32 v0, 3, v0
	v_lshl_add_u64 v[8:9], v[0:1], 1, s[14:15]
	global_store_short_d16_hi v[8:9], v6, off
.LBB274_129:                            ;   in Loop: Header=BB274_12 Depth=1
	s_or_b64 exec, exec, s[38:39]
	v_add_u32_e32 v102, s48, v102
	v_add_u32_e32 v0, 4, v102
	v_cmp_gt_u32_e32 vcc, s27, v102
	v_cmp_le_u32_e64 s[6:7], s27, v0
	s_and_b64 s[6:7], vcc, s[6:7]
	s_and_saveexec_b64 s[8:9], s[6:7]
	s_cbranch_execz .LBB274_10
; %bb.130:                              ;   in Loop: Header=BB274_12 Depth=1
	v_cmp_ne_u32_e32 vcc, s17, v102
	s_and_saveexec_b64 s[10:11], vcc
	s_cbranch_execz .LBB274_9
; %bb.131:                              ;   in Loop: Header=BB274_12 Depth=1
	v_subrev_u32_e32 v0, s17, v102
	v_cmp_lt_u32_e32 vcc, 1, v0
	s_mov_b64 s[12:13], 0
	s_mov_b64 s[38:39], 0
	v_cndmask_b32_e32 v0, 1, v0, vcc
.LBB274_132:                            ;   Parent Loop BB274_12 Depth=1
                                        ; =>  This Inner Loop Header: Depth=2
	s_cmp_lg_u32 s38, 3
	s_cselect_b64 vcc, -1, 0
	s_cmp_lg_u32 s38, 2
	v_cndmask_b32_e32 v5, 0, v5, vcc
	s_cselect_b64 vcc, -1, 0
	s_cmp_lg_u32 s38, 1
	v_cndmask_b32_e32 v4, 0, v4, vcc
	;; [unrolled: 3-line block ×3, first 2 shown]
	s_cselect_b64 vcc, -1, 0
	s_add_u32 s38, s38, 1
	s_addc_u32 s39, s39, 0
	v_cmp_eq_u32_e64 s[6:7], s38, v0
	s_or_b64 s[12:13], s[6:7], s[12:13]
	v_cndmask_b32_e32 v2, 0, v2, vcc
	s_andn2_b64 exec, exec, s[12:13]
	s_cbranch_execnz .LBB274_132
; %bb.133:                              ;   in Loop: Header=BB274_12 Depth=1
	s_or_b64 exec, exec, s[12:13]
	s_branch .LBB274_9
.LBB274_134:
	s_endpgm
	.section	.rodata,"a",@progbits
	.p2align	6, 0x0
	.amdhsa_kernel _Z16wvSplitK_hf_big_I14__hip_bfloat16Li64ELi4ELi16ELi8ELi1ELi4EEviiiiiiPKT_S3_S3_PS1_ii
		.amdhsa_group_segment_fixed_size 65536
		.amdhsa_private_segment_fixed_size 0
		.amdhsa_kernarg_size 64
		.amdhsa_user_sgpr_count 2
		.amdhsa_user_sgpr_dispatch_ptr 0
		.amdhsa_user_sgpr_queue_ptr 0
		.amdhsa_user_sgpr_kernarg_segment_ptr 1
		.amdhsa_user_sgpr_dispatch_id 0
		.amdhsa_user_sgpr_kernarg_preload_length 0
		.amdhsa_user_sgpr_kernarg_preload_offset 0
		.amdhsa_user_sgpr_private_segment_size 0
		.amdhsa_uses_dynamic_stack 0
		.amdhsa_enable_private_segment 0
		.amdhsa_system_sgpr_workgroup_id_x 1
		.amdhsa_system_sgpr_workgroup_id_y 0
		.amdhsa_system_sgpr_workgroup_id_z 0
		.amdhsa_system_sgpr_workgroup_info 0
		.amdhsa_system_vgpr_workitem_id 1
		.amdhsa_next_free_vgpr 119
		.amdhsa_next_free_sgpr 58
		.amdhsa_accum_offset 120
		.amdhsa_reserve_vcc 1
		.amdhsa_float_round_mode_32 0
		.amdhsa_float_round_mode_16_64 0
		.amdhsa_float_denorm_mode_32 3
		.amdhsa_float_denorm_mode_16_64 3
		.amdhsa_dx10_clamp 1
		.amdhsa_ieee_mode 1
		.amdhsa_fp16_overflow 0
		.amdhsa_tg_split 0
		.amdhsa_exception_fp_ieee_invalid_op 0
		.amdhsa_exception_fp_denorm_src 0
		.amdhsa_exception_fp_ieee_div_zero 0
		.amdhsa_exception_fp_ieee_overflow 0
		.amdhsa_exception_fp_ieee_underflow 0
		.amdhsa_exception_fp_ieee_inexact 0
		.amdhsa_exception_int_div_zero 0
	.end_amdhsa_kernel
	.section	.text._Z16wvSplitK_hf_big_I14__hip_bfloat16Li64ELi4ELi16ELi8ELi1ELi4EEviiiiiiPKT_S3_S3_PS1_ii,"axG",@progbits,_Z16wvSplitK_hf_big_I14__hip_bfloat16Li64ELi4ELi16ELi8ELi1ELi4EEviiiiiiPKT_S3_S3_PS1_ii,comdat
.Lfunc_end274:
	.size	_Z16wvSplitK_hf_big_I14__hip_bfloat16Li64ELi4ELi16ELi8ELi1ELi4EEviiiiiiPKT_S3_S3_PS1_ii, .Lfunc_end274-_Z16wvSplitK_hf_big_I14__hip_bfloat16Li64ELi4ELi16ELi8ELi1ELi4EEviiiiiiPKT_S3_S3_PS1_ii
                                        ; -- End function
	.section	.AMDGPU.csdata,"",@progbits
; Kernel info:
; codeLenInByte = 7348
; NumSgprs: 64
; NumVgprs: 119
; NumAgprs: 0
; TotalNumVgprs: 119
; ScratchSize: 0
; MemoryBound: 0
; FloatMode: 240
; IeeeMode: 1
; LDSByteSize: 65536 bytes/workgroup (compile time only)
; SGPRBlocks: 7
; VGPRBlocks: 14
; NumSGPRsForWavesPerEU: 64
; NumVGPRsForWavesPerEU: 119
; AccumOffset: 120
; Occupancy: 4
; WaveLimiterHint : 0
; COMPUTE_PGM_RSRC2:SCRATCH_EN: 0
; COMPUTE_PGM_RSRC2:USER_SGPR: 2
; COMPUTE_PGM_RSRC2:TRAP_HANDLER: 0
; COMPUTE_PGM_RSRC2:TGID_X_EN: 1
; COMPUTE_PGM_RSRC2:TGID_Y_EN: 0
; COMPUTE_PGM_RSRC2:TGID_Z_EN: 0
; COMPUTE_PGM_RSRC2:TIDIG_COMP_CNT: 1
; COMPUTE_PGM_RSRC3_GFX90A:ACCUM_OFFSET: 29
; COMPUTE_PGM_RSRC3_GFX90A:TG_SPLIT: 0
	.section	.text._Z16wvSplitK_hf_sml_I14__hip_bfloat16Li64ELi4ELi16ELi8ELi2ELi4EEviiiiiiPKT_S3_S3_PS1_ii,"axG",@progbits,_Z16wvSplitK_hf_sml_I14__hip_bfloat16Li64ELi4ELi16ELi8ELi2ELi4EEviiiiiiPKT_S3_S3_PS1_ii,comdat
	.protected	_Z16wvSplitK_hf_sml_I14__hip_bfloat16Li64ELi4ELi16ELi8ELi2ELi4EEviiiiiiPKT_S3_S3_PS1_ii ; -- Begin function _Z16wvSplitK_hf_sml_I14__hip_bfloat16Li64ELi4ELi16ELi8ELi2ELi4EEviiiiiiPKT_S3_S3_PS1_ii
	.globl	_Z16wvSplitK_hf_sml_I14__hip_bfloat16Li64ELi4ELi16ELi8ELi2ELi4EEviiiiiiPKT_S3_S3_PS1_ii
	.p2align	8
	.type	_Z16wvSplitK_hf_sml_I14__hip_bfloat16Li64ELi4ELi16ELi8ELi2ELi4EEviiiiiiPKT_S3_S3_PS1_ii,@function
_Z16wvSplitK_hf_sml_I14__hip_bfloat16Li64ELi4ELi16ELi8ELi2ELi4EEviiiiiiPKT_S3_S3_PS1_ii: ; @_Z16wvSplitK_hf_sml_I14__hip_bfloat16Li64ELi4ELi16ELi8ELi2ELi4EEviiiiiiPKT_S3_S3_PS1_ii
; %bb.0:
	s_load_dwordx4 s[4:7], s[0:1], 0x0
	s_load_dwordx2 s[8:9], s[0:1], 0x10
	s_load_dwordx2 s[10:11], s[0:1], 0x28
	v_and_b32_e32 v3, 0x3ff, v0
	v_bfe_u32 v4, v0, 10, 10
	v_lshlrev_b32_e32 v0, 3, v3
	s_waitcnt lgkmcnt(0)
	s_lshl_b32 s24, s6, 2
	v_lshl_add_u32 v2, v4, 9, v0
	s_min_u32 s3, s24, 0x8000
	v_cmp_gt_u32_e32 vcc, s3, v2
	scratch_store_dword off, v0, off offset:64 ; 4-byte Folded Spill
	s_and_saveexec_b64 s[12:13], vcc
	s_cbranch_execz .LBB275_3
; %bb.1:
	s_load_dwordx2 s[14:15], s[0:1], 0x20
	v_mov_b32_e32 v7, 0
	v_lshlrev_b32_e32 v6, 10, v4
	v_lshlrev_b32_e32 v8, 4, v3
	v_mov_b32_e32 v9, v7
	v_lshl_add_u64 v[0:1], v[6:7], 0, v[8:9]
	s_waitcnt lgkmcnt(0)
	v_lshl_add_u64 v[0:1], s[14:15], 0, v[0:1]
	v_add_u32_e32 v5, v6, v8
	s_mov_b64 s[14:15], 0
	s_mov_b64 s[16:17], 0x4000
.LBB275_2:                              ; =>This Inner Loop Header: Depth=1
	global_load_dwordx4 v[6:9], v[0:1], off
	v_add_u32_e32 v2, 0x2000, v2
	v_cmp_le_u32_e32 vcc, s3, v2
	v_lshl_add_u64 v[0:1], v[0:1], 0, s[16:17]
	s_or_b64 s[14:15], vcc, s[14:15]
	s_waitcnt vmcnt(0)
	ds_write_b128 v5, v[6:9]
	v_add_u32_e32 v5, 0x4000, v5
	s_andn2_b64 exec, exec, s[14:15]
	s_cbranch_execnz .LBB275_2
.LBB275_3:
	s_or_b64 exec, exec, s[12:13]
	s_load_dwordx2 s[16:17], s[0:1], 0x38
	s_waitcnt lgkmcnt(0)
	s_barrier
	v_cmp_gt_u32_e32 vcc, s16, v4
	s_and_saveexec_b64 s[12:13], vcc
	s_cbranch_execz .LBB275_83
; %bb.4:
	s_mul_i32 s2, s2, s16
	v_add_lshl_u32 v54, s2, v4, 2
	v_cmp_gt_u32_e32 vcc, s7, v54
	s_and_b64 exec, exec, vcc
	s_cbranch_execz .LBB275_83
; %bb.5:
	s_cmp_lg_u32 s4, 0
	s_cselect_b64 s[2:3], -1, 0
	s_add_i32 s25, s4, -8
	s_add_i32 s26, s7, -1
	s_cmp_lg_u64 s[10:11], 0
	s_cselect_b64 s[18:19], -1, 0
	s_abs_i32 s21, s9
	v_cvt_f32_u32_e32 v0, s8
	v_cvt_f32_u32_e32 v1, s21
	s_mul_i32 s20, s16, s17
	s_lshl_b32 s9, s20, 2
	v_rcp_iflag_f32_e32 v0, v0
	v_rcp_iflag_f32_e32 v1, v1
	s_sub_i32 s20, 0, s8
	s_load_dwordx2 s[12:13], s[0:1], 0x18
	s_load_dwordx2 s[14:15], s[0:1], 0x30
	v_mul_f32_e32 v0, 0x4f7ffffe, v0
	v_mul_f32_e32 v1, 0x4f7ffffe, v1
	v_cvt_u32_f32_e32 v0, v0
	v_cvt_u32_f32_e32 v1, v1
	v_cmp_eq_u32_e64 s[0:1], 63, v3
	s_mov_b64 s[16:17], 0
	v_mul_lo_u32 v2, s20, v0
	s_sub_i32 s20, 0, s21
	v_readfirstlane_b32 s22, v1
	s_mul_i32 s20, s20, s22
	s_mul_hi_u32 s20, s22, s20
	s_add_i32 s22, s22, s20
	s_sub_i32 s20, 1, s21
	s_cmp_lt_u32 s21, 2
	s_cselect_b32 s20, s20, 1
	s_sub_i32 s23, s20, s21
	s_cmp_ge_u32 s20, s21
	s_cselect_b32 s27, s23, s20
	s_lshr_b32 s20, s22, 31
	s_mul_i32 s20, s20, s21
	s_sub_i32 s20, 2, s20
	s_sub_i32 s23, s20, s21
	s_cmp_ge_u32 s20, s21
	s_cselect_b32 s20, s23, s20
	s_sub_i32 s23, s20, s21
	s_cmp_ge_u32 s20, s21
	s_cselect_b32 s28, s23, s20
	s_mul_hi_u32 s20, s22, 3
	s_mul_i32 s20, s20, s21
	s_sub_i32 s20, 3, s20
	s_sub_i32 s22, s20, s21
	s_cmp_ge_u32 s20, s21
	v_mul_hi_u32 v2, v0, v2
	s_cselect_b32 s20, s22, s20
	v_add_u32_e32 v0, v0, v2
	s_sub_i32 s22, s20, s21
	scratch_store_dword off, v0, off offset:80 ; 4-byte Folded Spill
	s_cmp_ge_u32 s20, s21
	v_lshlrev_b32_e32 v0, 4, v3
	s_cselect_b32 s29, s22, s20
	scratch_store_dword off, v0, off offset:76 ; 4-byte Folded Spill
	v_cndmask_b32_e64 v0, 0, 1, s[2:3]
	v_mov_b32_e32 v123, 0
	s_mul_i32 s27, s27, s8
	s_mul_i32 s28, s28, s8
	;; [unrolled: 1-line block ×4, first 2 shown]
	s_lshl_b32 s6, s6, 1
	v_cmp_ne_u32_e64 s[2:3], 1, v0
	s_mov_b32 s31, 0x7f800000
	s_movk_i32 s33, 0x7fff
	s_branch .LBB275_8
.LBB275_6:                              ;   in Loop: Header=BB275_8 Depth=1
	s_or_b64 exec, exec, s[22:23]
	v_add_u32_e32 v122, 3, v122
	v_lshl_add_u64 v[2:3], v[122:123], 1, s[14:15]
	global_store_short_d16_hi v[2:3], v0, off
.LBB275_7:                              ;   in Loop: Header=BB275_8 Depth=1
	s_or_b64 exec, exec, s[20:21]
	s_waitcnt vmcnt(0)
	v_add_u32_e32 v54, s9, v54
	v_cmp_le_u32_e32 vcc, s7, v54
	s_or_b64 s[16:17], vcc, s[16:17]
	s_andn2_b64 exec, exec, s[16:17]
	s_cbranch_execz .LBB275_83
.LBB275_8:                              ; =>This Loop Header: Depth=1
                                        ;     Child Loop BB275_10 Depth 2
	scratch_store_dwordx2 off, v[54:55], off offset:68 ; 8-byte Folded Spill
	s_and_b64 vcc, exec, s[2:3]
	v_mov_b32_e32 v11, v123
	v_mov_b32_e32 v10, v123
	;; [unrolled: 1-line block ×64, first 2 shown]
	s_cbranch_vccnz .LBB275_16
; %bb.9:                                ;   in Loop: Header=BB275_8 Depth=1
	scratch_load_dwordx2 v[0:1], off, off offset:68 ; 8-byte Folded Reload
	s_waitcnt vmcnt(0)
	v_mov_b32_e32 v1, v123
	v_mov_b32_e32 v3, v123
	;; [unrolled: 1-line block ×4, first 2 shown]
	s_mov_b32 s34, 0
	v_mov_b32_e32 v33, v32
	v_mov_b32_e32 v34, v32
	;; [unrolled: 1-line block ×56, first 2 shown]
	v_min_u32_e32 v0, s26, v4
	v_mul_lo_u32 v122, v0, s5
	v_or_b32_e32 v0, 1, v4
	v_min_u32_e32 v0, s26, v0
	v_or_b32_e32 v2, 2, v4
	v_mul_lo_u32 v0, v0, s5
	v_min_u32_e32 v2, s26, v2
	v_mul_lo_u32 v2, v2, s5
	v_lshlrev_b64 v[0:1], 1, v[0:1]
	scratch_store_dwordx2 off, v[0:1], off offset:40 ; 8-byte Folded Spill
	v_lshlrev_b64 v[0:1], 1, v[2:3]
	scratch_load_dword v3, off, off offset:76 ; 4-byte Folded Reload
	v_or_b32_e32 v4, 3, v4
	v_min_u32_e32 v4, s26, v4
	v_mul_lo_u32 v4, v4, s5
	v_lshlrev_b64 v[6:7], 1, v[122:123]
	scratch_store_dwordx2 off, v[6:7], off offset:32 ; 8-byte Folded Spill
	scratch_store_dwordx2 off, v[0:1], off offset:48 ; 8-byte Folded Spill
	v_lshlrev_b64 v[0:1], 1, v[4:5]
	v_mov_b32_e32 v4, v32
	v_mov_b32_e32 v5, v32
	;; [unrolled: 1-line block ×4, first 2 shown]
	scratch_store_dwordx2 off, v[0:1], off offset:56 ; 8-byte Folded Spill
	scratch_store_dwordx4 off, v[4:7], off offset:16 ; 16-byte Folded Spill
	scratch_store_dwordx4 off, v[4:7], off  ; 16-byte Folded Spill
.LBB275_10:                             ;   Parent Loop BB275_8 Depth=1
                                        ; =>  This Inner Loop Header: Depth=2
	scratch_load_dword v0, off, off offset:64 ; 4-byte Folded Reload
	s_nop 0
	scratch_load_dwordx2 v[66:67], off, off offset:40 ; 8-byte Folded Reload
	scratch_load_dwordx2 v[64:65], off, off offset:32 ; 8-byte Folded Reload
	v_mov_b32_e32 v69, 0
	v_mov_b32_e32 v110, 0
	;; [unrolled: 1-line block ×27, first 2 shown]
	s_waitcnt vmcnt(2)
	v_add_u32_e32 v68, s34, v0
	v_min_u32_e32 v122, s25, v68
	s_waitcnt lgkmcnt(0)
	v_lshl_add_u64 v[0:1], v[122:123], 1, s[12:13]
	s_waitcnt vmcnt(0)
	v_lshl_add_u64 v[4:5], v[0:1], 0, v[64:65]
	v_lshl_add_u64 v[6:7], v[0:1], 0, v[66:67]
	global_load_dwordx4 v[88:91], v[4:5], off nt
	global_load_dwordx4 v[84:87], v[6:7], off nt
	scratch_load_dwordx2 v[70:71], off, off offset:48 ; 8-byte Folded Reload
	scratch_load_dwordx2 v[80:81], off, off offset:56 ; 8-byte Folded Reload
	v_add_u32_e32 v2, 0x200, v68
	v_min_u32_e32 v122, s25, v2
	v_cmp_gt_u32_e32 vcc, s4, v68
	v_mov_b32_e32 v68, 0
	s_waitcnt vmcnt(1)
	v_lshl_add_u64 v[4:5], v[0:1], 0, v[70:71]
	s_waitcnt vmcnt(0)
	v_lshl_add_u64 v[0:1], v[0:1], 0, v[80:81]
	global_load_dwordx4 v[96:99], v[4:5], off nt
	global_load_dwordx4 v[92:95], v[0:1], off nt
	v_lshl_add_u64 v[0:1], v[122:123], 1, s[12:13]
	v_lshl_add_u64 v[4:5], v[0:1], 0, v[64:65]
	v_lshl_add_u64 v[6:7], v[0:1], 0, v[66:67]
	global_load_dwordx4 v[76:79], v[4:5], off nt
	global_load_dwordx4 v[72:75], v[6:7], off nt
	v_lshl_add_u64 v[4:5], v[0:1], 0, v[70:71]
	v_lshl_add_u64 v[0:1], v[0:1], 0, v[80:81]
	global_load_dwordx4 v[80:83], v[4:5], off nt
	global_load_dwordx4 v[64:67], v[0:1], off nt
	v_mov_b32_e32 v70, 0
	v_mov_b32_e32 v71, 0
	v_mov_b32_e32 v0, 0
	v_mov_b32_e32 v1, 0
	s_and_saveexec_b64 s[20:21], vcc
	s_cbranch_execz .LBB275_14
; %bb.11:                               ;   in Loop: Header=BB275_10 Depth=2
	v_add_u32_e32 v122, s6, v3
	v_add_u32_e32 v4, s24, v3
	ds_read_b128 v[116:119], v3
	ds_read_b128 v[112:115], v122
	ds_read2_b32 v[0:1], v4 offset1:1
	v_add_u32_e32 v5, s30, v3
	ds_read2_b32 v[124:125], v4 offset0:2 offset1:3
	ds_read_b128 v[108:111], v5
	v_cmp_gt_u32_e32 vcc, s4, v2
	v_mov_b32_e32 v101, 0
	v_mov_b32_e32 v100, 0
	;; [unrolled: 1-line block ×16, first 2 shown]
	s_and_saveexec_b64 s[22:23], vcc
	s_cbranch_execz .LBB275_13
; %bb.12:                               ;   in Loop: Header=BB275_10 Depth=2
	v_add_u32_e32 v2, 0x400, v4
	ds_read_b128 v[100:103], v3 offset:1024
	v_add_u32_e32 v4, 0x408, v4
	ds_read2_b32 v[120:121], v2 offset1:1
	ds_read2_b32 v[126:127], v4 offset1:1
	ds_read_b128 v[104:107], v122 offset:1024
	ds_read_b128 v[68:71], v5 offset:1024
.LBB275_13:                             ;   in Loop: Header=BB275_10 Depth=2
	s_or_b64 exec, exec, s[22:23]
.LBB275_14:                             ;   in Loop: Header=BB275_10 Depth=2
	s_or_b64 exec, exec, s[20:21]
	s_waitcnt lgkmcnt(4)
	v_mfma_f32_4x4x4_16b_bf16 v[4:7], v[116:117], v[88:89], v[60:63]
	s_addk_i32 s34, 0x400
	scratch_load_dwordx4 v[60:63], off, off offset:16 ; 16-byte Folded Reload
	v_mfma_f32_4x4x4_16b_bf16 v[56:59], v[116:117], v[84:85], v[56:59]
	v_add_u32_e32 v3, 0x800, v3
	s_waitcnt lgkmcnt(3)
	v_mfma_f32_4x4x4_16b_bf16 v[40:43], v[112:113], v[84:85], v[40:43]
	s_cmp_ge_u32 s34, s4
	s_waitcnt lgkmcnt(2)
	v_mfma_f32_4x4x4_16b_bf16 v[24:27], v[0:1], v[84:85], v[24:27]
	v_mfma_f32_4x4x4_16b_bf16 v[56:59], v[118:119], v[86:87], v[56:59]
	;; [unrolled: 1-line block ×3, first 2 shown]
	s_waitcnt lgkmcnt(1)
	v_mfma_f32_4x4x4_16b_bf16 v[24:27], v[124:125], v[86:87], v[24:27]
	v_mfma_f32_4x4x4_16b_bf16 v[4:7], v[118:119], v[90:91], v[4:7]
	s_waitcnt vmcnt(6)
	v_mfma_f32_4x4x4_16b_bf16 v[52:55], v[116:117], v[96:97], v[52:55]
	v_mfma_f32_4x4x4_16b_bf16 v[44:47], v[112:113], v[88:89], v[44:47]
	;; [unrolled: 1-line block ×3, first 2 shown]
	s_waitcnt lgkmcnt(0)
	v_mfma_f32_4x4x4_16b_bf16 v[12:15], v[108:109], v[88:89], v[12:15]
	s_waitcnt vmcnt(4)
	v_mfma_f32_4x4x4_16b_bf16 v[4:7], v[100:101], v[76:77], v[4:7]
	v_mfma_f32_4x4x4_16b_bf16 v[52:55], v[118:119], v[98:99], v[52:55]
	;; [unrolled: 1-line block ×9, first 2 shown]
	s_nop 0
	v_mfma_f32_4x4x4_16b_bf16 v[36:39], v[114:115], v[98:99], v[36:39]
	v_mfma_f32_4x4x4_16b_bf16 v[32:35], v[114:115], v[94:95], v[32:35]
	;; [unrolled: 1-line block ×4, first 2 shown]
	s_nop 0
	v_mfma_f32_4x4x4_16b_bf16 v[20:23], v[124:125], v[98:99], v[20:23]
	v_mfma_f32_4x4x4_16b_bf16 v[16:19], v[124:125], v[94:95], v[16:19]
	;; [unrolled: 1-line block ×3, first 2 shown]
	s_waitcnt vmcnt(0)
	v_mfma_f32_4x4x4_16b_bf16 v[60:63], v[108:109], v[84:85], v[60:63]
	s_nop 1
	v_mfma_f32_4x4x4_16b_bf16 v[84:87], v[110:111], v[86:87], v[60:63]
	s_nop 1
	scratch_load_dwordx4 v[60:63], off, off ; 16-byte Folded Reload
	v_mfma_f32_4x4x4_16b_bf16 v[8:11], v[110:111], v[94:95], v[8:11]
	s_waitcnt vmcnt(0)
	v_mfma_f32_4x4x4_16b_bf16 v[60:63], v[108:109], v[96:97], v[60:63]
	s_nop 1
	v_mfma_f32_4x4x4_16b_bf16 v[88:91], v[110:111], v[98:99], v[60:63]
	v_mfma_f32_4x4x4_16b_bf16 v[60:63], v[102:103], v[78:79], v[4:7]
	;; [unrolled: 1-line block ×3, first 2 shown]
	s_nop 1
	v_mfma_f32_4x4x4_16b_bf16 v[56:59], v[102:103], v[74:75], v[4:7]
	v_mfma_f32_4x4x4_16b_bf16 v[4:7], v[100:101], v[80:81], v[52:55]
	s_nop 1
	v_mfma_f32_4x4x4_16b_bf16 v[52:55], v[102:103], v[82:83], v[4:7]
	v_mfma_f32_4x4x4_16b_bf16 v[4:7], v[100:101], v[64:65], v[48:51]
	;; [unrolled: 3-line block ×14, first 2 shown]
	s_nop 1
	v_mfma_f32_4x4x4_16b_bf16 v[8:11], v[70:71], v[66:67], v[4:7]
	s_cbranch_scc1 .LBB275_16
; %bb.15:                               ;   in Loop: Header=BB275_10 Depth=2
	scratch_store_dwordx4 off, v[76:79], off offset:16 ; 16-byte Folded Spill
	scratch_store_dwordx4 off, v[72:75], off ; 16-byte Folded Spill
	s_branch .LBB275_10
.LBB275_16:                             ;   in Loop: Header=BB275_8 Depth=1
	; sched_barrier mask(0x00000000)
	v_cvt_i32_f32_e32 v0, v61
	v_cvt_i32_f32_e32 v1, v62
	;; [unrolled: 1-line block ×4, first 2 shown]
	v_cvt_f32_i32_dpp v0, v0 row_shl:1 row_mask:0xf bank_mask:0xf bound_ctrl:1
	v_cvt_f32_i32_dpp v1, v1 row_shl:2 row_mask:0xf bank_mask:0xf bound_ctrl:1
	v_cvt_i32_f32_e32 v4, v58
	v_cvt_f32_i32_dpp v2, v2 row_shl:3 row_mask:0xf bank_mask:0xf bound_ctrl:1
	v_add_f32_e32 v0, v60, v0
	v_add_f32_e32 v0, v0, v1
	v_cvt_i32_f32_e32 v1, v59
	v_cvt_f32_i32_dpp v3, v3 row_shl:1 row_mask:0xf bank_mask:0xf bound_ctrl:1
	v_cvt_f32_i32_dpp v4, v4 row_shl:2 row_mask:0xf bank_mask:0xf bound_ctrl:1
	v_add_f32_e32 v0, v0, v2
	v_cvt_f32_i32_dpp v1, v1 row_shl:3 row_mask:0xf bank_mask:0xf bound_ctrl:1
	v_cvt_i32_f32_e32 v2, v0
	v_add_f32_e32 v3, v56, v3
	v_add_f32_e32 v3, v3, v4
	;; [unrolled: 1-line block ×3, first 2 shown]
	v_cvt_f32_i32_dpp v2, v2 row_shl:4 row_mask:0xf bank_mask:0xf bound_ctrl:1
	v_cvt_i32_f32_e32 v3, v1
	v_cvt_i32_f32_e32 v4, v53
	v_cvt_i32_f32_e32 v5, v55
	v_add_f32_e32 v0, v0, v2
	v_cvt_f32_i32_dpp v3, v3 row_shl:4 row_mask:0xf bank_mask:0xf bound_ctrl:1
	v_cvt_i32_f32_e32 v2, v0
	v_cvt_i32_f32_e32 v7, v50
	v_cvt_i32_f32_e32 v21, v21
	v_add_f32_e32 v1, v1, v3
	;; [unrolled: 5-line block ×3, first 2 shown]
	v_cvt_f32_i32_dpp v2, v3 row_shl:8 row_mask:0xf bank_mask:0xf bound_ctrl:1
	v_cvt_i32_f32_e32 v3, v54
	v_cvt_i32_f32_e32 v0, v0
	v_add_f32_e32 v1, v1, v2
	v_cvt_f32_i32_dpp v2, v4 row_shl:1 row_mask:0xf bank_mask:0xf bound_ctrl:1
	v_cvt_f32_i32_dpp v3, v3 row_shl:2 row_mask:0xf bank_mask:0xf bound_ctrl:1
	;; [unrolled: 1-line block ×3, first 2 shown]
	v_cvt_i32_f32_e32 v1, v1
	v_add_f32_e32 v2, v52, v2
	v_add_f32_e32 v2, v2, v3
	;; [unrolled: 1-line block ×3, first 2 shown]
	v_cvt_i32_f32_e32 v3, v2
	v_cvt_f32_i32_dpp v0, v0 row_shr:15 row_mask:0xf bank_mask:0xf bound_ctrl:1
	v_cvt_f32_i32_dpp v5, v1 row_shr:15 row_mask:0xf bank_mask:0xf bound_ctrl:1
	v_cvt_f32_i32_dpp v1, v3 row_shl:4 row_mask:0xf bank_mask:0xf bound_ctrl:1
	v_cvt_i32_f32_e32 v4, v0
	v_add_f32_e32 v2, v2, v1
	s_nop 0
	v_cvt_f32_i32_dpp v3, v4 row_bcast:15 row_mask:0xf bank_mask:0xf bound_ctrl:1
	v_cvt_i32_f32_e32 v4, v5
	v_cvt_i32_f32_e32 v6, v2
	v_add_f32_e32 v1, v0, v3
	v_cvt_f32_i32_dpp v3, v4 row_bcast:15 row_mask:0xf bank_mask:0xf bound_ctrl:1
	v_cvt_f32_i32_dpp v4, v6 row_shl:8 row_mask:0xf bank_mask:0xf bound_ctrl:1
	v_cvt_i32_f32_e32 v6, v49
	v_cvt_i32_f32_e32 v49, v51
	;; [unrolled: 1-line block ×3, first 2 shown]
	v_add_f32_e32 v2, v2, v4
	v_cvt_f32_i32_dpp v4, v6 row_shl:1 row_mask:0xf bank_mask:0xf bound_ctrl:1
	v_cvt_f32_i32_dpp v6, v7 row_shl:2 row_mask:0xf bank_mask:0xf bound_ctrl:1
	;; [unrolled: 1-line block ×3, first 2 shown]
	v_cvt_i32_f32_e32 v2, v2
	v_add_f32_e32 v4, v48, v4
	v_add_f32_e32 v4, v4, v6
	;; [unrolled: 1-line block ×3, first 2 shown]
	v_cvt_i32_f32_e32 v6, v4
	v_add_f32_e32 v48, v5, v3
	v_cvt_i32_f32_e32 v7, v47
	v_cvt_i32_f32_e32 v3, v48
	v_cvt_f32_i32_dpp v5, v6 row_shl:4 row_mask:0xf bank_mask:0xf bound_ctrl:1
	v_cvt_i32_f32_e32 v6, v46
	v_cvt_f32_i32_dpp v7, v7 row_shl:3 row_mask:0xf bank_mask:0xf bound_ctrl:1
	v_cvt_f32_i32_dpp v2, v2 row_shr:15 row_mask:0xf bank_mask:0xf bound_ctrl:1
	v_add_f32_e32 v4, v4, v5
	v_cvt_i32_f32_e32 v5, v45
	v_cvt_f32_i32_dpp v6, v6 row_shl:2 row_mask:0xf bank_mask:0xf bound_ctrl:1
	v_cvt_i32_f32_e32 v45, v4
	v_mov_b32_dpp v49, v0 row_bcast:31 row_mask:0xf bank_mask:0xf bound_ctrl:1
	v_cvt_f32_i32_dpp v5, v5 row_shl:1 row_mask:0xf bank_mask:0xf bound_ctrl:1
	v_mov_b32_dpp v0, v3 row_bcast:31 row_mask:0xf bank_mask:0xf bound_ctrl:1
	v_cvt_f32_i32_dpp v45, v45 row_shl:8 row_mask:0xf bank_mask:0xf bound_ctrl:1
	v_cvt_i32_f32_e32 v3, v2
	v_add_f32_e32 v5, v44, v5
	v_add_f32_e32 v5, v5, v6
	;; [unrolled: 1-line block ×3, first 2 shown]
	v_cvt_i32_f32_e32 v6, v5
	v_add_f32_e32 v4, v4, v45
	v_cvt_f32_i32_dpp v3, v3 row_bcast:15 row_mask:0xf bank_mask:0xf bound_ctrl:1
	v_cvt_i32_f32_e32 v4, v4
	v_cvt_f32_i32_dpp v6, v6 row_shl:4 row_mask:0xf bank_mask:0xf bound_ctrl:1
	v_cvt_i32_f32_e32 v7, v43
	v_add_f32_e32 v44, v2, v3
	v_cvt_f32_i32_dpp v3, v4 row_shr:15 row_mask:0xf bank_mask:0xf bound_ctrl:1
	v_add_f32_e32 v4, v5, v6
	v_cvt_i32_f32_e32 v5, v41
	v_cvt_i32_f32_e32 v6, v42
	v_cvt_f32_i32_dpp v7, v7 row_shl:3 row_mask:0xf bank_mask:0xf bound_ctrl:1
	v_cvt_i32_f32_e32 v41, v4
	v_cvt_f32_i32_dpp v5, v5 row_shl:1 row_mask:0xf bank_mask:0xf bound_ctrl:1
	v_cvt_f32_i32_dpp v6, v6 row_shl:2 row_mask:0xf bank_mask:0xf bound_ctrl:1
	v_cvt_i32_f32_e32 v2, v44
	v_cvt_f32_i32_dpp v41, v41 row_shl:8 row_mask:0xf bank_mask:0xf bound_ctrl:1
	v_add_f32_e32 v5, v40, v5
	v_add_f32_e32 v5, v5, v6
	;; [unrolled: 1-line block ×3, first 2 shown]
	v_cvt_i32_f32_e32 v6, v5
	v_cvt_i32_f32_e32 v7, v3
	v_add_f32_e32 v4, v4, v41
	v_mov_b32_dpp v41, v2 row_bcast:31 row_mask:0xf bank_mask:0xf bound_ctrl:1
	v_cvt_f32_i32_dpp v6, v6 row_shl:4 row_mask:0xf bank_mask:0xf bound_ctrl:1
	v_cvt_f32_i32_dpp v2, v7 row_bcast:15 row_mask:0xf bank_mask:0xf bound_ctrl:1
	v_cvt_i32_f32_e32 v7, v37
	v_cvt_i32_f32_e32 v37, v38
	v_add_f32_e32 v5, v5, v6
	v_cvt_i32_f32_e32 v6, v5
	v_cvt_i32_f32_e32 v38, v39
	v_add_f32_e32 v40, v3, v2
	v_cvt_i32_f32_e32 v2, v40
	v_cvt_f32_i32_dpp v6, v6 row_shl:8 row_mask:0xf bank_mask:0xf bound_ctrl:1
	v_cvt_i32_f32_e32 v4, v4
	v_add_f32_e32 v5, v5, v6
	v_cvt_f32_i32_dpp v6, v7 row_shl:1 row_mask:0xf bank_mask:0xf bound_ctrl:1
	v_cvt_f32_i32_dpp v7, v37 row_shl:2 row_mask:0xf bank_mask:0xf bound_ctrl:1
	v_cvt_f32_i32_dpp v37, v38 row_shl:3 row_mask:0xf bank_mask:0xf bound_ctrl:1
	v_cvt_i32_f32_e32 v5, v5
	v_add_f32_e32 v6, v36, v6
	v_add_f32_e32 v6, v6, v7
	v_add_f32_e32 v6, v6, v37
	v_cvt_i32_f32_e32 v7, v6
	v_mov_b32_dpp v37, v2 row_bcast:31 row_mask:0xf bank_mask:0xf bound_ctrl:1
	v_cvt_f32_i32_dpp v2, v5 row_shr:15 row_mask:0xf bank_mask:0xf bound_ctrl:1
	v_cvt_f32_i32_dpp v4, v4 row_shr:15 row_mask:0xf bank_mask:0xf bound_ctrl:1
	v_cvt_f32_i32_dpp v5, v7 row_shl:4 row_mask:0xf bank_mask:0xf bound_ctrl:1
	v_cvt_i32_f32_e32 v7, v34
	v_cvt_i32_f32_e32 v3, v4
	v_add_f32_e32 v5, v6, v5
	v_cvt_i32_f32_e32 v6, v33
	v_cvt_i32_f32_e32 v33, v35
	v_cvt_f32_i32_dpp v3, v3 row_bcast:15 row_mask:0xf bank_mask:0xf bound_ctrl:1
	v_cvt_i32_f32_e32 v34, v5
	v_cvt_f32_i32_dpp v6, v6 row_shl:1 row_mask:0xf bank_mask:0xf bound_ctrl:1
	v_cvt_f32_i32_dpp v7, v7 row_shl:2 row_mask:0xf bank_mask:0xf bound_ctrl:1
	;; [unrolled: 1-line block ×3, first 2 shown]
	v_add_f32_e32 v36, v4, v3
	v_add_f32_e32 v6, v32, v6
	v_cvt_i32_f32_e32 v4, v2
	v_cvt_f32_i32_dpp v34, v34 row_shl:8 row_mask:0xf bank_mask:0xf bound_ctrl:1
	v_add_f32_e32 v6, v6, v7
	v_add_f32_e32 v6, v6, v33
	v_cvt_i32_f32_e32 v7, v6
	v_cvt_f32_i32_dpp v4, v4 row_bcast:15 row_mask:0xf bank_mask:0xf bound_ctrl:1
	v_add_f32_e32 v5, v5, v34
	v_cvt_i32_f32_e32 v5, v5
	v_cvt_i32_f32_e32 v3, v36
	v_cvt_f32_i32_dpp v7, v7 row_shl:4 row_mask:0xf bank_mask:0xf bound_ctrl:1
	v_add_f32_e32 v32, v2, v4
	v_cvt_i32_f32_e32 v4, v29
	v_cvt_f32_i32_dpp v2, v5 row_shr:15 row_mask:0xf bank_mask:0xf bound_ctrl:1
	v_cvt_i32_f32_e32 v5, v30
	v_mov_b32_dpp v33, v3 row_bcast:31 row_mask:0xf bank_mask:0xf bound_ctrl:1
	v_add_f32_e32 v3, v6, v7
	v_cvt_i32_f32_e32 v6, v31
	v_cvt_f32_i32_dpp v4, v4 row_shl:1 row_mask:0xf bank_mask:0xf bound_ctrl:1
	v_cvt_f32_i32_dpp v5, v5 row_shl:2 row_mask:0xf bank_mask:0xf bound_ctrl:1
	v_cvt_i32_f32_e32 v7, v3
	v_cvt_f32_i32_dpp v6, v6 row_shl:3 row_mask:0xf bank_mask:0xf bound_ctrl:1
	v_add_f32_e32 v4, v28, v4
	v_add_f32_e32 v4, v4, v5
	v_cvt_f32_i32_dpp v7, v7 row_shl:8 row_mask:0xf bank_mask:0xf bound_ctrl:1
	v_add_f32_e32 v4, v4, v6
	v_cvt_i32_f32_e32 v5, v4
	v_cvt_i32_f32_e32 v6, v2
	v_add_f32_e32 v3, v3, v7
	v_cvt_i32_f32_e32 v3, v3
	v_cvt_f32_i32_dpp v5, v5 row_shl:4 row_mask:0xf bank_mask:0xf bound_ctrl:1
	v_cvt_f32_i32_dpp v6, v6 row_bcast:15 row_mask:0xf bank_mask:0xf bound_ctrl:1
	v_cvt_i32_f32_e32 v7, v32
	v_cvt_f32_i32_dpp v3, v3 row_shr:15 row_mask:0xf bank_mask:0xf bound_ctrl:1
	v_add_f32_e32 v4, v4, v5
	v_cvt_i32_f32_e32 v5, v4
	v_add_f32_e32 v28, v2, v6
	v_cvt_i32_f32_e32 v2, v28
	v_cvt_i32_f32_e32 v6, v3
	v_cvt_f32_i32_dpp v5, v5 row_shl:8 row_mask:0xf bank_mask:0xf bound_ctrl:1
	v_mov_b32_dpp v30, v7 row_bcast:31 row_mask:0xf bank_mask:0xf bound_ctrl:1
	v_mov_b32_dpp v29, v2 row_bcast:31 row_mask:0xf bank_mask:0xf bound_ctrl:1
	v_cvt_f32_i32_dpp v2, v6 row_bcast:15 row_mask:0xf bank_mask:0xf bound_ctrl:1
	v_add_f32_e32 v4, v4, v5
	v_cvt_i32_f32_e32 v5, v25
	v_cvt_i32_f32_e32 v6, v26
	;; [unrolled: 1-line block ×4, first 2 shown]
	v_cvt_f32_i32_dpp v5, v5 row_shl:1 row_mask:0xf bank_mask:0xf bound_ctrl:1
	v_cvt_f32_i32_dpp v6, v6 row_shl:2 row_mask:0xf bank_mask:0xf bound_ctrl:1
	;; [unrolled: 1-line block ×3, first 2 shown]
	v_cvt_f32_i32_dpp v4, v4 row_shr:15 row_mask:0xf bank_mask:0xf bound_ctrl:1
	v_add_f32_e32 v5, v24, v5
	v_add_f32_e32 v5, v5, v6
	;; [unrolled: 1-line block ×3, first 2 shown]
	v_cvt_i32_f32_e32 v6, v5
	v_add_f32_e32 v3, v3, v2
	v_cvt_i32_f32_e32 v7, v4
	v_cvt_i32_f32_e32 v2, v3
	v_cvt_f32_i32_dpp v6, v6 row_shl:4 row_mask:0xf bank_mask:0xf bound_ctrl:1
	v_cvt_f32_i32_dpp v7, v7 row_bcast:15 row_mask:0xf bank_mask:0xf bound_ctrl:1
	v_add_f32_e32 v5, v5, v6
	v_cvt_f32_i32_dpp v6, v21 row_shl:1 row_mask:0xf bank_mask:0xf bound_ctrl:1
	v_cvt_f32_i32_dpp v21, v22 row_shl:2 row_mask:0xf bank_mask:0xf bound_ctrl:1
	v_cvt_f32_i32_dpp v22, v23 row_shl:3 row_mask:0xf bank_mask:0xf bound_ctrl:1
	v_cvt_i32_f32_e32 v23, v5
	v_add_f32_e32 v6, v20, v6
	v_add_f32_e32 v6, v6, v21
	v_add_f32_e32 v6, v6, v22
	v_cvt_i32_f32_e32 v20, v6
	v_cvt_f32_i32_dpp v22, v23 row_shl:8 row_mask:0xf bank_mask:0xf bound_ctrl:1
	v_mov_b32_dpp v21, v2 row_bcast:31 row_mask:0xf bank_mask:0xf bound_ctrl:1
	v_cvt_f32_i32_dpp v2, v20 row_shl:4 row_mask:0xf bank_mask:0xf bound_ctrl:1
	v_add_f32_e32 v20, v4, v7
	v_add_f32_e32 v4, v5, v22
	v_cvt_i32_f32_e32 v5, v17
	v_add_f32_e32 v2, v6, v2
	v_cvt_i32_f32_e32 v6, v18
	v_cvt_i32_f32_e32 v7, v19
	v_cvt_f32_i32_dpp v5, v5 row_shl:1 row_mask:0xf bank_mask:0xf bound_ctrl:1
	v_cvt_i32_f32_e32 v17, v2
	v_cvt_f32_i32_dpp v6, v6 row_shl:2 row_mask:0xf bank_mask:0xf bound_ctrl:1
	v_cvt_f32_i32_dpp v7, v7 row_shl:3 row_mask:0xf bank_mask:0xf bound_ctrl:1
	v_add_f32_e32 v5, v16, v5
	v_cvt_i32_f32_e32 v4, v4
	v_add_f32_e32 v5, v5, v6
	v_add_f32_e32 v5, v5, v7
	v_cvt_i32_f32_e32 v6, v5
	v_cvt_f32_i32_dpp v17, v17 row_shl:8 row_mask:0xf bank_mask:0xf bound_ctrl:1
	v_cvt_f32_i32_dpp v4, v4 row_shr:15 row_mask:0xf bank_mask:0xf bound_ctrl:1
	v_cvt_i32_f32_e32 v7, v20
	v_cvt_f32_i32_dpp v6, v6 row_shl:4 row_mask:0xf bank_mask:0xf bound_ctrl:1
	v_add_f32_e32 v2, v2, v17
	v_cvt_i32_f32_e32 v2, v2
	v_cvt_i32_f32_e32 v16, v4
	v_add_f32_e32 v5, v5, v6
	v_cvt_i32_f32_e32 v6, v5
	v_cvt_f32_i32_dpp v2, v2 row_shr:15 row_mask:0xf bank_mask:0xf bound_ctrl:1
	v_cvt_f32_i32_dpp v16, v16 row_bcast:15 row_mask:0xf bank_mask:0xf bound_ctrl:1
	v_mov_b32_dpp v18, v7 row_bcast:31 row_mask:0xf bank_mask:0xf bound_ctrl:1
	v_cvt_f32_i32_dpp v6, v6 row_shl:8 row_mask:0xf bank_mask:0xf bound_ctrl:1
	v_cvt_i32_f32_e32 v7, v2
	v_add_f32_e32 v16, v4, v16
	v_cvt_i32_f32_e32 v4, v16
	v_add_f32_e32 v5, v5, v6
	v_cvt_i32_f32_e32 v6, v13
	v_cvt_i32_f32_e32 v13, v14
	;; [unrolled: 1-line block ×4, first 2 shown]
	v_cvt_f32_i32_dpp v6, v6 row_shl:1 row_mask:0xf bank_mask:0xf bound_ctrl:1
	v_cvt_f32_i32_dpp v13, v13 row_shl:2 row_mask:0xf bank_mask:0xf bound_ctrl:1
	v_cvt_f32_i32_dpp v5, v5 row_shr:15 row_mask:0xf bank_mask:0xf bound_ctrl:1
	v_cvt_f32_i32_dpp v14, v14 row_shl:3 row_mask:0xf bank_mask:0xf bound_ctrl:1
	v_add_f32_e32 v6, v12, v6
	v_add_f32_e32 v6, v6, v13
	v_cvt_i32_f32_e32 v15, v5
	v_add_f32_e32 v6, v6, v14
	v_cvt_f32_i32_dpp v7, v7 row_bcast:15 row_mask:0xf bank_mask:0xf bound_ctrl:1
	v_cvt_i32_f32_e32 v12, v6
	v_mov_b32_dpp v17, v4 row_bcast:31 row_mask:0xf bank_mask:0xf bound_ctrl:1
	v_cvt_f32_i32_dpp v4, v15 row_bcast:15 row_mask:0xf bank_mask:0xf bound_ctrl:1
	v_add_f32_e32 v14, v2, v7
	v_cvt_f32_i32_dpp v2, v12 row_shl:4 row_mask:0xf bank_mask:0xf bound_ctrl:1
	v_cvt_i32_f32_e32 v13, v79
	v_add_f32_e32 v12, v5, v4
	v_cvt_i32_f32_e32 v5, v77
	v_add_f32_e32 v2, v6, v2
	v_cvt_i32_f32_e32 v6, v78
	v_cvt_f32_i32_dpp v13, v13 row_shl:3 row_mask:0xf bank_mask:0xf bound_ctrl:1
	v_cvt_f32_i32_dpp v5, v5 row_shl:1 row_mask:0xf bank_mask:0xf bound_ctrl:1
	v_cvt_i32_f32_e32 v4, v12
	v_cvt_f32_i32_dpp v6, v6 row_shl:2 row_mask:0xf bank_mask:0xf bound_ctrl:1
	v_cvt_i32_f32_e32 v7, v14
	v_add_f32_e32 v5, v76, v5
	v_cvt_i32_f32_e32 v15, v2
	v_add_f32_e32 v5, v5, v6
	v_add_f32_e32 v5, v5, v13
	v_cvt_i32_f32_e32 v6, v5
	v_mov_b32_dpp v13, v4 row_bcast:31 row_mask:0xf bank_mask:0xf bound_ctrl:1
	v_cvt_f32_i32_dpp v19, v15 row_shl:8 row_mask:0xf bank_mask:0xf bound_ctrl:1
	v_mov_b32_dpp v15, v7 row_bcast:31 row_mask:0xf bank_mask:0xf bound_ctrl:1
	v_cvt_f32_i32_dpp v4, v6 row_shl:4 row_mask:0xf bank_mask:0xf bound_ctrl:1
	v_cvt_i32_f32_e32 v6, v73
	v_cvt_i32_f32_e32 v7, v74
	v_add_f32_e32 v2, v2, v19
	v_add_f32_e32 v4, v5, v4
	v_cvt_f32_i32_dpp v5, v6 row_shl:1 row_mask:0xf bank_mask:0xf bound_ctrl:1
	v_cvt_f32_i32_dpp v6, v7 row_shl:2 row_mask:0xf bank_mask:0xf bound_ctrl:1
	v_cvt_i32_f32_e32 v7, v75
	v_cvt_i32_f32_e32 v19, v4
	v_add_f32_e32 v5, v72, v5
	v_add_f32_e32 v5, v5, v6
	v_cvt_f32_i32_dpp v6, v7 row_shl:3 row_mask:0xf bank_mask:0xf bound_ctrl:1
	v_cvt_i32_f32_e32 v7, v9
	v_cvt_i32_f32_e32 v9, v10
	;; [unrolled: 1-line block ×3, first 2 shown]
	v_add_f32_e32 v5, v5, v6
	v_cvt_f32_i32_dpp v6, v7 row_shl:1 row_mask:0xf bank_mask:0xf bound_ctrl:1
	v_cvt_f32_i32_dpp v7, v9 row_shl:2 row_mask:0xf bank_mask:0xf bound_ctrl:1
	;; [unrolled: 1-line block ×3, first 2 shown]
	v_cvt_i32_f32_e32 v10, v5
	v_add_f32_e32 v6, v8, v6
	v_add_f32_e32 v6, v6, v7
	;; [unrolled: 1-line block ×3, first 2 shown]
	v_cvt_i32_f32_e32 v7, v6
	v_cvt_f32_i32_dpp v9, v10 row_shl:4 row_mask:0xf bank_mask:0xf bound_ctrl:1
	v_cvt_f32_i32_dpp v8, v19 row_shl:8 row_mask:0xf bank_mask:0xf bound_ctrl:1
	v_cvt_i32_f32_e32 v2, v2
	v_cvt_f32_i32_dpp v7, v7 row_shl:4 row_mask:0xf bank_mask:0xf bound_ctrl:1
	v_add_f32_e32 v5, v5, v9
	v_add_f32_e32 v4, v4, v8
	v_cvt_i32_f32_e32 v8, v5
	v_add_f32_e32 v6, v6, v7
	v_cvt_i32_f32_e32 v7, v6
	v_cvt_f32_i32_dpp v2, v2 row_shr:15 row_mask:0xf bank_mask:0xf bound_ctrl:1
	v_cvt_f32_i32_dpp v8, v8 row_shl:8 row_mask:0xf bank_mask:0xf bound_ctrl:1
	v_cvt_i32_f32_e32 v4, v4
	v_cvt_f32_i32_dpp v7, v7 row_shl:8 row_mask:0xf bank_mask:0xf bound_ctrl:1
	v_cvt_i32_f32_e32 v9, v2
	v_add_f32_e32 v5, v5, v8
	v_cvt_f32_i32_dpp v4, v4 row_shr:15 row_mask:0xf bank_mask:0xf bound_ctrl:1
	v_add_f32_e32 v6, v6, v7
	v_cvt_i32_f32_e32 v5, v5
	v_cvt_i32_f32_e32 v6, v6
	v_cvt_f32_i32_dpp v7, v9 row_bcast:15 row_mask:0xf bank_mask:0xf bound_ctrl:1
	v_cvt_i32_f32_e32 v8, v4
	v_cvt_f32_i32_dpp v5, v5 row_shr:15 row_mask:0xf bank_mask:0xf bound_ctrl:1
	v_cvt_f32_i32_dpp v9, v6 row_shr:15 row_mask:0xf bank_mask:0xf bound_ctrl:1
	v_add_f32_e32 v10, v2, v7
	v_cvt_f32_i32_dpp v6, v8 row_bcast:15 row_mask:0xf bank_mask:0xf bound_ctrl:1
	v_cvt_i32_f32_e32 v2, v5
	v_cvt_i32_f32_e32 v7, v9
	v_cvt_i32_f32_e32 v11, v10
	v_add_f32_e32 v8, v4, v6
	v_cvt_f32_i32_dpp v2, v2 row_bcast:15 row_mask:0xf bank_mask:0xf bound_ctrl:1
	v_cvt_f32_i32_dpp v4, v7 row_bcast:15 row_mask:0xf bank_mask:0xf bound_ctrl:1
	v_cvt_i32_f32_e32 v7, v8
	v_mov_b32_dpp v11, v11 row_bcast:31 row_mask:0xf bank_mask:0xf bound_ctrl:1
	v_add_f32_e32 v6, v5, v2
	v_add_f32_e32 v4, v9, v4
	v_cvt_i32_f32_e32 v2, v6
	v_cvt_i32_f32_e32 v5, v4
	v_mov_b32_dpp v9, v7 row_bcast:31 row_mask:0xf bank_mask:0xf bound_ctrl:1
	v_mov_b32_dpp v7, v2 row_bcast:31 row_mask:0xf bank_mask:0xf bound_ctrl:1
	;; [unrolled: 1-line block ×3, first 2 shown]
	s_mov_b64 s[20:21], exec
	scratch_load_dwordx2 v[54:55], off, off offset:68 ; 8-byte Folded Reload
	s_and_b64 s[22:23], s[20:21], s[0:1]
	s_mov_b64 exec, s[22:23]
	s_cbranch_execz .LBB275_7
; %bb.17:                               ;   in Loop: Header=BB275_8 Depth=1
	s_andn2_b64 vcc, exec, s[18:19]
	v_mov_b32_e32 v46, 0
	v_mov_b32_e32 v45, 0
	;; [unrolled: 1-line block ×16, first 2 shown]
	s_cbranch_vccnz .LBB275_19
; %bb.18:                               ;   in Loop: Header=BB275_8 Depth=1
	scratch_load_dword v31, off, off offset:80 ; 4-byte Folded Reload
	v_mov_b32_e32 v35, v123
	v_mov_b32_e32 v25, v123
	;; [unrolled: 1-line block ×3, first 2 shown]
	s_waitcnt vmcnt(1)
	v_mov_b32_e32 v55, v123
	s_waitcnt vmcnt(0)
	v_mul_hi_u32 v2, v54, v31
	v_mul_lo_u32 v2, v2, s8
	v_sub_u32_e32 v2, v54, v2
	v_subrev_u32_e32 v19, s8, v2
	v_cmp_le_u32_e32 vcc, s8, v2
	s_nop 1
	v_cndmask_b32_e32 v2, v2, v19, vcc
	v_subrev_u32_e32 v19, s8, v2
	v_cmp_le_u32_e32 vcc, s8, v2
	s_nop 1
	v_cndmask_b32_e32 v122, v2, v19, vcc
	v_or_b32_e32 v2, 1, v54
	v_mul_hi_u32 v19, v2, v31
	v_mul_lo_u32 v19, v19, s8
	v_sub_u32_e32 v2, v2, v19
	v_subrev_u32_e32 v19, s8, v2
	v_cmp_le_u32_e32 vcc, s8, v2
	v_add_u32_e32 v34, s27, v122
	v_lshl_add_u64 v[58:59], v[34:35], 1, s[10:11]
	v_cndmask_b32_e32 v2, v2, v19, vcc
	v_subrev_u32_e32 v19, s8, v2
	v_cmp_le_u32_e32 vcc, s8, v2
	v_lshl_add_u64 v[22:23], v[122:123], 1, s[10:11]
	s_nop 0
	v_cndmask_b32_e32 v24, v2, v19, vcc
	v_or_b32_e32 v2, 2, v54
	v_mul_hi_u32 v19, v2, v31
	v_mul_lo_u32 v19, v19, s8
	v_sub_u32_e32 v2, v2, v19
	v_subrev_u32_e32 v19, s8, v2
	v_cmp_le_u32_e32 vcc, s8, v2
	v_add_u32_e32 v34, s27, v24
	v_lshl_add_u64 v[60:61], v[34:35], 1, s[10:11]
	v_cndmask_b32_e32 v2, v2, v19, vcc
	v_subrev_u32_e32 v19, s8, v2
	v_cmp_le_u32_e32 vcc, s8, v2
	v_lshl_add_u64 v[26:27], v[24:25], 1, s[10:11]
	;; [unrolled: 14-line block ×3, first 2 shown]
	s_nop 0
	v_cndmask_b32_e32 v54, v2, v19, vcc
	v_add_u32_e32 v34, s27, v54
	v_lshl_add_u64 v[56:57], v[54:55], 1, s[10:11]
	v_lshl_add_u64 v[64:65], v[34:35], 1, s[10:11]
	global_load_ushort v46, v[22:23], off
	global_load_ushort v45, v[26:27], off
	;; [unrolled: 1-line block ×7, first 2 shown]
                                        ; kill: killed $vgpr58_vgpr59
                                        ; kill: killed $vgpr60_vgpr61
                                        ; kill: killed $vgpr62_vgpr63
                                        ; kill: killed $vgpr26_vgpr27
                                        ; kill: killed $vgpr22_vgpr23
                                        ; kill: killed $vgpr52_vgpr53
                                        ; kill: killed $vgpr56_vgpr57
	global_load_ushort v34, v[64:65], off
	v_add_u32_e32 v22, s28, v122
	v_add_u32_e32 v122, s29, v122
	v_lshl_add_u64 v[60:61], v[122:123], 1, s[10:11]
	v_add_u32_e32 v122, s29, v24
	v_add_u32_e32 v26, s28, v24
	v_mov_b32_e32 v27, v123
	v_lshl_add_u64 v[62:63], v[122:123], 1, s[10:11]
	v_add_u32_e32 v122, s29, v50
	v_mov_b32_e32 v23, v123
	v_lshl_add_u64 v[52:53], v[26:27], 1, s[10:11]
	v_add_u32_e32 v26, s28, v50
	v_lshl_add_u64 v[50:51], v[122:123], 1, s[10:11]
	v_add_u32_e32 v122, s29, v54
	v_lshl_add_u64 v[22:23], v[22:23], 1, s[10:11]
	v_lshl_add_u64 v[56:57], v[26:27], 1, s[10:11]
	v_add_u32_e32 v26, s28, v54
	v_lshl_add_u64 v[54:55], v[122:123], 1, s[10:11]
	v_lshl_add_u64 v[58:59], v[26:27], 1, s[10:11]
	global_load_ushort v31, v[22:23], off
	global_load_ushort v27, v[52:53], off
	;; [unrolled: 1-line block ×3, first 2 shown]
                                        ; kill: killed $vgpr22_vgpr23
                                        ; kill: killed $vgpr52_vgpr53
                                        ; kill: killed $vgpr56_vgpr57
	global_load_ushort v25, v[58:59], off
	global_load_ushort v24, v[60:61], off
	s_nop 0
	global_load_ushort v23, v[62:63], off
	global_load_ushort v22, v[50:51], off
	global_load_ushort v19, v[54:55], off
                                        ; kill: killed $vgpr50_vgpr51
                                        ; kill: killed $vgpr54_vgpr55
	s_nop 0
	scratch_load_dwordx2 v[54:55], off, off offset:68 ; 8-byte Folded Reload
.LBB275_19:                             ;   in Loop: Header=BB275_8 Depth=1
	v_cvt_f32_i32_e32 v2, v49
	v_add_f32_e32 v1, v1, v2
	s_waitcnt vmcnt(16)
	v_lshlrev_b32_e32 v2, 16, v46
	v_add_f32_e32 v1, v1, v2
	v_and_b32_e32 v2, 0x7f800000, v1
	v_cmp_ne_u32_e32 vcc, s31, v2
                                        ; implicit-def: $vgpr2
	s_and_saveexec_b64 s[22:23], vcc
	s_xor_b64 s[22:23], exec, s[22:23]
; %bb.20:                               ;   in Loop: Header=BB275_8 Depth=1
	v_bfe_u32 v2, v1, 16, 1
	v_add3_u32 v2, v1, v2, s33
                                        ; implicit-def: $vgpr1
; %bb.21:                               ;   in Loop: Header=BB275_8 Depth=1
	s_andn2_saveexec_b64 s[22:23], s[22:23]
; %bb.22:                               ;   in Loop: Header=BB275_8 Depth=1
	v_or_b32_e32 v2, 0x10000, v1
	v_cmp_eq_u32_sdwa vcc, v1, v123 src0_sel:WORD_0 src1_sel:DWORD
	s_nop 1
	v_cndmask_b32_e32 v2, v2, v1, vcc
; %bb.23:                               ;   in Loop: Header=BB275_8 Depth=1
	s_or_b64 exec, exec, s[22:23]
	v_cvt_f32_i32_e32 v46, v0
	s_waitcnt vmcnt(0)
	v_mov_b32_e32 v55, v123
	s_waitcnt lgkmcnt(0)
	v_lshl_add_u64 v[0:1], v[54:55], 1, s[14:15]
	global_store_short_d16_hi v[0:1], v2, off
	v_add_f32_e32 v2, v48, v46
	v_lshlrev_b32_e32 v45, 16, v45
	v_add_f32_e32 v2, v2, v45
	v_and_b32_e32 v45, 0x7f800000, v2
	v_cmp_ne_u32_e32 vcc, s31, v45
                                        ; implicit-def: $vgpr45
	s_and_saveexec_b64 s[22:23], vcc
	s_xor_b64 s[22:23], exec, s[22:23]
; %bb.24:                               ;   in Loop: Header=BB275_8 Depth=1
	v_bfe_u32 v45, v2, 16, 1
	v_add3_u32 v45, v2, v45, s33
                                        ; implicit-def: $vgpr2
; %bb.25:                               ;   in Loop: Header=BB275_8 Depth=1
	s_andn2_saveexec_b64 s[22:23], s[22:23]
; %bb.26:                               ;   in Loop: Header=BB275_8 Depth=1
	v_or_b32_e32 v45, 0x10000, v2
	v_cmp_eq_u32_sdwa vcc, v2, v123 src0_sel:WORD_0 src1_sel:DWORD
	s_nop 1
	v_cndmask_b32_e32 v45, v45, v2, vcc
; %bb.27:                               ;   in Loop: Header=BB275_8 Depth=1
	s_or_b64 exec, exec, s[22:23]
	v_cvt_f32_i32_e32 v2, v41
	v_lshlrev_b32_e32 v41, 16, v43
	global_store_short_d16_hi v[0:1], v45, off offset:2
	v_add_f32_e32 v2, v44, v2
	v_add_f32_e32 v2, v2, v41
	v_and_b32_e32 v41, 0x7f800000, v2
	v_cmp_ne_u32_e32 vcc, s31, v41
                                        ; implicit-def: $vgpr41
	s_and_saveexec_b64 s[22:23], vcc
	s_xor_b64 s[22:23], exec, s[22:23]
; %bb.28:                               ;   in Loop: Header=BB275_8 Depth=1
	v_bfe_u32 v41, v2, 16, 1
	v_add3_u32 v41, v2, v41, s33
                                        ; implicit-def: $vgpr2
; %bb.29:                               ;   in Loop: Header=BB275_8 Depth=1
	s_andn2_saveexec_b64 s[22:23], s[22:23]
; %bb.30:                               ;   in Loop: Header=BB275_8 Depth=1
	v_or_b32_e32 v41, 0x10000, v2
	v_cmp_eq_u32_sdwa vcc, v2, v123 src0_sel:WORD_0 src1_sel:DWORD
	s_nop 1
	v_cndmask_b32_e32 v41, v41, v2, vcc
; %bb.31:                               ;   in Loop: Header=BB275_8 Depth=1
	s_or_b64 exec, exec, s[22:23]
	v_cvt_f32_i32_e32 v2, v37
	v_lshlrev_b32_e32 v37, 16, v42
	global_store_short_d16_hi v[0:1], v41, off offset:4
	v_add_f32_e32 v2, v40, v2
	v_add_f32_e32 v2, v2, v37
	v_and_b32_e32 v37, 0x7f800000, v2
	v_cmp_ne_u32_e32 vcc, s31, v37
                                        ; implicit-def: $vgpr37
	s_and_saveexec_b64 s[22:23], vcc
	s_xor_b64 s[22:23], exec, s[22:23]
; %bb.32:                               ;   in Loop: Header=BB275_8 Depth=1
	v_bfe_u32 v37, v2, 16, 1
	v_add3_u32 v37, v2, v37, s33
                                        ; implicit-def: $vgpr2
; %bb.33:                               ;   in Loop: Header=BB275_8 Depth=1
	s_andn2_saveexec_b64 s[22:23], s[22:23]
; %bb.34:                               ;   in Loop: Header=BB275_8 Depth=1
	v_or_b32_e32 v37, 0x10000, v2
	v_cmp_eq_u32_sdwa vcc, v2, v123 src0_sel:WORD_0 src1_sel:DWORD
	s_nop 1
	v_cndmask_b32_e32 v37, v37, v2, vcc
; %bb.35:                               ;   in Loop: Header=BB275_8 Depth=1
	s_or_b64 exec, exec, s[22:23]
	v_cvt_f32_i32_e32 v2, v33
	global_store_short_d16_hi v[0:1], v37, off offset:6
	v_lshlrev_b32_e32 v1, 16, v39
	v_add_f32_e32 v0, v36, v2
	v_add_f32_e32 v1, v0, v1
	v_and_b32_e32 v0, 0x7f800000, v1
	v_cmp_ne_u32_e32 vcc, s31, v0
                                        ; implicit-def: $vgpr0
	s_and_saveexec_b64 s[22:23], vcc
	s_xor_b64 s[22:23], exec, s[22:23]
; %bb.36:                               ;   in Loop: Header=BB275_8 Depth=1
	v_bfe_u32 v0, v1, 16, 1
	v_add3_u32 v0, v1, v0, s33
                                        ; implicit-def: $vgpr1
; %bb.37:                               ;   in Loop: Header=BB275_8 Depth=1
	s_andn2_saveexec_b64 s[22:23], s[22:23]
; %bb.38:                               ;   in Loop: Header=BB275_8 Depth=1
	v_or_b32_e32 v0, 0x10000, v1
	v_cmp_eq_u32_sdwa vcc, v1, v123 src0_sel:WORD_0 src1_sel:DWORD
	s_nop 1
	v_cndmask_b32_e32 v0, v0, v1, vcc
; %bb.39:                               ;   in Loop: Header=BB275_8 Depth=1
	s_or_b64 exec, exec, s[22:23]
	v_cvt_f32_i32_e32 v1, v30
	v_add_u32_e32 v122, s7, v54
	v_lshl_add_u64 v[36:37], v[122:123], 1, s[14:15]
	global_store_short_d16_hi v[36:37], v0, off
	v_add_f32_e32 v0, v32, v1
	v_lshlrev_b32_e32 v1, 16, v38
	v_add_f32_e32 v1, v0, v1
	v_and_b32_e32 v0, 0x7f800000, v1
	v_cmp_ne_u32_e32 vcc, s31, v0
                                        ; implicit-def: $vgpr0
	s_and_saveexec_b64 s[22:23], vcc
	s_xor_b64 s[22:23], exec, s[22:23]
; %bb.40:                               ;   in Loop: Header=BB275_8 Depth=1
	v_bfe_u32 v0, v1, 16, 1
	v_add3_u32 v0, v1, v0, s33
                                        ; implicit-def: $vgpr1
; %bb.41:                               ;   in Loop: Header=BB275_8 Depth=1
	s_andn2_saveexec_b64 s[22:23], s[22:23]
; %bb.42:                               ;   in Loop: Header=BB275_8 Depth=1
	v_or_b32_e32 v0, 0x10000, v1
	v_cmp_eq_u32_sdwa vcc, v1, v123 src0_sel:WORD_0 src1_sel:DWORD
	s_nop 1
	v_cndmask_b32_e32 v0, v0, v1, vcc
; %bb.43:                               ;   in Loop: Header=BB275_8 Depth=1
	s_or_b64 exec, exec, s[22:23]
	v_cvt_f32_i32_e32 v1, v29
	v_add_u32_e32 v32, 1, v122
	v_mov_b32_e32 v33, v123
	v_lshl_add_u64 v[32:33], v[32:33], 1, s[14:15]
	v_add_f32_e32 v1, v28, v1
	global_store_short_d16_hi v[32:33], v0, off
	v_lshlrev_b32_e32 v0, 16, v35
	v_add_f32_e32 v1, v1, v0
	v_and_b32_e32 v0, 0x7f800000, v1
	v_cmp_ne_u32_e32 vcc, s31, v0
                                        ; implicit-def: $vgpr0
	s_and_saveexec_b64 s[22:23], vcc
	s_xor_b64 s[22:23], exec, s[22:23]
; %bb.44:                               ;   in Loop: Header=BB275_8 Depth=1
	v_bfe_u32 v0, v1, 16, 1
	v_add3_u32 v0, v1, v0, s33
                                        ; implicit-def: $vgpr1
; %bb.45:                               ;   in Loop: Header=BB275_8 Depth=1
	s_andn2_saveexec_b64 s[22:23], s[22:23]
; %bb.46:                               ;   in Loop: Header=BB275_8 Depth=1
	v_or_b32_e32 v0, 0x10000, v1
	v_cmp_eq_u32_sdwa vcc, v1, v123 src0_sel:WORD_0 src1_sel:DWORD
	s_nop 1
	v_cndmask_b32_e32 v0, v0, v1, vcc
; %bb.47:                               ;   in Loop: Header=BB275_8 Depth=1
	s_or_b64 exec, exec, s[22:23]
	v_cvt_f32_i32_e32 v1, v21
	v_add_u32_e32 v28, 2, v122
	v_mov_b32_e32 v29, v123
	v_lshl_add_u64 v[28:29], v[28:29], 1, s[14:15]
	v_add_f32_e32 v1, v3, v1
	global_store_short_d16_hi v[28:29], v0, off
	;; [unrolled: 26-line block ×3, first 2 shown]
	v_lshlrev_b32_e32 v0, 16, v31
	v_add_f32_e32 v0, v1, v0
	v_and_b32_e32 v1, 0x7f800000, v0
	v_cmp_ne_u32_e32 vcc, s31, v1
                                        ; implicit-def: $vgpr2
	s_and_saveexec_b64 s[22:23], vcc
	s_xor_b64 s[22:23], exec, s[22:23]
; %bb.52:                               ;   in Loop: Header=BB275_8 Depth=1
	v_bfe_u32 v1, v0, 16, 1
	v_add3_u32 v2, v0, v1, s33
                                        ; implicit-def: $vgpr0
; %bb.53:                               ;   in Loop: Header=BB275_8 Depth=1
	s_andn2_saveexec_b64 s[22:23], s[22:23]
; %bb.54:                               ;   in Loop: Header=BB275_8 Depth=1
	v_or_b32_e32 v1, 0x10000, v0
	v_cmp_eq_u32_sdwa vcc, v0, v123 src0_sel:WORD_0 src1_sel:DWORD
	s_nop 1
	v_cndmask_b32_e32 v2, v1, v0, vcc
; %bb.55:                               ;   in Loop: Header=BB275_8 Depth=1
	s_or_b64 exec, exec, s[22:23]
	v_cvt_f32_i32_e32 v3, v17
	v_add_u32_e32 v122, s7, v122
	v_lshl_add_u64 v[0:1], v[122:123], 1, s[14:15]
	global_store_short_d16_hi v[0:1], v2, off
	v_add_f32_e32 v2, v16, v3
	v_lshlrev_b32_e32 v3, 16, v27
	v_add_f32_e32 v2, v2, v3
	v_and_b32_e32 v3, 0x7f800000, v2
	v_cmp_ne_u32_e32 vcc, s31, v3
                                        ; implicit-def: $vgpr3
	s_and_saveexec_b64 s[22:23], vcc
	s_xor_b64 s[22:23], exec, s[22:23]
; %bb.56:                               ;   in Loop: Header=BB275_8 Depth=1
	v_bfe_u32 v3, v2, 16, 1
	v_add3_u32 v3, v2, v3, s33
                                        ; implicit-def: $vgpr2
; %bb.57:                               ;   in Loop: Header=BB275_8 Depth=1
	s_andn2_saveexec_b64 s[22:23], s[22:23]
; %bb.58:                               ;   in Loop: Header=BB275_8 Depth=1
	v_or_b32_e32 v3, 0x10000, v2
	v_cmp_eq_u32_sdwa vcc, v2, v123 src0_sel:WORD_0 src1_sel:DWORD
	s_nop 1
	v_cndmask_b32_e32 v3, v3, v2, vcc
; %bb.59:                               ;   in Loop: Header=BB275_8 Depth=1
	s_or_b64 exec, exec, s[22:23]
	v_cvt_f32_i32_e32 v2, v15
	global_store_short_d16_hi v[0:1], v3, off offset:2
	v_lshlrev_b32_e32 v1, 16, v26
	v_add_f32_e32 v0, v14, v2
	v_add_f32_e32 v1, v0, v1
	v_and_b32_e32 v0, 0x7f800000, v1
	v_cmp_ne_u32_e32 vcc, s31, v0
                                        ; implicit-def: $vgpr0
	s_and_saveexec_b64 s[22:23], vcc
	s_xor_b64 s[22:23], exec, s[22:23]
; %bb.60:                               ;   in Loop: Header=BB275_8 Depth=1
	v_bfe_u32 v0, v1, 16, 1
	v_add3_u32 v0, v1, v0, s33
                                        ; implicit-def: $vgpr1
; %bb.61:                               ;   in Loop: Header=BB275_8 Depth=1
	s_andn2_saveexec_b64 s[22:23], s[22:23]
; %bb.62:                               ;   in Loop: Header=BB275_8 Depth=1
	v_or_b32_e32 v0, 0x10000, v1
	v_cmp_eq_u32_sdwa vcc, v1, v123 src0_sel:WORD_0 src1_sel:DWORD
	s_nop 1
	v_cndmask_b32_e32 v0, v0, v1, vcc
; %bb.63:                               ;   in Loop: Header=BB275_8 Depth=1
	s_or_b64 exec, exec, s[22:23]
	v_cvt_f32_i32_e32 v1, v13
	v_add_u32_e32 v2, 2, v122
	v_mov_b32_e32 v3, v123
	v_lshl_add_u64 v[2:3], v[2:3], 1, s[14:15]
	v_add_f32_e32 v1, v12, v1
	global_store_short_d16_hi v[2:3], v0, off
	v_lshlrev_b32_e32 v0, 16, v25
	v_add_f32_e32 v1, v1, v0
	v_and_b32_e32 v0, 0x7f800000, v1
	v_cmp_ne_u32_e32 vcc, s31, v0
                                        ; implicit-def: $vgpr0
	s_and_saveexec_b64 s[22:23], vcc
	s_xor_b64 s[22:23], exec, s[22:23]
; %bb.64:                               ;   in Loop: Header=BB275_8 Depth=1
	v_bfe_u32 v0, v1, 16, 1
	v_add3_u32 v0, v1, v0, s33
                                        ; implicit-def: $vgpr1
; %bb.65:                               ;   in Loop: Header=BB275_8 Depth=1
	s_andn2_saveexec_b64 s[22:23], s[22:23]
; %bb.66:                               ;   in Loop: Header=BB275_8 Depth=1
	v_or_b32_e32 v0, 0x10000, v1
	v_cmp_eq_u32_sdwa vcc, v1, v123 src0_sel:WORD_0 src1_sel:DWORD
	s_nop 1
	v_cndmask_b32_e32 v0, v0, v1, vcc
; %bb.67:                               ;   in Loop: Header=BB275_8 Depth=1
	s_or_b64 exec, exec, s[22:23]
	v_cvt_f32_i32_e32 v1, v11
	v_add_u32_e32 v2, 3, v122
	v_mov_b32_e32 v3, v123
	v_lshl_add_u64 v[2:3], v[2:3], 1, s[14:15]
	v_add_f32_e32 v1, v10, v1
	global_store_short_d16_hi v[2:3], v0, off
	v_lshlrev_b32_e32 v0, 16, v24
	v_add_f32_e32 v1, v1, v0
	v_and_b32_e32 v0, 0x7f800000, v1
	v_cmp_ne_u32_e32 vcc, s31, v0
                                        ; implicit-def: $vgpr0
	s_and_saveexec_b64 s[22:23], vcc
	s_xor_b64 s[22:23], exec, s[22:23]
; %bb.68:                               ;   in Loop: Header=BB275_8 Depth=1
	v_bfe_u32 v0, v1, 16, 1
	v_add3_u32 v0, v1, v0, s33
                                        ; implicit-def: $vgpr1
; %bb.69:                               ;   in Loop: Header=BB275_8 Depth=1
	s_andn2_saveexec_b64 s[22:23], s[22:23]
; %bb.70:                               ;   in Loop: Header=BB275_8 Depth=1
	v_or_b32_e32 v0, 0x10000, v1
	v_cmp_eq_u32_sdwa vcc, v1, v123 src0_sel:WORD_0 src1_sel:DWORD
	s_nop 1
	v_cndmask_b32_e32 v0, v0, v1, vcc
; %bb.71:                               ;   in Loop: Header=BB275_8 Depth=1
	s_or_b64 exec, exec, s[22:23]
	v_cvt_f32_i32_e32 v1, v9
	v_add_u32_e32 v122, s7, v122
	v_lshl_add_u64 v[2:3], v[122:123], 1, s[14:15]
	global_store_short_d16_hi v[2:3], v0, off
	v_add_f32_e32 v0, v8, v1
	v_lshlrev_b32_e32 v1, 16, v23
	v_add_f32_e32 v1, v0, v1
	v_and_b32_e32 v0, 0x7f800000, v1
	v_cmp_ne_u32_e32 vcc, s31, v0
                                        ; implicit-def: $vgpr0
	s_and_saveexec_b64 s[22:23], vcc
	s_xor_b64 s[22:23], exec, s[22:23]
; %bb.72:                               ;   in Loop: Header=BB275_8 Depth=1
	v_bfe_u32 v0, v1, 16, 1
	v_add3_u32 v0, v1, v0, s33
                                        ; implicit-def: $vgpr1
; %bb.73:                               ;   in Loop: Header=BB275_8 Depth=1
	s_andn2_saveexec_b64 s[22:23], s[22:23]
; %bb.74:                               ;   in Loop: Header=BB275_8 Depth=1
	v_or_b32_e32 v0, 0x10000, v1
	v_cmp_eq_u32_sdwa vcc, v1, v123 src0_sel:WORD_0 src1_sel:DWORD
	s_nop 1
	v_cndmask_b32_e32 v0, v0, v1, vcc
; %bb.75:                               ;   in Loop: Header=BB275_8 Depth=1
	s_or_b64 exec, exec, s[22:23]
	v_cvt_f32_i32_e32 v1, v7
	v_add_u32_e32 v2, 1, v122
	v_mov_b32_e32 v3, v123
	v_lshl_add_u64 v[2:3], v[2:3], 1, s[14:15]
	v_add_f32_e32 v1, v6, v1
	global_store_short_d16_hi v[2:3], v0, off
	v_lshlrev_b32_e32 v0, 16, v22
	v_add_f32_e32 v1, v1, v0
	v_and_b32_e32 v0, 0x7f800000, v1
	v_cmp_ne_u32_e32 vcc, s31, v0
                                        ; implicit-def: $vgpr0
	s_and_saveexec_b64 s[22:23], vcc
	s_xor_b64 s[22:23], exec, s[22:23]
; %bb.76:                               ;   in Loop: Header=BB275_8 Depth=1
	v_bfe_u32 v0, v1, 16, 1
	v_add3_u32 v0, v1, v0, s33
                                        ; implicit-def: $vgpr1
; %bb.77:                               ;   in Loop: Header=BB275_8 Depth=1
	s_andn2_saveexec_b64 s[22:23], s[22:23]
; %bb.78:                               ;   in Loop: Header=BB275_8 Depth=1
	v_or_b32_e32 v0, 0x10000, v1
	v_cmp_eq_u32_sdwa vcc, v1, v123 src0_sel:WORD_0 src1_sel:DWORD
	s_nop 1
	v_cndmask_b32_e32 v0, v0, v1, vcc
; %bb.79:                               ;   in Loop: Header=BB275_8 Depth=1
	s_or_b64 exec, exec, s[22:23]
	v_cvt_f32_i32_e32 v1, v5
	v_add_u32_e32 v2, 2, v122
	v_mov_b32_e32 v3, v123
	v_lshl_add_u64 v[2:3], v[2:3], 1, s[14:15]
	v_add_f32_e32 v1, v4, v1
	global_store_short_d16_hi v[2:3], v0, off
	v_lshlrev_b32_e32 v0, 16, v19
	v_add_f32_e32 v1, v1, v0
	v_and_b32_e32 v0, 0x7f800000, v1
	v_cmp_ne_u32_e32 vcc, s31, v0
                                        ; implicit-def: $vgpr0
	s_and_saveexec_b64 s[22:23], vcc
	s_xor_b64 s[22:23], exec, s[22:23]
; %bb.80:                               ;   in Loop: Header=BB275_8 Depth=1
	v_bfe_u32 v0, v1, 16, 1
	v_add3_u32 v0, v1, v0, s33
                                        ; implicit-def: $vgpr1
; %bb.81:                               ;   in Loop: Header=BB275_8 Depth=1
	s_andn2_saveexec_b64 s[22:23], s[22:23]
	s_cbranch_execz .LBB275_6
; %bb.82:                               ;   in Loop: Header=BB275_8 Depth=1
	v_or_b32_e32 v0, 0x10000, v1
	v_cmp_eq_u32_sdwa vcc, v1, v123 src0_sel:WORD_0 src1_sel:DWORD
	s_nop 1
	v_cndmask_b32_e32 v0, v0, v1, vcc
	s_branch .LBB275_6
.LBB275_83:
	s_endpgm
	.section	.rodata,"a",@progbits
	.p2align	6, 0x0
	.amdhsa_kernel _Z16wvSplitK_hf_sml_I14__hip_bfloat16Li64ELi4ELi16ELi8ELi2ELi4EEviiiiiiPKT_S3_S3_PS1_ii
		.amdhsa_group_segment_fixed_size 65536
		.amdhsa_private_segment_fixed_size 88
		.amdhsa_kernarg_size 64
		.amdhsa_user_sgpr_count 2
		.amdhsa_user_sgpr_dispatch_ptr 0
		.amdhsa_user_sgpr_queue_ptr 0
		.amdhsa_user_sgpr_kernarg_segment_ptr 1
		.amdhsa_user_sgpr_dispatch_id 0
		.amdhsa_user_sgpr_kernarg_preload_length 0
		.amdhsa_user_sgpr_kernarg_preload_offset 0
		.amdhsa_user_sgpr_private_segment_size 0
		.amdhsa_uses_dynamic_stack 0
		.amdhsa_enable_private_segment 1
		.amdhsa_system_sgpr_workgroup_id_x 1
		.amdhsa_system_sgpr_workgroup_id_y 0
		.amdhsa_system_sgpr_workgroup_id_z 0
		.amdhsa_system_sgpr_workgroup_info 0
		.amdhsa_system_vgpr_workitem_id 1
		.amdhsa_next_free_vgpr 128
		.amdhsa_next_free_sgpr 35
		.amdhsa_accum_offset 128
		.amdhsa_reserve_vcc 1
		.amdhsa_float_round_mode_32 0
		.amdhsa_float_round_mode_16_64 0
		.amdhsa_float_denorm_mode_32 3
		.amdhsa_float_denorm_mode_16_64 3
		.amdhsa_dx10_clamp 1
		.amdhsa_ieee_mode 1
		.amdhsa_fp16_overflow 0
		.amdhsa_tg_split 0
		.amdhsa_exception_fp_ieee_invalid_op 0
		.amdhsa_exception_fp_denorm_src 0
		.amdhsa_exception_fp_ieee_div_zero 0
		.amdhsa_exception_fp_ieee_overflow 0
		.amdhsa_exception_fp_ieee_underflow 0
		.amdhsa_exception_fp_ieee_inexact 0
		.amdhsa_exception_int_div_zero 0
	.end_amdhsa_kernel
	.section	.text._Z16wvSplitK_hf_sml_I14__hip_bfloat16Li64ELi4ELi16ELi8ELi2ELi4EEviiiiiiPKT_S3_S3_PS1_ii,"axG",@progbits,_Z16wvSplitK_hf_sml_I14__hip_bfloat16Li64ELi4ELi16ELi8ELi2ELi4EEviiiiiiPKT_S3_S3_PS1_ii,comdat
.Lfunc_end275:
	.size	_Z16wvSplitK_hf_sml_I14__hip_bfloat16Li64ELi4ELi16ELi8ELi2ELi4EEviiiiiiPKT_S3_S3_PS1_ii, .Lfunc_end275-_Z16wvSplitK_hf_sml_I14__hip_bfloat16Li64ELi4ELi16ELi8ELi2ELi4EEviiiiiiPKT_S3_S3_PS1_ii
                                        ; -- End function
	.section	.AMDGPU.csdata,"",@progbits
; Kernel info:
; codeLenInByte = 6804
; NumSgprs: 41
; NumVgprs: 128
; NumAgprs: 0
; TotalNumVgprs: 128
; ScratchSize: 88
; MemoryBound: 0
; FloatMode: 240
; IeeeMode: 1
; LDSByteSize: 65536 bytes/workgroup (compile time only)
; SGPRBlocks: 5
; VGPRBlocks: 15
; NumSGPRsForWavesPerEU: 41
; NumVGPRsForWavesPerEU: 128
; AccumOffset: 128
; Occupancy: 4
; WaveLimiterHint : 0
; COMPUTE_PGM_RSRC2:SCRATCH_EN: 1
; COMPUTE_PGM_RSRC2:USER_SGPR: 2
; COMPUTE_PGM_RSRC2:TRAP_HANDLER: 0
; COMPUTE_PGM_RSRC2:TGID_X_EN: 1
; COMPUTE_PGM_RSRC2:TGID_Y_EN: 0
; COMPUTE_PGM_RSRC2:TGID_Z_EN: 0
; COMPUTE_PGM_RSRC2:TIDIG_COMP_CNT: 1
; COMPUTE_PGM_RSRC3_GFX90A:ACCUM_OFFSET: 31
; COMPUTE_PGM_RSRC3_GFX90A:TG_SPLIT: 0
	.section	.text._Z12wvSplitK_hf_I14__hip_bfloat16Li64ELi4ELi16ELi8ELi2ELi4EEviiiiiiPKT_S3_S3_PS1_ii,"axG",@progbits,_Z12wvSplitK_hf_I14__hip_bfloat16Li64ELi4ELi16ELi8ELi2ELi4EEviiiiiiPKT_S3_S3_PS1_ii,comdat
	.protected	_Z12wvSplitK_hf_I14__hip_bfloat16Li64ELi4ELi16ELi8ELi2ELi4EEviiiiiiPKT_S3_S3_PS1_ii ; -- Begin function _Z12wvSplitK_hf_I14__hip_bfloat16Li64ELi4ELi16ELi8ELi2ELi4EEviiiiiiPKT_S3_S3_PS1_ii
	.globl	_Z12wvSplitK_hf_I14__hip_bfloat16Li64ELi4ELi16ELi8ELi2ELi4EEviiiiiiPKT_S3_S3_PS1_ii
	.p2align	8
	.type	_Z12wvSplitK_hf_I14__hip_bfloat16Li64ELi4ELi16ELi8ELi2ELi4EEviiiiiiPKT_S3_S3_PS1_ii,@function
_Z12wvSplitK_hf_I14__hip_bfloat16Li64ELi4ELi16ELi8ELi2ELi4EEviiiiiiPKT_S3_S3_PS1_ii: ; @_Z12wvSplitK_hf_I14__hip_bfloat16Li64ELi4ELi16ELi8ELi2ELi4EEviiiiiiPKT_S3_S3_PS1_ii
; %bb.0:
	s_load_dwordx2 s[8:9], s[0:1], 0x38
	s_load_dwordx4 s[12:15], s[0:1], 0x0
	s_load_dwordx2 s[20:21], s[0:1], 0x10
	v_mov_b32_e32 v1, v0
	v_bfe_u32 v6, v1, 10, 10
	s_waitcnt lgkmcnt(0)
	s_mul_i32 s2, s2, s8
	v_add_lshl_u32 v72, s2, v6, 2
	s_mov_b32 s4, 1
	v_add_u32_e32 v0, 4, v72
	s_mov_b32 s5, s4
	v_cmp_gt_u32_e32 vcc, s15, v72
	v_cmp_le_u32_e64 s[2:3], s15, v0
	s_mov_b32 s6, s4
	s_mov_b32 s7, s4
	v_mov_b64_e32 v[2:3], s[4:5]
	s_and_b64 s[10:11], vcc, s[2:3]
	v_mov_b64_e32 v[4:5], s[6:7]
	s_and_saveexec_b64 s[2:3], s[10:11]
	s_cbranch_execz .LBB276_6
; %bb.1:
	s_add_i32 s22, s15, -4
	v_mov_b64_e32 v[2:3], s[4:5]
	v_cmp_ne_u32_e32 vcc, s22, v72
	v_mov_b64_e32 v[4:5], s[6:7]
	s_and_saveexec_b64 s[10:11], vcc
	s_cbranch_execz .LBB276_5
; %bb.2:
	v_subrev_u32_e32 v0, s22, v72
	v_cmp_lt_u32_e32 vcc, 1, v0
	s_mov_b64 s[16:17], 0
	s_mov_b64 s[18:19], 0
	v_cndmask_b32_e32 v0, 1, v0, vcc
	s_mov_b32 s5, s4
	s_mov_b32 s6, s4
	;; [unrolled: 1-line block ×3, first 2 shown]
.LBB276_3:                              ; =>This Inner Loop Header: Depth=1
	s_cmp_lg_u32 s18, 3
	s_cselect_b32 s7, s7, 0
	s_cmp_lg_u32 s18, 2
	s_cselect_b32 s6, s6, 0
	;; [unrolled: 2-line block ×4, first 2 shown]
	s_add_u32 s18, s18, 1
	s_addc_u32 s19, s19, 0
	v_cmp_eq_u32_e32 vcc, s18, v0
	v_mov_b64_e32 v[2:3], s[4:5]
	s_or_b64 s[16:17], vcc, s[16:17]
	v_mov_b64_e32 v[4:5], s[6:7]
	s_andn2_b64 exec, exec, s[16:17]
	s_cbranch_execnz .LBB276_3
; %bb.4:
	s_or_b64 exec, exec, s[16:17]
	v_mov_b32_e32 v72, s22
.LBB276_5:
	s_or_b64 exec, exec, s[10:11]
.LBB276_6:
	s_or_b64 exec, exec, s[2:3]
	s_load_dwordx4 s[16:19], s[0:1], 0x20
	v_and_b32_e32 v7, 0x3ff, v1
	v_lshlrev_b32_e32 v8, 3, v7
	s_lshl_b32 s33, s14, 2
	v_mov_b32_e32 v0, v8
	v_lshl_add_u32 v8, v6, 9, v8
	s_min_u32 s10, s33, 0x8000
	v_cmp_gt_u32_e32 vcc, s10, v8
	scratch_store_dwordx2 off, v[0:1], off offset:96 ; 8-byte Folded Spill
	s_and_saveexec_b64 s[2:3], vcc
	s_cbranch_execz .LBB276_9
; %bb.7:
	v_mov_b32_e32 v11, 0
	v_lshlrev_b32_e32 v10, 10, v6
	v_lshlrev_b32_e32 v12, 4, v7
	v_mov_b32_e32 v13, v11
	v_lshl_add_u64 v[0:1], v[10:11], 0, v[12:13]
	s_waitcnt lgkmcnt(0)
	v_lshl_add_u64 v[0:1], s[16:17], 0, v[0:1]
	v_add_u32_e32 v9, v10, v12
	s_mov_b64 s[4:5], 0
	s_mov_b64 s[6:7], 0x4000
.LBB276_8:                              ; =>This Inner Loop Header: Depth=1
	global_load_dwordx4 v[10:13], v[0:1], off
	v_add_u32_e32 v8, 0x2000, v8
	v_cmp_le_u32_e32 vcc, s10, v8
	v_lshl_add_u64 v[0:1], v[0:1], 0, s[6:7]
	s_or_b64 s[4:5], vcc, s[4:5]
	s_waitcnt vmcnt(0)
	ds_write_b128 v9, v[10:13]
	v_add_u32_e32 v9, 0x4000, v9
	s_andn2_b64 exec, exec, s[4:5]
	s_cbranch_execnz .LBB276_8
.LBB276_9:
	s_or_b64 exec, exec, s[2:3]
	v_cmp_gt_u32_e32 vcc, s8, v6
	v_cmp_gt_u32_e64 s[2:3], s15, v72
	s_and_b64 s[2:3], vcc, s[2:3]
	s_waitcnt lgkmcnt(0)
	s_barrier
	s_and_saveexec_b64 s[4:5], s[2:3]
	s_cbranch_execz .LBB276_158
; %bb.10:
	s_cmp_lg_u32 s12, 0
	v_cvt_f32_u32_e32 v0, s20
	s_cselect_b64 s[2:3], -1, 0
	s_add_i32 s40, s12, -8
	s_add_i32 s41, s15, -1
	s_mul_i32 s4, s8, s9
	s_cmp_lg_u64 s[18:19], 0
	s_cselect_b64 s[28:29], -1, 0
	s_lshl_b32 s42, s4, 2
	s_abs_i32 s4, s21
	v_rcp_iflag_f32_e32 v0, v0
	v_cvt_f32_u32_e32 v1, s4
	s_sub_i32 s5, 0, s20
	s_load_dwordx2 s[22:23], s[0:1], 0x18
	s_load_dwordx2 s[24:25], s[0:1], 0x30
	v_mul_f32_e32 v0, 0x4f7ffffe, v0
	v_rcp_iflag_f32_e32 v1, v1
	v_cvt_u32_f32_e32 v0, v0
	s_add_i32 s21, s15, -4
	v_cmp_eq_u32_e64 s[0:1], 63, v7
	v_mul_f32_e32 v1, 0x4f7ffffe, v1
	v_mul_lo_u32 v6, s5, v0
	v_cvt_u32_f32_e32 v1, v1
	v_mul_hi_u32 v6, v0, v6
	v_add_u32_e32 v0, v0, v6
	scratch_store_dword off, v0, off offset:148 ; 4-byte Folded Spill
	v_lshlrev_b32_e32 v0, 4, v7
	v_readfirstlane_b32 s6, v1
	scratch_store_dword off, v0, off offset:144 ; 4-byte Folded Spill
	scratch_load_dwordx2 v[0:1], off, off offset:96 ; 8-byte Folded Reload
	s_sub_i32 s5, 0, s4
	s_mul_i32 s5, s5, s6
	s_mul_hi_u32 s5, s6, s5
	s_add_i32 s6, s6, s5
	s_sub_i32 s5, 1, s4
	s_cmp_lt_u32 s4, 2
	s_cselect_b32 s5, s5, 1
	s_sub_i32 s7, s5, s4
	s_cmp_ge_u32 s5, s4
	s_cselect_b32 s43, s7, s5
	s_lshr_b32 s5, s6, 31
	s_mul_i32 s5, s5, s4
	s_sub_i32 s5, 2, s5
	s_sub_i32 s7, s5, s4
	s_cmp_ge_u32 s5, s4
	s_cselect_b32 s5, s7, s5
	s_sub_i32 s7, s5, s4
	s_cmp_ge_u32 s5, s4
	s_cselect_b32 s44, s7, s5
	s_mul_hi_u32 s5, s6, 3
	s_mul_i32 s5, s5, s4
	s_sub_i32 s5, 3, s5
	s_sub_i32 s6, s5, s4
	s_cmp_ge_u32 s5, s4
	s_cselect_b32 s5, s6, s5
	s_sub_i32 s6, s5, s4
	s_cmp_ge_u32 s5, s4
	s_cselect_b32 s45, s6, s5
	s_lshl_b32 s46, s14, 1
	s_mov_b64 s[26:27], 0
	v_mov_b32_e32 v15, 0
	s_mul_i32 s43, s43, s20
	s_mul_i32 s44, s44, s20
	;; [unrolled: 1-line block ×4, first 2 shown]
	s_mov_b32 s48, 0x7f800000
	s_mov_b32 s30, 0
	s_waitcnt vmcnt(0)
	v_add_u32_e32 v19, s46, v0
	v_mad_u64_u32 v[6:7], s[4:5], s14, 3, v[0:1]
	v_add_u32_e32 v127, s14, v0
	v_cndmask_b32_e64 v0, 0, 1, s[2:3]
	v_cmp_ne_u32_e64 s[2:3], 1, v0
	s_movk_i32 s14, 0x7fff
	scratch_store_dwordx2 off, v[6:7], off offset:104 ; 8-byte Folded Spill
	s_branch .LBB276_13
.LBB276_11:                             ;   in Loop: Header=BB276_13 Depth=1
	s_or_b64 exec, exec, s[8:9]
	v_mov_b32_e32 v72, s21
.LBB276_12:                             ;   in Loop: Header=BB276_13 Depth=1
	s_or_b64 exec, exec, s[6:7]
	v_cmp_le_u32_e32 vcc, s15, v72
	s_or_b64 s[26:27], vcc, s[26:27]
	s_andn2_b64 exec, exec, s[26:27]
	s_cbranch_execz .LBB276_158
.LBB276_13:                             ; =>This Loop Header: Depth=1
                                        ;     Child Loop BB276_15 Depth 2
                                        ;     Child Loop BB276_156 Depth 2
	s_and_b64 vcc, exec, s[2:3]
	s_waitcnt vmcnt(0)
	v_add_u32_e32 v80, 1, v72
	v_add_u32_e32 v78, 2, v72
	;; [unrolled: 1-line block ×3, first 2 shown]
	v_mov_b32_e32 v93, v15
	v_mov_b32_e32 v92, v15
	;; [unrolled: 1-line block ×64, first 2 shown]
	s_cbranch_vccnz .LBB276_54
; %bb.14:                               ;   in Loop: Header=BB276_13 Depth=1
	scratch_load_dword v18, off, off offset:144 ; 4-byte Folded Reload
	v_mov_b32_e32 v0, v72
	scratch_store_dwordx2 off, v[0:1], off offset:112 ; 8-byte Folded Spill
	v_min_u32_e32 v0, s41, v72
	v_mul_lo_u32 v14, v0, s13
	v_mov_b32_e32 v0, v80
	scratch_store_dwordx2 off, v[0:1], off offset:136 ; 8-byte Folded Spill
	v_min_u32_e32 v0, s41, v80
	v_mov_b32_e32 v6, v78
	v_mul_lo_u32 v0, v0, s13
	v_mov_b32_e32 v1, v15
	scratch_store_dwordx2 off, v[6:7], off offset:128 ; 8-byte Folded Spill
	v_min_u32_e32 v6, s41, v78
	v_mov_b32_e32 v8, v76
	v_mul_lo_u32 v6, v6, s13
	v_mov_b32_e32 v7, v15
	scratch_store_dwordx2 off, v[8:9], off offset:120 ; 8-byte Folded Spill
	v_min_u32_e32 v8, s41, v76
	v_lshlrev_b64 v[0:1], 1, v[0:1]
	v_mul_lo_u32 v8, v8, s13
	v_mov_b32_e32 v9, v15
	v_mov_b32_e32 v38, 0
	scratch_store_dwordx2 off, v[0:1], off offset:72 ; 8-byte Folded Spill
	v_lshlrev_b64 v[0:1], 1, v[6:7]
	s_mov_b32 s4, 0
	v_lshlrev_b64 v[10:11], 1, v[14:15]
	scratch_store_dwordx2 off, v[0:1], off offset:80 ; 8-byte Folded Spill
	v_lshlrev_b64 v[0:1], 1, v[8:9]
	s_mov_b32 s34, 0
	v_mov_b32_e32 v39, v38
	v_mov_b32_e32 v40, v38
	;; [unrolled: 1-line block ×51, first 2 shown]
	scratch_store_dwordx2 off, v[10:11], off offset:64 ; 8-byte Folded Spill
	scratch_store_dwordx2 off, v[0:1], off offset:88 ; 8-byte Folded Spill
	scratch_store_dwordx4 off, v[6:9], off offset:48 ; 16-byte Folded Spill
	scratch_store_dwordx4 off, v[6:9], off offset:16 ; 16-byte Folded Spill
	scratch_store_dwordx4 off, v[6:9], off  ; 16-byte Folded Spill
	scratch_store_dwordx4 off, v[6:9], off offset:32 ; 16-byte Folded Spill
.LBB276_15:                             ;   Parent Loop BB276_13 Depth=1
                                        ; =>  This Inner Loop Header: Depth=2
	scratch_load_dwordx2 v[0:1], off, off offset:96 ; 8-byte Folded Reload
	scratch_load_dwordx2 v[16:17], off, off offset:72 ; 8-byte Folded Reload
	;; [unrolled: 1-line block ×3, first 2 shown]
	s_mov_b32 s5, s4
	v_mov_b64_e32 v[102:103], s[4:5]
	v_mov_b32_e32 v123, 0
	v_mov_b32_e32 v122, 0
	;; [unrolled: 1-line block ×4, first 2 shown]
	v_mov_b64_e32 v[104:105], s[4:5]
	v_mov_b64_e32 v[106:107], s[4:5]
	;; [unrolled: 1-line block ×9, first 2 shown]
	s_waitcnt vmcnt(2)
	v_add_u32_e32 v0, s34, v0
	v_min_u32_e32 v14, s40, v0
	s_waitcnt lgkmcnt(0)
	v_lshl_add_u64 v[6:7], v[14:15], 1, s[22:23]
	s_waitcnt vmcnt(0)
	v_lshl_add_u64 v[8:9], v[6:7], 0, v[12:13]
	v_lshl_add_u64 v[10:11], v[6:7], 0, v[16:17]
	global_load_dwordx4 v[78:81], v[8:9], off nt
	global_load_dwordx4 v[74:77], v[10:11], off nt
	scratch_load_dwordx2 v[20:21], off, off offset:80 ; 8-byte Folded Reload
	scratch_load_dwordx2 v[70:71], off, off offset:88 ; 8-byte Folded Reload
	v_add_u32_e32 v126, 0x200, v0
	v_min_u32_e32 v14, s40, v126
	v_cmp_gt_u32_e32 vcc, s12, v0
	s_waitcnt vmcnt(1)
	v_lshl_add_u64 v[8:9], v[6:7], 0, v[20:21]
	s_waitcnt vmcnt(0)
	v_lshl_add_u64 v[6:7], v[6:7], 0, v[70:71]
	global_load_dwordx4 v[86:89], v[8:9], off nt
	global_load_dwordx4 v[82:85], v[6:7], off nt
	v_lshl_add_u64 v[6:7], v[14:15], 1, s[22:23]
	v_lshl_add_u64 v[8:9], v[6:7], 0, v[12:13]
	;; [unrolled: 1-line block ×3, first 2 shown]
	global_load_dwordx4 v[94:97], v[8:9], off nt
	global_load_dwordx4 v[90:93], v[10:11], off nt
	v_lshl_add_u64 v[8:9], v[6:7], 0, v[20:21]
	v_lshl_add_u64 v[6:7], v[6:7], 0, v[70:71]
	global_load_dwordx4 v[98:101], v[8:9], off nt
	global_load_dwordx4 v[70:73], v[6:7], off nt
	v_mov_b64_e32 v[6:7], s[4:5]
	v_mov_b64_e32 v[8:9], s[4:5]
	;; [unrolled: 1-line block ×4, first 2 shown]
	s_and_saveexec_b64 s[6:7], vcc
	s_cbranch_execz .LBB276_51
; %bb.16:                               ;   in Loop: Header=BB276_15 Depth=2
	v_cmp_lt_u32_e32 vcc, s14, v0
                                        ; implicit-def: $vgpr102_vgpr103
	s_and_saveexec_b64 s[8:9], vcc
	s_xor_b64 s[8:9], exec, s[8:9]
	s_cbranch_execz .LBB276_18
; %bb.17:                               ;   in Loop: Header=BB276_15 Depth=2
	v_mov_b32_e32 v1, v15
	v_lshl_add_u64 v[0:1], v[0:1], 1, s[16:17]
	global_load_dwordx4 v[102:105], v[0:1], off
.LBB276_18:                             ;   in Loop: Header=BB276_15 Depth=2
	s_andn2_saveexec_b64 s[8:9], s[8:9]
	s_cbranch_execz .LBB276_20
; %bb.19:                               ;   in Loop: Header=BB276_15 Depth=2
	s_waitcnt vmcnt(0)
	ds_read_b128 v[102:105], v18
.LBB276_20:                             ;   in Loop: Header=BB276_15 Depth=2
	s_or_b64 exec, exec, s[8:9]
	v_add_u32_e32 v14, s34, v127
	v_cmp_lt_u32_e32 vcc, s14, v14
                                        ; implicit-def: $vgpr106_vgpr107
	s_and_saveexec_b64 s[8:9], vcc
	s_xor_b64 s[8:9], exec, s[8:9]
	s_cbranch_execz .LBB276_22
; %bb.21:                               ;   in Loop: Header=BB276_15 Depth=2
	v_lshl_add_u64 v[0:1], v[14:15], 1, s[16:17]
	global_load_dwordx4 v[106:109], v[0:1], off
.LBB276_22:                             ;   in Loop: Header=BB276_15 Depth=2
	s_andn2_saveexec_b64 s[8:9], s[8:9]
	s_cbranch_execz .LBB276_24
; %bb.23:                               ;   in Loop: Header=BB276_15 Depth=2
	v_add_u32_e32 v0, s46, v18
	s_waitcnt vmcnt(0)
	ds_read_b128 v[106:109], v0
.LBB276_24:                             ;   in Loop: Header=BB276_15 Depth=2
	s_or_b64 exec, exec, s[8:9]
	v_add_u32_e32 v16, s34, v19
	v_cmp_lt_u32_e32 vcc, s14, v16
                                        ; implicit-def: $vgpr110_vgpr111
	s_and_saveexec_b64 s[8:9], vcc
	s_xor_b64 s[8:9], exec, s[8:9]
	s_cbranch_execz .LBB276_26
; %bb.25:                               ;   in Loop: Header=BB276_15 Depth=2
	v_mov_b32_e32 v17, v15
	v_lshl_add_u64 v[0:1], v[16:17], 1, s[16:17]
	global_load_dwordx4 v[110:113], v[0:1], off
.LBB276_26:                             ;   in Loop: Header=BB276_15 Depth=2
	s_andn2_saveexec_b64 s[8:9], s[8:9]
	s_cbranch_execz .LBB276_28
; %bb.27:                               ;   in Loop: Header=BB276_15 Depth=2
	v_add_u32_e32 v0, s33, v18
	s_waitcnt vmcnt(0)
	ds_read2_b32 v[110:111], v0 offset1:1
	ds_read2_b32 v[112:113], v0 offset0:2 offset1:3
.LBB276_28:                             ;   in Loop: Header=BB276_15 Depth=2
	s_or_b64 exec, exec, s[8:9]
	scratch_load_dwordx2 v[0:1], off, off offset:104 ; 8-byte Folded Reload
                                        ; implicit-def: $vgpr114_vgpr115
	s_waitcnt vmcnt(0)
	v_add_u32_e32 v0, s34, v0
	v_cmp_lt_u32_e32 vcc, s14, v0
	s_and_saveexec_b64 s[8:9], vcc
	s_xor_b64 s[8:9], exec, s[8:9]
	s_cbranch_execz .LBB276_30
; %bb.29:                               ;   in Loop: Header=BB276_15 Depth=2
	v_mov_b32_e32 v1, v15
	v_lshl_add_u64 v[6:7], v[0:1], 1, s[16:17]
	global_load_dwordx4 v[114:117], v[6:7], off
.LBB276_30:                             ;   in Loop: Header=BB276_15 Depth=2
	s_andn2_saveexec_b64 s[8:9], s[8:9]
	s_cbranch_execz .LBB276_32
; %bb.31:                               ;   in Loop: Header=BB276_15 Depth=2
	v_add_u32_e32 v1, s47, v18
	s_waitcnt vmcnt(0)
	ds_read_b128 v[114:117], v1
.LBB276_32:                             ;   in Loop: Header=BB276_15 Depth=2
	s_or_b64 exec, exec, s[8:9]
	s_mov_b32 s31, s30
	v_cmp_gt_u32_e32 vcc, s12, v126
	v_mov_b32_e32 v123, 0
	v_mov_b64_e32 v[6:7], s[30:31]
	v_mov_b32_e32 v122, 0
	v_mov_b32_e32 v125, 0
	v_mov_b32_e32 v124, 0
	v_mov_b64_e32 v[8:9], s[30:31]
	v_mov_b64_e32 v[10:11], s[30:31]
	;; [unrolled: 1-line block ×5, first 2 shown]
	s_and_saveexec_b64 s[8:9], vcc
	s_cbranch_execz .LBB276_50
; %bb.33:                               ;   in Loop: Header=BB276_15 Depth=2
	v_cmp_lt_u32_e32 vcc, s14, v126
                                        ; implicit-def: $vgpr6_vgpr7
	s_and_saveexec_b64 s[10:11], vcc
	s_xor_b64 s[10:11], exec, s[10:11]
	s_cbranch_execz .LBB276_35
; %bb.34:                               ;   in Loop: Header=BB276_15 Depth=2
	v_mov_b32_e32 v1, v127
	v_mov_b32_e32 v127, v15
	v_lshl_add_u64 v[6:7], v[126:127], 1, s[16:17]
	global_load_dwordx4 v[6:9], v[6:7], off
	v_mov_b32_e32 v127, v1
.LBB276_35:                             ;   in Loop: Header=BB276_15 Depth=2
	s_andn2_saveexec_b64 s[10:11], s[10:11]
	s_cbranch_execz .LBB276_37
; %bb.36:                               ;   in Loop: Header=BB276_15 Depth=2
	s_waitcnt vmcnt(0)
	ds_read_b128 v[6:9], v18 offset:1024
.LBB276_37:                             ;   in Loop: Header=BB276_15 Depth=2
	s_or_b64 exec, exec, s[10:11]
	v_add_u32_e32 v14, 0x200, v14
	v_cmp_lt_u32_e32 vcc, s14, v14
                                        ; implicit-def: $vgpr10_vgpr11
	s_and_saveexec_b64 s[10:11], vcc
	s_xor_b64 s[10:11], exec, s[10:11]
	s_cbranch_execz .LBB276_39
; %bb.38:                               ;   in Loop: Header=BB276_15 Depth=2
	v_lshl_add_u64 v[10:11], v[14:15], 1, s[16:17]
	global_load_dwordx4 v[10:13], v[10:11], off
.LBB276_39:                             ;   in Loop: Header=BB276_15 Depth=2
	s_andn2_saveexec_b64 s[10:11], s[10:11]
	s_cbranch_execz .LBB276_41
; %bb.40:                               ;   in Loop: Header=BB276_15 Depth=2
	v_add_u32_e32 v1, s46, v18
	s_waitcnt vmcnt(0)
	ds_read_b128 v[10:13], v1 offset:1024
.LBB276_41:                             ;   in Loop: Header=BB276_15 Depth=2
	s_or_b64 exec, exec, s[10:11]
	v_add_u32_e32 v14, 0x200, v16
	v_cmp_lt_u32_e32 vcc, s14, v14
                                        ; implicit-def: $vgpr118_vgpr119
	s_and_saveexec_b64 s[10:11], vcc
	s_xor_b64 s[10:11], exec, s[10:11]
	s_cbranch_execz .LBB276_43
; %bb.42:                               ;   in Loop: Header=BB276_15 Depth=2
	v_lshl_add_u64 v[16:17], v[14:15], 1, s[16:17]
	global_load_dwordx4 v[118:121], v[16:17], off
.LBB276_43:                             ;   in Loop: Header=BB276_15 Depth=2
	s_andn2_saveexec_b64 s[10:11], s[10:11]
	s_cbranch_execz .LBB276_45
; %bb.44:                               ;   in Loop: Header=BB276_15 Depth=2
	v_add_u32_e32 v1, s33, v18
	v_add_u32_e32 v14, 0x400, v1
	;; [unrolled: 1-line block ×3, first 2 shown]
	s_waitcnt vmcnt(0)
	ds_read2_b32 v[118:119], v14 offset1:1
	ds_read2_b32 v[120:121], v1 offset1:1
.LBB276_45:                             ;   in Loop: Header=BB276_15 Depth=2
	s_or_b64 exec, exec, s[10:11]
	v_add_u32_e32 v14, 0x200, v0
	v_cmp_lt_u32_e32 vcc, s14, v14
                                        ; implicit-def: $vgpr123
	s_and_saveexec_b64 s[10:11], vcc
	s_xor_b64 s[10:11], exec, s[10:11]
	s_cbranch_execz .LBB276_47
; %bb.46:                               ;   in Loop: Header=BB276_15 Depth=2
	v_lshl_add_u64 v[0:1], v[14:15], 1, s[16:17]
	global_load_dwordx4 v[122:125], v[0:1], off
.LBB276_47:                             ;   in Loop: Header=BB276_15 Depth=2
	s_andn2_saveexec_b64 s[10:11], s[10:11]
	s_cbranch_execz .LBB276_49
; %bb.48:                               ;   in Loop: Header=BB276_15 Depth=2
	v_add_u32_e32 v0, s47, v18
	s_waitcnt vmcnt(0)
	ds_read_b128 v[122:125], v0 offset:1024
.LBB276_49:                             ;   in Loop: Header=BB276_15 Depth=2
	s_or_b64 exec, exec, s[10:11]
.LBB276_50:                             ;   in Loop: Header=BB276_15 Depth=2
	s_or_b64 exec, exec, s[8:9]
.LBB276_51:                             ;   in Loop: Header=BB276_15 Depth=2
	s_or_b64 exec, exec, s[6:7]
	s_waitcnt lgkmcnt(0)
	v_mfma_f32_4x4x4_16b_bf16 v[66:69], v[102:103], v[78:79], v[66:69]
	s_addk_i32 s34, 0x400
	v_mfma_f32_4x4x4_16b_bf16 v[62:65], v[102:103], v[74:75], v[62:65]
	v_add_u32_e32 v18, 0x800, v18
	s_waitcnt vmcnt(5)
	v_mfma_f32_4x4x4_16b_bf16 v[58:61], v[102:103], v[86:87], v[58:61]
	s_cmp_ge_u32 s34, s12
	s_waitcnt vmcnt(4)
	v_mfma_f32_4x4x4_16b_bf16 v[54:57], v[102:103], v[82:83], v[54:57]
	v_mfma_f32_4x4x4_16b_bf16 v[66:69], v[104:105], v[80:81], v[66:69]
	v_mfma_f32_4x4x4_16b_bf16 v[62:65], v[104:105], v[76:77], v[62:65]
	v_mfma_f32_4x4x4_16b_bf16 v[58:61], v[104:105], v[88:89], v[58:61]
	v_mfma_f32_4x4x4_16b_bf16 v[54:57], v[104:105], v[84:85], v[54:57]
	s_waitcnt vmcnt(0)
	v_mfma_f32_4x4x4_16b_bf16 v[66:69], v[6:7], v[94:95], v[66:69]
	v_mfma_f32_4x4x4_16b_bf16 v[62:65], v[6:7], v[90:91], v[62:65]
	;; [unrolled: 1-line block ×10, first 2 shown]
	s_nop 0
	v_mfma_f32_4x4x4_16b_bf16 v[6:9], v[108:109], v[80:81], v[6:9]
	v_mfma_f32_4x4x4_16b_bf16 v[46:49], v[108:109], v[76:77], v[46:49]
	;; [unrolled: 1-line block ×4, first 2 shown]
	s_nop 0
	v_mfma_f32_4x4x4_16b_bf16 v[42:45], v[108:109], v[88:89], v[42:45]
	v_mfma_f32_4x4x4_16b_bf16 v[38:41], v[106:107], v[82:83], v[38:41]
	;; [unrolled: 1-line block ×5, first 2 shown]
	s_nop 0
	v_mfma_f32_4x4x4_16b_bf16 v[46:49], v[12:13], v[92:93], v[6:9]
	v_mfma_f32_4x4x4_16b_bf16 v[6:9], v[10:11], v[98:99], v[42:45]
	v_mfma_f32_4x4x4_16b_bf16 v[26:29], v[110:111], v[86:87], v[26:29]
	s_nop 0
	v_mfma_f32_4x4x4_16b_bf16 v[42:45], v[12:13], v[100:101], v[6:9]
	v_mfma_f32_4x4x4_16b_bf16 v[6:9], v[10:11], v[70:71], v[38:41]
	v_mfma_f32_4x4x4_16b_bf16 v[26:29], v[112:113], v[88:89], v[26:29]
	;; [unrolled: 4-line block ×3, first 2 shown]
	s_nop 0
	v_mfma_f32_4x4x4_16b_bf16 v[6:9], v[112:113], v[80:81], v[6:9]
	v_mfma_f32_4x4x4_16b_bf16 v[10:13], v[112:113], v[76:77], v[10:13]
	s_nop 0
	v_mfma_f32_4x4x4_16b_bf16 v[6:9], v[118:119], v[94:95], v[6:9]
	v_mfma_f32_4x4x4_16b_bf16 v[20:23], v[110:111], v[82:83], v[22:25]
	;; [unrolled: 3-line block ×3, first 2 shown]
	v_mfma_f32_4x4x4_16b_bf16 v[20:23], v[112:113], v[84:85], v[20:23]
	scratch_load_dwordx4 v[10:13], off, off offset:16 ; 16-byte Folded Reload
	v_mfma_f32_4x4x4_16b_bf16 v[30:33], v[120:121], v[92:93], v[6:9]
	v_mfma_f32_4x4x4_16b_bf16 v[6:9], v[118:119], v[98:99], v[26:29]
	s_waitcnt vmcnt(0)
	v_mfma_f32_4x4x4_16b_bf16 v[10:13], v[114:115], v[74:75], v[10:13]
	v_mfma_f32_4x4x4_16b_bf16 v[26:29], v[120:121], v[100:101], v[6:9]
	;; [unrolled: 1-line block ×4, first 2 shown]
	scratch_load_dwordx4 v[74:77], off, off ; 16-byte Folded Reload
	v_mfma_f32_4x4x4_16b_bf16 v[22:25], v[120:121], v[72:73], v[6:9]
	s_nop 1
	scratch_load_dwordx4 v[6:9], off, off offset:48 ; 16-byte Folded Reload
	s_waitcnt vmcnt(0)
	v_mfma_f32_4x4x4_16b_bf16 v[6:9], v[114:115], v[78:79], v[6:9]
	s_nop 1
	v_mfma_f32_4x4x4_16b_bf16 v[6:9], v[116:117], v[80:81], v[6:9]
	scratch_load_dwordx4 v[78:81], off, off offset:32 ; 16-byte Folded Reload
	v_mfma_f32_4x4x4_16b_bf16 v[74:77], v[114:115], v[86:87], v[74:77]
	v_mfma_f32_4x4x4_16b_bf16 v[6:9], v[122:123], v[94:95], v[6:9]
	s_nop 0
	v_mfma_f32_4x4x4_16b_bf16 v[74:77], v[116:117], v[88:89], v[74:77]
	s_waitcnt vmcnt(0)
	v_mfma_f32_4x4x4_16b_bf16 v[78:81], v[114:115], v[82:83], v[78:81]
	v_mfma_f32_4x4x4_16b_bf16 v[94:97], v[124:125], v[96:97], v[6:9]
	;; [unrolled: 1-line block ×4, first 2 shown]
	s_nop 0
	v_mfma_f32_4x4x4_16b_bf16 v[86:89], v[124:125], v[92:93], v[6:9]
	v_mfma_f32_4x4x4_16b_bf16 v[6:9], v[122:123], v[98:99], v[74:77]
	s_nop 1
	v_mfma_f32_4x4x4_16b_bf16 v[82:85], v[124:125], v[100:101], v[6:9]
	v_mfma_f32_4x4x4_16b_bf16 v[6:9], v[122:123], v[70:71], v[78:81]
	s_nop 1
	v_mfma_f32_4x4x4_16b_bf16 v[90:93], v[124:125], v[72:73], v[6:9]
	s_cbranch_scc1 .LBB276_53
; %bb.52:                               ;   in Loop: Header=BB276_15 Depth=2
	scratch_store_dwordx4 off, v[94:97], off offset:48 ; 16-byte Folded Spill
	s_nop 2
	scratch_store_dwordx4 off, v[90:93], off offset:32 ; 16-byte Folded Spill
	scratch_store_dwordx4 off, v[86:89], off offset:16 ; 16-byte Folded Spill
	scratch_store_dwordx4 off, v[82:85], off ; 16-byte Folded Spill
	s_branch .LBB276_15
.LBB276_53:                             ;   in Loop: Header=BB276_13 Depth=1
	scratch_load_dwordx2 v[72:73], off, off offset:112 ; 8-byte Folded Reload
	scratch_load_dwordx2 v[76:77], off, off offset:120 ; 8-byte Folded Reload
	;; [unrolled: 1-line block ×4, first 2 shown]
.LBB276_54:                             ;   in Loop: Header=BB276_13 Depth=1
	v_cvt_i32_f32_e32 v0, v67
	v_cvt_i32_f32_e32 v1, v68
	;; [unrolled: 1-line block ×4, first 2 shown]
	v_cvt_f32_i32_dpp v0, v0 row_shl:1 row_mask:0xf bank_mask:0xf bound_ctrl:1
	v_cvt_f32_i32_dpp v1, v1 row_shl:2 row_mask:0xf bank_mask:0xf bound_ctrl:1
	v_cvt_i32_f32_e32 v8, v64
	v_cvt_f32_i32_dpp v6, v6 row_shl:3 row_mask:0xf bank_mask:0xf bound_ctrl:1
	v_add_f32_e32 v0, v66, v0
	v_add_f32_e32 v0, v0, v1
	v_cvt_i32_f32_e32 v1, v65
	v_cvt_f32_i32_dpp v7, v7 row_shl:1 row_mask:0xf bank_mask:0xf bound_ctrl:1
	v_cvt_f32_i32_dpp v8, v8 row_shl:2 row_mask:0xf bank_mask:0xf bound_ctrl:1
	v_add_f32_e32 v0, v0, v6
	v_cvt_f32_i32_dpp v1, v1 row_shl:3 row_mask:0xf bank_mask:0xf bound_ctrl:1
	v_cvt_i32_f32_e32 v6, v0
	v_add_f32_e32 v7, v62, v7
	v_add_f32_e32 v7, v7, v8
	v_add_f32_e32 v1, v7, v1
	v_cvt_f32_i32_dpp v6, v6 row_shl:4 row_mask:0xf bank_mask:0xf bound_ctrl:1
	v_cvt_i32_f32_e32 v7, v1
	v_cvt_i32_f32_e32 v8, v59
	;; [unrolled: 1-line block ×3, first 2 shown]
	v_add_f32_e32 v0, v0, v6
	v_cvt_f32_i32_dpp v7, v7 row_shl:4 row_mask:0xf bank_mask:0xf bound_ctrl:1
	v_cvt_i32_f32_e32 v6, v0
	v_cvt_i32_f32_e32 v10, v56
	;; [unrolled: 1-line block ×3, first 2 shown]
	v_add_f32_e32 v1, v1, v7
	v_cvt_f32_i32_dpp v6, v6 row_shl:8 row_mask:0xf bank_mask:0xf bound_ctrl:1
	v_cvt_i32_f32_e32 v7, v1
	v_mov_b32_e32 v74, v19
	v_cvt_i32_f32_e32 v14, v93
	v_add_f32_e32 v0, v0, v6
	v_cvt_f32_i32_dpp v6, v7 row_shl:8 row_mask:0xf bank_mask:0xf bound_ctrl:1
	v_cvt_i32_f32_e32 v7, v60
	v_cvt_i32_f32_e32 v0, v0
	v_add_f32_e32 v1, v1, v6
	v_cvt_f32_i32_dpp v6, v8 row_shl:1 row_mask:0xf bank_mask:0xf bound_ctrl:1
	v_cvt_f32_i32_dpp v7, v7 row_shl:2 row_mask:0xf bank_mask:0xf bound_ctrl:1
	;; [unrolled: 1-line block ×3, first 2 shown]
	v_cvt_f32_i32_dpp v0, v0 row_shr:15 row_mask:0xf bank_mask:0xf bound_ctrl:1
	v_add_f32_e32 v6, v58, v6
	v_add_f32_e32 v6, v6, v7
	;; [unrolled: 1-line block ×3, first 2 shown]
	v_cvt_i32_f32_e32 v7, v6
	v_cvt_i32_f32_e32 v1, v1
	v_cvt_i32_f32_e32 v8, v0
	v_cvt_f32_i32_dpp v7, v7 row_shl:4 row_mask:0xf bank_mask:0xf bound_ctrl:1
	v_cvt_f32_i32_dpp v1, v1 row_shr:15 row_mask:0xf bank_mask:0xf bound_ctrl:1
	v_cvt_f32_i32_dpp v8, v8 row_bcast:15 row_mask:0xf bank_mask:0xf bound_ctrl:1
	v_add_f32_e32 v6, v6, v7
	v_cvt_i32_f32_e32 v9, v1
	v_cvt_i32_f32_e32 v7, v6
	v_add_f32_e32 v58, v0, v8
	v_cvt_i32_f32_e32 v0, v58
	v_cvt_f32_i32_dpp v8, v9 row_bcast:15 row_mask:0xf bank_mask:0xf bound_ctrl:1
	v_cvt_f32_i32_dpp v7, v7 row_shl:8 row_mask:0xf bank_mask:0xf bound_ctrl:1
	v_cvt_i32_f32_e32 v9, v55
	v_mov_b32_dpp v56, v0 row_bcast:31 row_mask:0xf bank_mask:0xf bound_ctrl:1
	v_add_f32_e32 v6, v6, v7
	v_cvt_f32_i32_dpp v7, v9 row_shl:1 row_mask:0xf bank_mask:0xf bound_ctrl:1
	v_cvt_f32_i32_dpp v9, v10 row_shl:2 row_mask:0xf bank_mask:0xf bound_ctrl:1
	;; [unrolled: 1-line block ×3, first 2 shown]
	v_cvt_i32_f32_e32 v6, v6
	v_add_f32_e32 v7, v54, v7
	v_add_f32_e32 v7, v7, v9
	;; [unrolled: 1-line block ×3, first 2 shown]
	v_cvt_i32_f32_e32 v9, v7
	v_add_f32_e32 v54, v1, v8
	v_cvt_i32_f32_e32 v1, v54
	v_cvt_f32_i32_dpp v6, v6 row_shr:15 row_mask:0xf bank_mask:0xf bound_ctrl:1
	v_cvt_f32_i32_dpp v8, v9 row_shl:4 row_mask:0xf bank_mask:0xf bound_ctrl:1
	v_cvt_i32_f32_e32 v9, v53
	v_mov_b32_dpp v55, v1 row_bcast:31 row_mask:0xf bank_mask:0xf bound_ctrl:1
	v_cvt_i32_f32_e32 v0, v6
	v_add_f32_e32 v1, v7, v8
	v_cvt_i32_f32_e32 v7, v51
	v_cvt_i32_f32_e32 v8, v52
	v_cvt_f32_i32_dpp v9, v9 row_shl:3 row_mask:0xf bank_mask:0xf bound_ctrl:1
	v_cvt_f32_i32_dpp v0, v0 row_bcast:15 row_mask:0xf bank_mask:0xf bound_ctrl:1
	v_cvt_f32_i32_dpp v7, v7 row_shl:1 row_mask:0xf bank_mask:0xf bound_ctrl:1
	v_cvt_f32_i32_dpp v8, v8 row_shl:2 row_mask:0xf bank_mask:0xf bound_ctrl:1
	v_cvt_i32_f32_e32 v10, v1
	v_cvt_i32_f32_e32 v11, v45
	v_add_f32_e32 v7, v50, v7
	v_add_f32_e32 v7, v7, v8
	;; [unrolled: 1-line block ×3, first 2 shown]
	v_cvt_i32_f32_e32 v8, v7
	v_add_f32_e32 v50, v6, v0
	v_cvt_i32_f32_e32 v9, v49
	v_cvt_f32_i32_dpp v10, v10 row_shl:8 row_mask:0xf bank_mask:0xf bound_ctrl:1
	v_cvt_f32_i32_dpp v8, v8 row_shl:4 row_mask:0xf bank_mask:0xf bound_ctrl:1
	v_cvt_i32_f32_e32 v0, v50
	v_cvt_f32_i32_dpp v9, v9 row_shl:3 row_mask:0xf bank_mask:0xf bound_ctrl:1
	v_add_f32_e32 v1, v1, v10
	v_add_f32_e32 v6, v7, v8
	v_cvt_i32_f32_e32 v7, v47
	v_cvt_i32_f32_e32 v8, v48
	;; [unrolled: 1-line block ×4, first 2 shown]
	v_cvt_f32_i32_dpp v7, v7 row_shl:1 row_mask:0xf bank_mask:0xf bound_ctrl:1
	v_cvt_f32_i32_dpp v8, v8 row_shl:2 row_mask:0xf bank_mask:0xf bound_ctrl:1
	v_cvt_f32_i32_dpp v1, v1 row_shr:15 row_mask:0xf bank_mask:0xf bound_ctrl:1
	v_cvt_f32_i32_dpp v10, v10 row_shl:8 row_mask:0xf bank_mask:0xf bound_ctrl:1
	v_add_f32_e32 v7, v46, v7
	v_add_f32_e32 v7, v7, v8
	;; [unrolled: 1-line block ×3, first 2 shown]
	v_cvt_i32_f32_e32 v8, v7
	v_cvt_i32_f32_e32 v9, v1
	v_mov_b32_dpp v47, v0 row_bcast:31 row_mask:0xf bank_mask:0xf bound_ctrl:1
	v_add_f32_e32 v6, v6, v10
	v_cvt_f32_i32_dpp v8, v8 row_shl:4 row_mask:0xf bank_mask:0xf bound_ctrl:1
	v_cvt_f32_i32_dpp v0, v9 row_bcast:15 row_mask:0xf bank_mask:0xf bound_ctrl:1
	v_cvt_i32_f32_e32 v9, v43
	v_cvt_i32_f32_e32 v10, v44
	v_add_f32_e32 v7, v7, v8
	v_cvt_i32_f32_e32 v8, v7
	v_add_f32_e32 v46, v1, v0
	v_cvt_i32_f32_e32 v0, v46
	v_cvt_i32_f32_e32 v6, v6
	v_cvt_f32_i32_dpp v8, v8 row_shl:8 row_mask:0xf bank_mask:0xf bound_ctrl:1
	v_mov_b32_dpp v43, v0 row_bcast:31 row_mask:0xf bank_mask:0xf bound_ctrl:1
	v_cvt_f32_i32_dpp v6, v6 row_shr:15 row_mask:0xf bank_mask:0xf bound_ctrl:1
	v_add_f32_e32 v7, v7, v8
	v_cvt_f32_i32_dpp v8, v9 row_shl:1 row_mask:0xf bank_mask:0xf bound_ctrl:1
	v_cvt_f32_i32_dpp v9, v10 row_shl:2 row_mask:0xf bank_mask:0xf bound_ctrl:1
	;; [unrolled: 1-line block ×3, first 2 shown]
	v_cvt_i32_f32_e32 v7, v7
	v_add_f32_e32 v8, v42, v8
	v_add_f32_e32 v8, v8, v9
	;; [unrolled: 1-line block ×3, first 2 shown]
	v_cvt_i32_f32_e32 v9, v8
	v_cvt_f32_i32_dpp v0, v7 row_shr:15 row_mask:0xf bank_mask:0xf bound_ctrl:1
	v_cvt_i32_f32_e32 v1, v6
	v_cvt_i32_f32_e32 v10, v41
	v_cvt_f32_i32_dpp v7, v9 row_shl:4 row_mask:0xf bank_mask:0xf bound_ctrl:1
	v_cvt_i32_f32_e32 v9, v40
	v_cvt_f32_i32_dpp v1, v1 row_bcast:15 row_mask:0xf bank_mask:0xf bound_ctrl:1
	v_cvt_f32_i32_dpp v10, v10 row_shl:3 row_mask:0xf bank_mask:0xf bound_ctrl:1
	v_add_f32_e32 v7, v8, v7
	v_cvt_i32_f32_e32 v8, v39
	v_cvt_i32_f32_e32 v11, v7
	v_cvt_f32_i32_dpp v9, v9 row_shl:2 row_mask:0xf bank_mask:0xf bound_ctrl:1
	v_add_f32_e32 v42, v6, v1
	v_cvt_f32_i32_dpp v8, v8 row_shl:1 row_mask:0xf bank_mask:0xf bound_ctrl:1
	v_cvt_i32_f32_e32 v6, v0
	v_cvt_f32_i32_dpp v11, v11 row_shl:8 row_mask:0xf bank_mask:0xf bound_ctrl:1
	v_cvt_i32_f32_e32 v1, v42
	v_add_f32_e32 v8, v38, v8
	v_add_f32_e32 v8, v8, v9
	;; [unrolled: 1-line block ×3, first 2 shown]
	v_cvt_i32_f32_e32 v9, v8
	v_cvt_f32_i32_dpp v6, v6 row_bcast:15 row_mask:0xf bank_mask:0xf bound_ctrl:1
	v_add_f32_e32 v7, v7, v11
	v_cvt_i32_f32_e32 v7, v7
	v_cvt_f32_i32_dpp v9, v9 row_shl:4 row_mask:0xf bank_mask:0xf bound_ctrl:1
	v_add_f32_e32 v38, v0, v6
	v_cvt_i32_f32_e32 v6, v35
	v_cvt_f32_i32_dpp v0, v7 row_shr:15 row_mask:0xf bank_mask:0xf bound_ctrl:1
	v_cvt_i32_f32_e32 v7, v36
	v_mov_b32_dpp v39, v1 row_bcast:31 row_mask:0xf bank_mask:0xf bound_ctrl:1
	v_add_f32_e32 v1, v8, v9
	v_cvt_i32_f32_e32 v8, v37
	v_cvt_f32_i32_dpp v6, v6 row_shl:1 row_mask:0xf bank_mask:0xf bound_ctrl:1
	v_cvt_f32_i32_dpp v7, v7 row_shl:2 row_mask:0xf bank_mask:0xf bound_ctrl:1
	v_cvt_i32_f32_e32 v9, v1
	v_cvt_f32_i32_dpp v8, v8 row_shl:3 row_mask:0xf bank_mask:0xf bound_ctrl:1
	v_add_f32_e32 v6, v34, v6
	v_add_f32_e32 v6, v6, v7
	v_cvt_f32_i32_dpp v9, v9 row_shl:8 row_mask:0xf bank_mask:0xf bound_ctrl:1
	v_add_f32_e32 v6, v6, v8
	v_cvt_i32_f32_e32 v7, v6
	v_cvt_i32_f32_e32 v8, v0
	v_add_f32_e32 v1, v1, v9
	v_cvt_i32_f32_e32 v1, v1
	v_cvt_f32_i32_dpp v7, v7 row_shl:4 row_mask:0xf bank_mask:0xf bound_ctrl:1
	v_cvt_f32_i32_dpp v8, v8 row_bcast:15 row_mask:0xf bank_mask:0xf bound_ctrl:1
	v_cvt_i32_f32_e32 v9, v38
	v_cvt_f32_i32_dpp v1, v1 row_shr:15 row_mask:0xf bank_mask:0xf bound_ctrl:1
	v_add_f32_e32 v6, v6, v7
	v_cvt_i32_f32_e32 v7, v6
	v_add_f32_e32 v34, v0, v8
	v_cvt_i32_f32_e32 v0, v34
	v_cvt_i32_f32_e32 v8, v1
	v_cvt_f32_i32_dpp v7, v7 row_shl:8 row_mask:0xf bank_mask:0xf bound_ctrl:1
	v_mov_b32_dpp v36, v9 row_bcast:31 row_mask:0xf bank_mask:0xf bound_ctrl:1
	v_mov_b32_dpp v35, v0 row_bcast:31 row_mask:0xf bank_mask:0xf bound_ctrl:1
	v_cvt_f32_i32_dpp v0, v8 row_bcast:15 row_mask:0xf bank_mask:0xf bound_ctrl:1
	v_add_f32_e32 v6, v6, v7
	v_cvt_i32_f32_e32 v7, v31
	v_cvt_i32_f32_e32 v8, v32
	;; [unrolled: 1-line block ×4, first 2 shown]
	v_cvt_f32_i32_dpp v7, v7 row_shl:1 row_mask:0xf bank_mask:0xf bound_ctrl:1
	v_cvt_f32_i32_dpp v8, v8 row_shl:2 row_mask:0xf bank_mask:0xf bound_ctrl:1
	;; [unrolled: 1-line block ×3, first 2 shown]
	v_cvt_i32_f32_e32 v10, v28
	v_add_f32_e32 v7, v30, v7
	v_add_f32_e32 v7, v7, v8
	;; [unrolled: 1-line block ×3, first 2 shown]
	v_cvt_i32_f32_e32 v8, v7
	v_cvt_i32_f32_e32 v9, v27
	;; [unrolled: 1-line block ×3, first 2 shown]
	v_cvt_f32_i32_dpp v6, v6 row_shr:15 row_mask:0xf bank_mask:0xf bound_ctrl:1
	v_cvt_f32_i32_dpp v8, v8 row_shl:4 row_mask:0xf bank_mask:0xf bound_ctrl:1
	v_add_f32_e32 v30, v1, v0
	v_cvt_i32_f32_e32 v0, v30
	v_cvt_i32_f32_e32 v1, v6
	v_add_f32_e32 v7, v7, v8
	v_cvt_f32_i32_dpp v8, v9 row_shl:1 row_mask:0xf bank_mask:0xf bound_ctrl:1
	v_cvt_f32_i32_dpp v9, v10 row_shl:2 row_mask:0xf bank_mask:0xf bound_ctrl:1
	;; [unrolled: 1-line block ×3, first 2 shown]
	v_cvt_i32_f32_e32 v11, v7
	v_add_f32_e32 v8, v26, v8
	v_add_f32_e32 v8, v8, v9
	;; [unrolled: 1-line block ×3, first 2 shown]
	v_cvt_i32_f32_e32 v9, v8
	v_cvt_f32_i32_dpp v1, v1 row_bcast:15 row_mask:0xf bank_mask:0xf bound_ctrl:1
	v_cvt_f32_i32_dpp v10, v11 row_shl:8 row_mask:0xf bank_mask:0xf bound_ctrl:1
	v_mov_b32_dpp v26, v0 row_bcast:31 row_mask:0xf bank_mask:0xf bound_ctrl:1
	v_cvt_f32_i32_dpp v0, v9 row_shl:4 row_mask:0xf bank_mask:0xf bound_ctrl:1
	v_add_f32_e32 v20, v6, v1
	v_cvt_i32_f32_e32 v6, v23
	v_add_f32_e32 v1, v7, v10
	v_cvt_i32_f32_e32 v7, v24
	;; [unrolled: 2-line block ×3, first 2 shown]
	v_cvt_f32_i32_dpp v6, v6 row_shl:1 row_mask:0xf bank_mask:0xf bound_ctrl:1
	v_cvt_f32_i32_dpp v7, v7 row_shl:2 row_mask:0xf bank_mask:0xf bound_ctrl:1
	v_cvt_i32_f32_e32 v1, v1
	v_cvt_f32_i32_dpp v8, v8 row_shl:3 row_mask:0xf bank_mask:0xf bound_ctrl:1
	v_add_f32_e32 v6, v22, v6
	v_add_f32_e32 v6, v6, v7
	v_cvt_i32_f32_e32 v9, v0
	v_add_f32_e32 v6, v6, v8
	v_cvt_i32_f32_e32 v7, v6
	v_cvt_f32_i32_dpp v1, v1 row_shr:15 row_mask:0xf bank_mask:0xf bound_ctrl:1
	v_cvt_f32_i32_dpp v9, v9 row_shl:8 row_mask:0xf bank_mask:0xf bound_ctrl:1
	v_cvt_i32_f32_e32 v10, v97
	v_cvt_f32_i32_dpp v7, v7 row_shl:4 row_mask:0xf bank_mask:0xf bound_ctrl:1
	v_cvt_i32_f32_e32 v8, v20
	v_add_f32_e32 v0, v0, v9
	v_cvt_i32_f32_e32 v9, v1
	v_add_f32_e32 v6, v6, v7
	v_cvt_i32_f32_e32 v7, v6
	v_cvt_i32_f32_e32 v0, v0
	v_cvt_f32_i32_dpp v9, v9 row_bcast:15 row_mask:0xf bank_mask:0xf bound_ctrl:1
	v_cvt_f32_i32_dpp v10, v10 row_shl:3 row_mask:0xf bank_mask:0xf bound_ctrl:1
	v_cvt_f32_i32_dpp v7, v7 row_shl:8 row_mask:0xf bank_mask:0xf bound_ctrl:1
	v_cvt_f32_i32_dpp v0, v0 row_shr:15 row_mask:0xf bank_mask:0xf bound_ctrl:1
	v_add_f32_e32 v18, v1, v9
	v_cvt_i32_f32_e32 v9, v96
	v_add_f32_e32 v6, v6, v7
	v_cvt_i32_f32_e32 v7, v95
	v_cvt_i32_f32_e32 v6, v6
	v_cvt_f32_i32_dpp v9, v9 row_shl:2 row_mask:0xf bank_mask:0xf bound_ctrl:1
	v_mov_b32_dpp v23, v8 row_bcast:31 row_mask:0xf bank_mask:0xf bound_ctrl:1
	v_cvt_f32_i32_dpp v7, v7 row_shl:1 row_mask:0xf bank_mask:0xf bound_ctrl:1
	v_cvt_f32_i32_dpp v6, v6 row_shr:15 row_mask:0xf bank_mask:0xf bound_ctrl:1
	v_cvt_i32_f32_e32 v8, v0
	v_cvt_i32_f32_e32 v1, v18
	v_add_f32_e32 v7, v94, v7
	v_add_f32_e32 v7, v7, v9
	v_cvt_i32_f32_e32 v11, v6
	v_add_f32_e32 v7, v7, v10
	v_cvt_f32_i32_dpp v8, v8 row_bcast:15 row_mask:0xf bank_mask:0xf bound_ctrl:1
	v_cvt_i32_f32_e32 v9, v7
	v_mov_b32_dpp v21, v1 row_bcast:31 row_mask:0xf bank_mask:0xf bound_ctrl:1
	v_cvt_f32_i32_dpp v1, v11 row_bcast:15 row_mask:0xf bank_mask:0xf bound_ctrl:1
	v_add_f32_e32 v12, v0, v8
	v_cvt_f32_i32_dpp v0, v9 row_shl:4 row_mask:0xf bank_mask:0xf bound_ctrl:1
	v_cvt_i32_f32_e32 v10, v89
	v_add_f32_e32 v8, v6, v1
	v_cvt_i32_f32_e32 v6, v87
	v_add_f32_e32 v0, v7, v0
	v_cvt_i32_f32_e32 v7, v88
	v_cvt_f32_i32_dpp v10, v10 row_shl:3 row_mask:0xf bank_mask:0xf bound_ctrl:1
	v_cvt_f32_i32_dpp v6, v6 row_shl:1 row_mask:0xf bank_mask:0xf bound_ctrl:1
	v_cvt_i32_f32_e32 v1, v8
	v_cvt_f32_i32_dpp v7, v7 row_shl:2 row_mask:0xf bank_mask:0xf bound_ctrl:1
	v_cvt_i32_f32_e32 v11, v0
	v_add_f32_e32 v6, v86, v6
	v_cvt_i32_f32_e32 v9, v12
	v_add_f32_e32 v6, v6, v7
	v_add_f32_e32 v6, v6, v10
	v_cvt_i32_f32_e32 v7, v6
	v_cvt_f32_i32_dpp v13, v11 row_shl:8 row_mask:0xf bank_mask:0xf bound_ctrl:1
	v_mov_b32_dpp v11, v1 row_bcast:31 row_mask:0xf bank_mask:0xf bound_ctrl:1
	v_mov_b32_dpp v19, v9 row_bcast:31 row_mask:0xf bank_mask:0xf bound_ctrl:1
	v_cvt_f32_i32_dpp v1, v7 row_shl:4 row_mask:0xf bank_mask:0xf bound_ctrl:1
	v_cvt_i32_f32_e32 v7, v83
	v_cvt_i32_f32_e32 v9, v84
	v_add_f32_e32 v0, v0, v13
	v_add_f32_e32 v1, v6, v1
	v_cvt_f32_i32_dpp v6, v7 row_shl:1 row_mask:0xf bank_mask:0xf bound_ctrl:1
	v_cvt_f32_i32_dpp v7, v9 row_shl:2 row_mask:0xf bank_mask:0xf bound_ctrl:1
	v_cvt_i32_f32_e32 v9, v85
	v_cvt_i32_f32_e32 v13, v92
	v_add_f32_e32 v6, v82, v6
	v_add_f32_e32 v6, v6, v7
	v_cvt_f32_i32_dpp v7, v9 row_shl:3 row_mask:0xf bank_mask:0xf bound_ctrl:1
	v_cvt_i32_f32_e32 v9, v91
	v_cvt_i32_f32_e32 v10, v1
	;; [unrolled: 1-line block ×3, first 2 shown]
	v_add_f32_e32 v6, v6, v7
	v_cvt_f32_i32_dpp v7, v9 row_shl:1 row_mask:0xf bank_mask:0xf bound_ctrl:1
	v_cvt_f32_i32_dpp v9, v13 row_shl:2 row_mask:0xf bank_mask:0xf bound_ctrl:1
	;; [unrolled: 1-line block ×3, first 2 shown]
	v_cvt_i32_f32_e32 v14, v6
	v_add_f32_e32 v7, v90, v7
	v_add_f32_e32 v7, v7, v9
	;; [unrolled: 1-line block ×3, first 2 shown]
	v_cvt_i32_f32_e32 v9, v7
	v_cvt_f32_i32_dpp v13, v14 row_shl:4 row_mask:0xf bank_mask:0xf bound_ctrl:1
	v_cvt_f32_i32_dpp v10, v10 row_shl:8 row_mask:0xf bank_mask:0xf bound_ctrl:1
	v_cvt_f32_i32_dpp v0, v0 row_shr:15 row_mask:0xf bank_mask:0xf bound_ctrl:1
	v_cvt_f32_i32_dpp v9, v9 row_shl:4 row_mask:0xf bank_mask:0xf bound_ctrl:1
	v_add_f32_e32 v6, v6, v13
	v_add_f32_e32 v1, v1, v10
	v_cvt_i32_f32_e32 v10, v6
	v_add_f32_e32 v7, v7, v9
	v_cvt_i32_f32_e32 v9, v7
	v_cvt_i32_f32_e32 v1, v1
	v_cvt_f32_i32_dpp v10, v10 row_shl:8 row_mask:0xf bank_mask:0xf bound_ctrl:1
	v_cvt_i32_f32_e32 v13, v0
	v_cvt_f32_i32_dpp v9, v9 row_shl:8 row_mask:0xf bank_mask:0xf bound_ctrl:1
	v_cvt_f32_i32_dpp v1, v1 row_shr:15 row_mask:0xf bank_mask:0xf bound_ctrl:1
	v_add_f32_e32 v6, v6, v10
	v_cvt_i32_f32_e32 v6, v6
	v_add_f32_e32 v7, v7, v9
	v_cvt_i32_f32_e32 v7, v7
	v_cvt_f32_i32_dpp v9, v13 row_bcast:15 row_mask:0xf bank_mask:0xf bound_ctrl:1
	v_cvt_f32_i32_dpp v6, v6 row_shr:15 row_mask:0xf bank_mask:0xf bound_ctrl:1
	v_cvt_i32_f32_e32 v10, v1
	v_cvt_f32_i32_dpp v7, v7 row_shr:15 row_mask:0xf bank_mask:0xf bound_ctrl:1
	v_add_f32_e32 v13, v0, v9
	v_cvt_i32_f32_e32 v0, v6
	v_cvt_f32_i32_dpp v9, v10 row_bcast:15 row_mask:0xf bank_mask:0xf bound_ctrl:1
	v_cvt_i32_f32_e32 v10, v7
	v_cvt_i32_f32_e32 v14, v13
	v_cvt_f32_i32_dpp v0, v0 row_bcast:15 row_mask:0xf bank_mask:0xf bound_ctrl:1
	v_add_f32_e32 v9, v1, v9
	v_cvt_f32_i32_dpp v1, v10 row_bcast:15 row_mask:0xf bank_mask:0xf bound_ctrl:1
	v_cvt_i32_f32_e32 v10, v9
	v_add_f32_e32 v6, v6, v0
	v_cvt_i32_f32_e32 v17, v6
	v_add_f32_e32 v0, v7, v1
	v_cvt_i32_f32_e32 v1, v0
	v_mov_b32_dpp v16, v14 row_bcast:31 row_mask:0xf bank_mask:0xf bound_ctrl:1
	v_mov_b32_dpp v10, v10 row_bcast:31 row_mask:0xf bank_mask:0xf bound_ctrl:1
	;; [unrolled: 1-line block ×4, first 2 shown]
	s_and_saveexec_b64 s[34:35], s[0:1]
	s_cbranch_execz .LBB276_153
; %bb.55:                               ;   in Loop: Header=BB276_13 Depth=1
	s_andn2_b64 vcc, exec, s[28:29]
	v_mov_b32_e32 v48, 0
	v_mov_b32_e32 v45, 0
	;; [unrolled: 1-line block ×16, first 2 shown]
	s_cbranch_vccnz .LBB276_57
; %bb.56:                               ;   in Loop: Header=BB276_13 Depth=1
	scratch_load_dword v27, off, off offset:148 ; 4-byte Folded Reload
	v_mov_b32_e32 v45, v15
	v_mov_b32_e32 v29, v15
	;; [unrolled: 1-line block ×4, first 2 shown]
	s_waitcnt vmcnt(0)
	v_mul_hi_u32 v14, v72, v27
	v_mul_lo_u32 v14, v14, s20
	v_sub_u32_e32 v14, v72, v14
	v_subrev_u32_e32 v17, s20, v14
	v_cmp_le_u32_e32 vcc, s20, v14
	s_nop 1
	v_cndmask_b32_e32 v14, v14, v17, vcc
	v_subrev_u32_e32 v17, s20, v14
	v_cmp_le_u32_e32 vcc, s20, v14
	s_nop 1
	v_cndmask_b32_e32 v14, v14, v17, vcc
	v_mul_hi_u32 v17, v80, v27
	v_mul_lo_u32 v17, v17, s20
	v_sub_u32_e32 v17, v80, v17
	v_subrev_u32_e32 v22, s20, v17
	v_cmp_le_u32_e32 vcc, s20, v17
	v_add_u32_e32 v44, s43, v14
	v_lshl_add_u64 v[64:65], v[44:45], 1, s[18:19]
	v_cndmask_b32_e32 v17, v17, v22, vcc
	v_subrev_u32_e32 v22, s20, v17
	v_cmp_le_u32_e32 vcc, s20, v17
	v_lshl_add_u64 v[24:25], v[14:15], 1, s[18:19]
	s_nop 0
	v_cndmask_b32_e32 v28, v17, v22, vcc
	v_mul_hi_u32 v17, v78, v27
	v_mul_lo_u32 v17, v17, s20
	v_sub_u32_e32 v17, v78, v17
	v_subrev_u32_e32 v22, s20, v17
	v_cmp_le_u32_e32 vcc, s20, v17
	v_add_u32_e32 v44, s43, v28
	v_lshl_add_u64 v[66:67], v[44:45], 1, s[18:19]
	v_cndmask_b32_e32 v17, v17, v22, vcc
	v_subrev_u32_e32 v22, s20, v17
	v_cmp_le_u32_e32 vcc, s20, v17
	v_lshl_add_u64 v[32:33], v[28:29], 1, s[18:19]
	;; [unrolled: 13-line block ×3, first 2 shown]
	s_nop 0
	v_cndmask_b32_e32 v60, v17, v22, vcc
	v_add_u32_e32 v44, s43, v60
	v_lshl_add_u64 v[62:63], v[60:61], 1, s[18:19]
	v_lshl_add_u64 v[70:71], v[44:45], 1, s[18:19]
	global_load_ushort v48, v[24:25], off
	global_load_ushort v45, v[32:33], off
	;; [unrolled: 1-line block ×3, first 2 shown]
	s_nop 0
	global_load_ushort v41, v[62:63], off
	global_load_ushort v40, v[64:65], off
	;; [unrolled: 1-line block ×4, first 2 shown]
                                        ; kill: killed $vgpr66_vgpr67
                                        ; kill: killed $vgpr68_vgpr69
	global_load_ushort v32, v[70:71], off
	v_add_u32_e32 v24, s44, v14
	v_add_u32_e32 v14, s45, v14
	v_lshl_add_u64 v[68:69], v[14:15], 1, s[18:19]
	v_add_u32_e32 v14, s45, v28
	v_mov_b32_e32 v25, v15
	v_lshl_add_u64 v[70:71], v[14:15], 1, s[18:19]
	v_add_u32_e32 v14, s45, v52
	v_lshl_add_u64 v[24:25], v[24:25], 1, s[18:19]
	v_add_u32_e32 v62, s44, v28
	v_mov_b32_e32 v63, v15
	v_add_u32_e32 v64, s44, v52
	v_mov_b32_e32 v65, v15
	;; [unrolled: 2-line block ×3, first 2 shown]
	v_lshl_add_u64 v[52:53], v[14:15], 1, s[18:19]
	v_add_u32_e32 v14, s45, v60
	v_lshl_add_u64 v[62:63], v[62:63], 1, s[18:19]
	v_lshl_add_u64 v[64:65], v[64:65], 1, s[18:19]
	v_lshl_add_u64 v[66:67], v[66:67], 1, s[18:19]
	v_lshl_add_u64 v[60:61], v[14:15], 1, s[18:19]
	global_load_ushort v31, v[24:25], off
	global_load_ushort v29, v[62:63], off
	;; [unrolled: 1-line block ×4, first 2 shown]
	s_nop 0
	global_load_ushort v25, v[68:69], off
	global_load_ushort v24, v[70:71], off
	;; [unrolled: 1-line block ×4, first 2 shown]
.LBB276_57:                             ;   in Loop: Header=BB276_13 Depth=1
	v_cmp_ne_u32_e32 vcc, 0, v2
	s_and_saveexec_b64 s[6:7], vcc
	s_cbranch_execnz .LBB276_73
; %bb.58:                               ;   in Loop: Header=BB276_13 Depth=1
	s_or_b64 exec, exec, s[6:7]
	v_cmp_ne_u32_e64 s[4:5], 0, v3
	s_and_saveexec_b64 s[8:9], s[4:5]
	s_cbranch_execnz .LBB276_78
.LBB276_59:                             ;   in Loop: Header=BB276_13 Depth=1
	s_or_b64 exec, exec, s[8:9]
	v_cmp_ne_u32_e64 s[6:7], 0, v4
	s_and_saveexec_b64 s[10:11], s[6:7]
	s_cbranch_execnz .LBB276_83
.LBB276_60:                             ;   in Loop: Header=BB276_13 Depth=1
	s_or_b64 exec, exec, s[10:11]
	v_cmp_ne_u32_e64 s[8:9], 0, v5
	s_and_saveexec_b64 s[36:37], s[8:9]
	s_cbranch_execnz .LBB276_88
.LBB276_61:                             ;   in Loop: Header=BB276_13 Depth=1
	s_or_b64 exec, exec, s[36:37]
	s_waitcnt vmcnt(3)
	v_add_u32_e32 v14, s15, v72
	s_and_saveexec_b64 s[36:37], vcc
	s_cbranch_execnz .LBB276_93
.LBB276_62:                             ;   in Loop: Header=BB276_13 Depth=1
	s_or_b64 exec, exec, s[36:37]
	s_and_saveexec_b64 s[36:37], s[4:5]
	s_cbranch_execnz .LBB276_98
.LBB276_63:                             ;   in Loop: Header=BB276_13 Depth=1
	s_or_b64 exec, exec, s[36:37]
	s_and_saveexec_b64 s[36:37], s[6:7]
	s_cbranch_execnz .LBB276_103
.LBB276_64:                             ;   in Loop: Header=BB276_13 Depth=1
	s_or_b64 exec, exec, s[36:37]
	s_and_saveexec_b64 s[36:37], s[8:9]
	s_cbranch_execnz .LBB276_108
.LBB276_65:                             ;   in Loop: Header=BB276_13 Depth=1
	s_or_b64 exec, exec, s[36:37]
	v_add_u32_e32 v14, s15, v14
	s_and_saveexec_b64 s[36:37], vcc
	s_cbranch_execnz .LBB276_113
.LBB276_66:                             ;   in Loop: Header=BB276_13 Depth=1
	s_or_b64 exec, exec, s[36:37]
	s_and_saveexec_b64 s[36:37], s[4:5]
	s_cbranch_execnz .LBB276_118
.LBB276_67:                             ;   in Loop: Header=BB276_13 Depth=1
	s_or_b64 exec, exec, s[36:37]
	s_and_saveexec_b64 s[36:37], s[6:7]
	s_cbranch_execnz .LBB276_123
.LBB276_68:                             ;   in Loop: Header=BB276_13 Depth=1
	s_or_b64 exec, exec, s[36:37]
	s_and_saveexec_b64 s[36:37], s[8:9]
	s_cbranch_execnz .LBB276_128
.LBB276_69:                             ;   in Loop: Header=BB276_13 Depth=1
	s_or_b64 exec, exec, s[36:37]
	v_add_u32_e32 v14, s15, v14
	s_and_saveexec_b64 s[10:11], vcc
	s_cbranch_execnz .LBB276_133
.LBB276_70:                             ;   in Loop: Header=BB276_13 Depth=1
	s_or_b64 exec, exec, s[10:11]
	s_and_saveexec_b64 s[10:11], s[4:5]
	s_cbranch_execnz .LBB276_138
.LBB276_71:                             ;   in Loop: Header=BB276_13 Depth=1
	s_or_b64 exec, exec, s[10:11]
	s_and_saveexec_b64 s[4:5], s[6:7]
	s_cbranch_execnz .LBB276_143
.LBB276_72:                             ;   in Loop: Header=BB276_13 Depth=1
	s_or_b64 exec, exec, s[4:5]
	s_and_b64 exec, exec, s[8:9]
	s_cbranch_execnz .LBB276_148
	s_branch .LBB276_153
.LBB276_73:                             ;   in Loop: Header=BB276_13 Depth=1
	v_cvt_f32_i32_e32 v14, v56
	s_waitcnt vmcnt(15)
	v_lshlrev_b32_e32 v48, 16, v48
	v_add_f32_e32 v14, v58, v14
	v_add_f32_e32 v48, v14, v48
	v_and_b32_e32 v14, 0x7f800000, v48
	v_cmp_ne_u32_e64 s[4:5], s48, v14
                                        ; implicit-def: $vgpr14
	s_and_saveexec_b64 s[8:9], s[4:5]
	s_xor_b64 s[4:5], exec, s[8:9]
; %bb.74:                               ;   in Loop: Header=BB276_13 Depth=1
	v_bfe_u32 v14, v48, 16, 1
	v_add3_u32 v14, v48, v14, s14
                                        ; implicit-def: $vgpr48
; %bb.75:                               ;   in Loop: Header=BB276_13 Depth=1
	s_andn2_saveexec_b64 s[8:9], s[4:5]
; %bb.76:                               ;   in Loop: Header=BB276_13 Depth=1
	v_or_b32_e32 v14, 0x10000, v48
	v_cmp_eq_u32_sdwa s[4:5], v48, v15 src0_sel:WORD_0 src1_sel:DWORD
	s_nop 1
	v_cndmask_b32_e64 v14, v14, v48, s[4:5]
; %bb.77:                               ;   in Loop: Header=BB276_13 Depth=1
	s_or_b64 exec, exec, s[8:9]
	s_waitcnt vmcnt(3)
	v_mov_b32_e32 v73, v15
	s_waitcnt lgkmcnt(0)
	v_lshl_add_u64 v[48:49], v[72:73], 1, s[24:25]
	global_store_short_d16_hi v[48:49], v14, off
	s_or_b64 exec, exec, s[6:7]
	v_cmp_ne_u32_e64 s[4:5], 0, v3
	s_and_saveexec_b64 s[8:9], s[4:5]
	s_cbranch_execz .LBB276_59
.LBB276_78:                             ;   in Loop: Header=BB276_13 Depth=1
	v_cvt_f32_i32_e32 v14, v55
	s_waitcnt vmcnt(14)
	v_lshlrev_b32_e32 v45, 16, v45
	v_add_f32_e32 v14, v54, v14
	v_add_f32_e32 v45, v14, v45
	v_and_b32_e32 v14, 0x7f800000, v45
	v_cmp_ne_u32_e64 s[6:7], s48, v14
                                        ; implicit-def: $vgpr14
	s_and_saveexec_b64 s[10:11], s[6:7]
	s_xor_b64 s[6:7], exec, s[10:11]
; %bb.79:                               ;   in Loop: Header=BB276_13 Depth=1
	v_bfe_u32 v14, v45, 16, 1
	v_add3_u32 v14, v45, v14, s14
                                        ; implicit-def: $vgpr45
; %bb.80:                               ;   in Loop: Header=BB276_13 Depth=1
	s_andn2_saveexec_b64 s[10:11], s[6:7]
; %bb.81:                               ;   in Loop: Header=BB276_13 Depth=1
	v_or_b32_e32 v14, 0x10000, v45
	v_cmp_eq_u32_sdwa s[6:7], v45, v15 src0_sel:WORD_0 src1_sel:DWORD
	s_nop 1
	v_cndmask_b32_e64 v14, v14, v45, s[6:7]
; %bb.82:                               ;   in Loop: Header=BB276_13 Depth=1
	s_or_b64 exec, exec, s[10:11]
	s_waitcnt vmcnt(0)
	v_mov_b32_e32 v81, v15
	s_waitcnt lgkmcnt(0)
	v_lshl_add_u64 v[48:49], v[80:81], 1, s[24:25]
	global_store_short_d16_hi v[48:49], v14, off
	s_or_b64 exec, exec, s[8:9]
	v_cmp_ne_u32_e64 s[6:7], 0, v4
	s_and_saveexec_b64 s[10:11], s[6:7]
	s_cbranch_execz .LBB276_60
.LBB276_83:                             ;   in Loop: Header=BB276_13 Depth=1
	v_cvt_f32_i32_e32 v14, v47
	s_waitcnt vmcnt(13)
	v_lshlrev_b32_e32 v44, 16, v44
	v_add_f32_e32 v14, v50, v14
	v_add_f32_e32 v44, v14, v44
	v_and_b32_e32 v14, 0x7f800000, v44
	v_cmp_ne_u32_e64 s[8:9], s48, v14
                                        ; implicit-def: $vgpr14
	s_and_saveexec_b64 s[36:37], s[8:9]
	s_xor_b64 s[8:9], exec, s[36:37]
; %bb.84:                               ;   in Loop: Header=BB276_13 Depth=1
	v_bfe_u32 v14, v44, 16, 1
	v_add3_u32 v14, v44, v14, s14
                                        ; implicit-def: $vgpr44
; %bb.85:                               ;   in Loop: Header=BB276_13 Depth=1
	s_andn2_saveexec_b64 s[36:37], s[8:9]
; %bb.86:                               ;   in Loop: Header=BB276_13 Depth=1
	v_or_b32_e32 v14, 0x10000, v44
	v_cmp_eq_u32_sdwa s[8:9], v44, v15 src0_sel:WORD_0 src1_sel:DWORD
	s_nop 1
	v_cndmask_b32_e64 v14, v14, v44, s[8:9]
; %bb.87:                               ;   in Loop: Header=BB276_13 Depth=1
	s_or_b64 exec, exec, s[36:37]
	s_waitcnt vmcnt(1)
	v_mov_b32_e32 v79, v15
	s_waitcnt lgkmcnt(0)
	v_lshl_add_u64 v[44:45], v[78:79], 1, s[24:25]
	global_store_short_d16_hi v[44:45], v14, off
	s_or_b64 exec, exec, s[10:11]
	v_cmp_ne_u32_e64 s[8:9], 0, v5
	s_and_saveexec_b64 s[36:37], s[8:9]
	s_cbranch_execz .LBB276_61
.LBB276_88:                             ;   in Loop: Header=BB276_13 Depth=1
	v_cvt_f32_i32_e32 v14, v43
	s_waitcnt vmcnt(12)
	v_lshlrev_b32_e32 v41, 16, v41
	v_add_f32_e32 v14, v46, v14
	v_add_f32_e32 v41, v14, v41
	v_and_b32_e32 v14, 0x7f800000, v41
	v_cmp_ne_u32_e64 s[10:11], s48, v14
                                        ; implicit-def: $vgpr14
	s_and_saveexec_b64 s[38:39], s[10:11]
	s_xor_b64 s[10:11], exec, s[38:39]
; %bb.89:                               ;   in Loop: Header=BB276_13 Depth=1
	v_bfe_u32 v14, v41, 16, 1
	v_add3_u32 v14, v41, v14, s14
                                        ; implicit-def: $vgpr41
; %bb.90:                               ;   in Loop: Header=BB276_13 Depth=1
	s_andn2_saveexec_b64 s[38:39], s[10:11]
; %bb.91:                               ;   in Loop: Header=BB276_13 Depth=1
	v_or_b32_e32 v14, 0x10000, v41
	v_cmp_eq_u32_sdwa s[10:11], v41, v15 src0_sel:WORD_0 src1_sel:DWORD
	s_nop 1
	v_cndmask_b32_e64 v14, v14, v41, s[10:11]
; %bb.92:                               ;   in Loop: Header=BB276_13 Depth=1
	s_or_b64 exec, exec, s[38:39]
	s_waitcnt vmcnt(2)
	v_mov_b32_e32 v77, v15
	s_waitcnt lgkmcnt(0)
	v_lshl_add_u64 v[44:45], v[76:77], 1, s[24:25]
	global_store_short_d16_hi v[44:45], v14, off
	s_or_b64 exec, exec, s[36:37]
	v_add_u32_e32 v14, s15, v72
	s_and_saveexec_b64 s[36:37], vcc
	s_cbranch_execz .LBB276_62
.LBB276_93:                             ;   in Loop: Header=BB276_13 Depth=1
	v_cvt_f32_i32_e32 v39, v39
	v_lshlrev_b32_e32 v40, 16, v40
	v_add_f32_e32 v39, v42, v39
	v_add_f32_e32 v40, v39, v40
	v_and_b32_e32 v39, 0x7f800000, v40
	v_cmp_ne_u32_e64 s[10:11], s48, v39
                                        ; implicit-def: $vgpr39
	s_and_saveexec_b64 s[38:39], s[10:11]
	s_xor_b64 s[10:11], exec, s[38:39]
; %bb.94:                               ;   in Loop: Header=BB276_13 Depth=1
	v_bfe_u32 v39, v40, 16, 1
	v_add3_u32 v39, v40, v39, s14
                                        ; implicit-def: $vgpr40
; %bb.95:                               ;   in Loop: Header=BB276_13 Depth=1
	s_andn2_saveexec_b64 s[38:39], s[10:11]
; %bb.96:                               ;   in Loop: Header=BB276_13 Depth=1
	v_or_b32_e32 v39, 0x10000, v40
	v_cmp_eq_u32_sdwa s[10:11], v40, v15 src0_sel:WORD_0 src1_sel:DWORD
	s_nop 1
	v_cndmask_b32_e64 v39, v39, v40, s[10:11]
; %bb.97:                               ;   in Loop: Header=BB276_13 Depth=1
	s_or_b64 exec, exec, s[38:39]
	s_waitcnt lgkmcnt(0)
	v_lshl_add_u64 v[40:41], v[14:15], 1, s[24:25]
	global_store_short_d16_hi v[40:41], v39, off
	s_or_b64 exec, exec, s[36:37]
	s_and_saveexec_b64 s[36:37], s[4:5]
	s_cbranch_execz .LBB276_63
.LBB276_98:                             ;   in Loop: Header=BB276_13 Depth=1
	v_cvt_f32_i32_e32 v36, v36
	v_lshlrev_b32_e32 v37, 16, v37
	v_add_f32_e32 v36, v38, v36
	v_add_f32_e32 v37, v36, v37
	v_and_b32_e32 v36, 0x7f800000, v37
	v_cmp_ne_u32_e64 s[10:11], s48, v36
                                        ; implicit-def: $vgpr36
	s_and_saveexec_b64 s[38:39], s[10:11]
	s_xor_b64 s[10:11], exec, s[38:39]
; %bb.99:                               ;   in Loop: Header=BB276_13 Depth=1
	v_bfe_u32 v36, v37, 16, 1
	v_add3_u32 v36, v37, v36, s14
                                        ; implicit-def: $vgpr37
; %bb.100:                              ;   in Loop: Header=BB276_13 Depth=1
	s_andn2_saveexec_b64 s[38:39], s[10:11]
; %bb.101:                              ;   in Loop: Header=BB276_13 Depth=1
	v_or_b32_e32 v36, 0x10000, v37
	v_cmp_eq_u32_sdwa s[10:11], v37, v15 src0_sel:WORD_0 src1_sel:DWORD
	s_nop 1
	v_cndmask_b32_e64 v36, v36, v37, s[10:11]
; %bb.102:                              ;   in Loop: Header=BB276_13 Depth=1
	s_or_b64 exec, exec, s[38:39]
	v_add_u32_e32 v38, 1, v14
	v_mov_b32_e32 v39, v15
	s_waitcnt lgkmcnt(0)
	v_lshl_add_u64 v[38:39], v[38:39], 1, s[24:25]
	global_store_short_d16_hi v[38:39], v36, off
	s_or_b64 exec, exec, s[36:37]
	s_and_saveexec_b64 s[36:37], s[6:7]
	s_cbranch_execz .LBB276_64
.LBB276_103:                            ;   in Loop: Header=BB276_13 Depth=1
	v_cvt_f32_i32_e32 v35, v35
	v_lshlrev_b32_e32 v33, 16, v33
	v_add_f32_e32 v34, v34, v35
	v_add_f32_e32 v34, v34, v33
	v_and_b32_e32 v33, 0x7f800000, v34
	v_cmp_ne_u32_e64 s[10:11], s48, v33
                                        ; implicit-def: $vgpr33
	s_and_saveexec_b64 s[38:39], s[10:11]
	s_xor_b64 s[10:11], exec, s[38:39]
; %bb.104:                              ;   in Loop: Header=BB276_13 Depth=1
	v_bfe_u32 v33, v34, 16, 1
	v_add3_u32 v33, v34, v33, s14
                                        ; implicit-def: $vgpr34
; %bb.105:                              ;   in Loop: Header=BB276_13 Depth=1
	s_andn2_saveexec_b64 s[38:39], s[10:11]
; %bb.106:                              ;   in Loop: Header=BB276_13 Depth=1
	v_or_b32_e32 v33, 0x10000, v34
	v_cmp_eq_u32_sdwa s[10:11], v34, v15 src0_sel:WORD_0 src1_sel:DWORD
	s_nop 1
	v_cndmask_b32_e64 v33, v33, v34, s[10:11]
; %bb.107:                              ;   in Loop: Header=BB276_13 Depth=1
	s_or_b64 exec, exec, s[38:39]
	v_add_u32_e32 v34, 2, v14
	v_mov_b32_e32 v35, v15
	s_waitcnt lgkmcnt(0)
	v_lshl_add_u64 v[34:35], v[34:35], 1, s[24:25]
	global_store_short_d16_hi v[34:35], v33, off
	s_or_b64 exec, exec, s[36:37]
	s_and_saveexec_b64 s[36:37], s[8:9]
	s_cbranch_execz .LBB276_65
.LBB276_108:                            ;   in Loop: Header=BB276_13 Depth=1
	v_cvt_f32_i32_e32 v26, v26
	v_add_f32_e32 v26, v30, v26
	v_lshlrev_b32_e32 v30, 16, v32
	v_add_f32_e32 v30, v26, v30
	v_and_b32_e32 v26, 0x7f800000, v30
	v_cmp_ne_u32_e64 s[10:11], s48, v26
                                        ; implicit-def: $vgpr26
	s_and_saveexec_b64 s[38:39], s[10:11]
	s_xor_b64 s[10:11], exec, s[38:39]
; %bb.109:                              ;   in Loop: Header=BB276_13 Depth=1
	v_bfe_u32 v26, v30, 16, 1
	v_add3_u32 v26, v30, v26, s14
                                        ; implicit-def: $vgpr30
; %bb.110:                              ;   in Loop: Header=BB276_13 Depth=1
	s_andn2_saveexec_b64 s[38:39], s[10:11]
; %bb.111:                              ;   in Loop: Header=BB276_13 Depth=1
	v_or_b32_e32 v26, 0x10000, v30
	v_cmp_eq_u32_sdwa s[10:11], v30, v15 src0_sel:WORD_0 src1_sel:DWORD
	s_nop 1
	v_cndmask_b32_e64 v26, v26, v30, s[10:11]
; %bb.112:                              ;   in Loop: Header=BB276_13 Depth=1
	s_or_b64 exec, exec, s[38:39]
	v_add_u32_e32 v32, 3, v14
	v_mov_b32_e32 v33, v15
	s_waitcnt lgkmcnt(0)
	v_lshl_add_u64 v[32:33], v[32:33], 1, s[24:25]
	global_store_short_d16_hi v[32:33], v26, off
	s_or_b64 exec, exec, s[36:37]
	v_add_u32_e32 v14, s15, v14
	s_and_saveexec_b64 s[36:37], vcc
	s_cbranch_execz .LBB276_66
.LBB276_113:                            ;   in Loop: Header=BB276_13 Depth=1
	v_cvt_f32_i32_e32 v23, v23
	v_add_f32_e32 v20, v20, v23
	v_lshlrev_b32_e32 v23, 16, v31
	v_add_f32_e32 v23, v20, v23
	v_and_b32_e32 v20, 0x7f800000, v23
	v_cmp_ne_u32_e64 s[10:11], s48, v20
                                        ; implicit-def: $vgpr20
	s_and_saveexec_b64 s[38:39], s[10:11]
	s_xor_b64 s[10:11], exec, s[38:39]
; %bb.114:                              ;   in Loop: Header=BB276_13 Depth=1
	v_bfe_u32 v20, v23, 16, 1
	v_add3_u32 v20, v23, v20, s14
                                        ; implicit-def: $vgpr23
; %bb.115:                              ;   in Loop: Header=BB276_13 Depth=1
	s_andn2_saveexec_b64 s[38:39], s[10:11]
; %bb.116:                              ;   in Loop: Header=BB276_13 Depth=1
	v_or_b32_e32 v20, 0x10000, v23
	v_cmp_eq_u32_sdwa s[10:11], v23, v15 src0_sel:WORD_0 src1_sel:DWORD
	s_nop 1
	v_cndmask_b32_e64 v20, v20, v23, s[10:11]
; %bb.117:                              ;   in Loop: Header=BB276_13 Depth=1
	s_or_b64 exec, exec, s[38:39]
	s_waitcnt lgkmcnt(0)
	v_lshl_add_u64 v[30:31], v[14:15], 1, s[24:25]
	global_store_short_d16_hi v[30:31], v20, off
	s_or_b64 exec, exec, s[36:37]
	s_and_saveexec_b64 s[36:37], s[4:5]
	s_cbranch_execz .LBB276_67
.LBB276_118:                            ;   in Loop: Header=BB276_13 Depth=1
	v_cvt_f32_i32_e32 v20, v21
	v_add_f32_e32 v18, v18, v20
	v_lshlrev_b32_e32 v20, 16, v29
	v_add_f32_e32 v20, v18, v20
	v_and_b32_e32 v18, 0x7f800000, v20
	v_cmp_ne_u32_e64 s[10:11], s48, v18
                                        ; implicit-def: $vgpr18
	s_and_saveexec_b64 s[38:39], s[10:11]
	s_xor_b64 s[10:11], exec, s[38:39]
; %bb.119:                              ;   in Loop: Header=BB276_13 Depth=1
	v_bfe_u32 v18, v20, 16, 1
	v_add3_u32 v18, v20, v18, s14
                                        ; implicit-def: $vgpr20
; %bb.120:                              ;   in Loop: Header=BB276_13 Depth=1
	s_andn2_saveexec_b64 s[38:39], s[10:11]
; %bb.121:                              ;   in Loop: Header=BB276_13 Depth=1
	v_or_b32_e32 v18, 0x10000, v20
	v_cmp_eq_u32_sdwa s[10:11], v20, v15 src0_sel:WORD_0 src1_sel:DWORD
	s_nop 1
	v_cndmask_b32_e64 v18, v18, v20, s[10:11]
; %bb.122:                              ;   in Loop: Header=BB276_13 Depth=1
	s_or_b64 exec, exec, s[38:39]
	v_add_u32_e32 v20, 1, v14
	v_mov_b32_e32 v21, v15
	s_waitcnt lgkmcnt(0)
	v_lshl_add_u64 v[20:21], v[20:21], 1, s[24:25]
	global_store_short_d16_hi v[20:21], v18, off
	s_or_b64 exec, exec, s[36:37]
	s_and_saveexec_b64 s[36:37], s[6:7]
	s_cbranch_execz .LBB276_68
.LBB276_123:                            ;   in Loop: Header=BB276_13 Depth=1
	v_cvt_f32_i32_e32 v18, v19
	v_add_f32_e32 v12, v12, v18
	v_lshlrev_b32_e32 v18, 16, v28
	v_add_f32_e32 v18, v12, v18
	v_and_b32_e32 v12, 0x7f800000, v18
	v_cmp_ne_u32_e64 s[10:11], s48, v12
                                        ; implicit-def: $vgpr12
	s_and_saveexec_b64 s[38:39], s[10:11]
	s_xor_b64 s[10:11], exec, s[38:39]
; %bb.124:                              ;   in Loop: Header=BB276_13 Depth=1
	v_bfe_u32 v12, v18, 16, 1
	v_add3_u32 v12, v18, v12, s14
                                        ; implicit-def: $vgpr18
; %bb.125:                              ;   in Loop: Header=BB276_13 Depth=1
	s_andn2_saveexec_b64 s[38:39], s[10:11]
; %bb.126:                              ;   in Loop: Header=BB276_13 Depth=1
	v_or_b32_e32 v12, 0x10000, v18
	v_cmp_eq_u32_sdwa s[10:11], v18, v15 src0_sel:WORD_0 src1_sel:DWORD
	s_nop 1
	v_cndmask_b32_e64 v12, v12, v18, s[10:11]
; %bb.127:                              ;   in Loop: Header=BB276_13 Depth=1
	s_or_b64 exec, exec, s[38:39]
	v_add_u32_e32 v18, 2, v14
	v_mov_b32_e32 v19, v15
	s_waitcnt lgkmcnt(0)
	v_lshl_add_u64 v[18:19], v[18:19], 1, s[24:25]
	global_store_short_d16_hi v[18:19], v12, off
	s_or_b64 exec, exec, s[36:37]
	s_and_saveexec_b64 s[36:37], s[8:9]
	s_cbranch_execz .LBB276_69
.LBB276_128:                            ;   in Loop: Header=BB276_13 Depth=1
	v_cvt_f32_i32_e32 v11, v11
	v_add_f32_e32 v8, v8, v11
	v_lshlrev_b32_e32 v11, 16, v27
	v_add_f32_e32 v11, v8, v11
	v_and_b32_e32 v8, 0x7f800000, v11
	v_cmp_ne_u32_e64 s[10:11], s48, v8
                                        ; implicit-def: $vgpr8
	s_and_saveexec_b64 s[38:39], s[10:11]
	s_xor_b64 s[10:11], exec, s[38:39]
; %bb.129:                              ;   in Loop: Header=BB276_13 Depth=1
	v_bfe_u32 v8, v11, 16, 1
	v_add3_u32 v8, v11, v8, s14
                                        ; implicit-def: $vgpr11
; %bb.130:                              ;   in Loop: Header=BB276_13 Depth=1
	s_andn2_saveexec_b64 s[38:39], s[10:11]
; %bb.131:                              ;   in Loop: Header=BB276_13 Depth=1
	v_or_b32_e32 v8, 0x10000, v11
	v_cmp_eq_u32_sdwa s[10:11], v11, v15 src0_sel:WORD_0 src1_sel:DWORD
	s_nop 1
	v_cndmask_b32_e64 v8, v8, v11, s[10:11]
; %bb.132:                              ;   in Loop: Header=BB276_13 Depth=1
	s_or_b64 exec, exec, s[38:39]
	v_add_u32_e32 v18, 3, v14
	v_mov_b32_e32 v19, v15
	s_waitcnt lgkmcnt(0)
	v_lshl_add_u64 v[18:19], v[18:19], 1, s[24:25]
	global_store_short_d16_hi v[18:19], v8, off
	s_or_b64 exec, exec, s[36:37]
	v_add_u32_e32 v14, s15, v14
	s_and_saveexec_b64 s[10:11], vcc
	s_cbranch_execz .LBB276_70
.LBB276_133:                            ;   in Loop: Header=BB276_13 Depth=1
	v_cvt_f32_i32_e32 v8, v16
	v_lshlrev_b32_e32 v11, 16, v25
	v_add_f32_e32 v8, v13, v8
	v_add_f32_e32 v11, v8, v11
	v_and_b32_e32 v8, 0x7f800000, v11
	v_cmp_ne_u32_e32 vcc, s48, v8
                                        ; implicit-def: $vgpr8
	s_and_saveexec_b64 s[36:37], vcc
	s_xor_b64 s[36:37], exec, s[36:37]
; %bb.134:                              ;   in Loop: Header=BB276_13 Depth=1
	v_bfe_u32 v8, v11, 16, 1
	v_add3_u32 v8, v11, v8, s14
                                        ; implicit-def: $vgpr11
; %bb.135:                              ;   in Loop: Header=BB276_13 Depth=1
	s_andn2_saveexec_b64 s[36:37], s[36:37]
; %bb.136:                              ;   in Loop: Header=BB276_13 Depth=1
	v_or_b32_e32 v8, 0x10000, v11
	v_cmp_eq_u32_sdwa vcc, v11, v15 src0_sel:WORD_0 src1_sel:DWORD
	s_nop 1
	v_cndmask_b32_e32 v8, v8, v11, vcc
; %bb.137:                              ;   in Loop: Header=BB276_13 Depth=1
	s_or_b64 exec, exec, s[36:37]
	s_waitcnt lgkmcnt(0)
	v_lshl_add_u64 v[12:13], v[14:15], 1, s[24:25]
	global_store_short_d16_hi v[12:13], v8, off
	s_or_b64 exec, exec, s[10:11]
	s_and_saveexec_b64 s[10:11], s[4:5]
	s_cbranch_execz .LBB276_71
.LBB276_138:                            ;   in Loop: Header=BB276_13 Depth=1
	v_cvt_f32_i32_e32 v8, v10
	v_add_f32_e32 v8, v9, v8
	s_waitcnt vmcnt(2)
	v_lshlrev_b32_e32 v9, 16, v24
	v_add_f32_e32 v9, v8, v9
	v_and_b32_e32 v8, 0x7f800000, v9
	v_cmp_ne_u32_e32 vcc, s48, v8
                                        ; implicit-def: $vgpr8
	s_and_saveexec_b64 s[4:5], vcc
	s_xor_b64 s[4:5], exec, s[4:5]
; %bb.139:                              ;   in Loop: Header=BB276_13 Depth=1
	v_bfe_u32 v8, v9, 16, 1
	v_add3_u32 v8, v9, v8, s14
                                        ; implicit-def: $vgpr9
; %bb.140:                              ;   in Loop: Header=BB276_13 Depth=1
	s_andn2_saveexec_b64 s[4:5], s[4:5]
; %bb.141:                              ;   in Loop: Header=BB276_13 Depth=1
	v_or_b32_e32 v8, 0x10000, v9
	v_cmp_eq_u32_sdwa vcc, v9, v15 src0_sel:WORD_0 src1_sel:DWORD
	s_nop 1
	v_cndmask_b32_e32 v8, v8, v9, vcc
; %bb.142:                              ;   in Loop: Header=BB276_13 Depth=1
	s_or_b64 exec, exec, s[4:5]
	v_add_u32_e32 v10, 1, v14
	v_mov_b32_e32 v11, v15
	s_waitcnt lgkmcnt(0)
	v_lshl_add_u64 v[10:11], v[10:11], 1, s[24:25]
	global_store_short_d16_hi v[10:11], v8, off
	s_or_b64 exec, exec, s[10:11]
	s_and_saveexec_b64 s[4:5], s[6:7]
	s_cbranch_execz .LBB276_72
.LBB276_143:                            ;   in Loop: Header=BB276_13 Depth=1
	v_cvt_f32_i32_e32 v7, v7
	v_add_f32_e32 v6, v6, v7
	s_waitcnt vmcnt(1)
	v_lshlrev_b32_e32 v7, 16, v22
	v_add_f32_e32 v7, v6, v7
	v_and_b32_e32 v6, 0x7f800000, v7
	v_cmp_ne_u32_e32 vcc, s48, v6
                                        ; implicit-def: $vgpr6
	s_and_saveexec_b64 s[6:7], vcc
	s_xor_b64 s[6:7], exec, s[6:7]
; %bb.144:                              ;   in Loop: Header=BB276_13 Depth=1
	v_bfe_u32 v6, v7, 16, 1
	v_add3_u32 v6, v7, v6, s14
                                        ; implicit-def: $vgpr7
; %bb.145:                              ;   in Loop: Header=BB276_13 Depth=1
	s_andn2_saveexec_b64 s[6:7], s[6:7]
; %bb.146:                              ;   in Loop: Header=BB276_13 Depth=1
	v_or_b32_e32 v6, 0x10000, v7
	v_cmp_eq_u32_sdwa vcc, v7, v15 src0_sel:WORD_0 src1_sel:DWORD
	s_nop 1
	v_cndmask_b32_e32 v6, v6, v7, vcc
; %bb.147:                              ;   in Loop: Header=BB276_13 Depth=1
	s_or_b64 exec, exec, s[6:7]
	v_add_u32_e32 v8, 2, v14
	v_mov_b32_e32 v9, v15
	s_waitcnt lgkmcnt(0)
	v_lshl_add_u64 v[8:9], v[8:9], 1, s[24:25]
	global_store_short_d16_hi v[8:9], v6, off
	s_or_b64 exec, exec, s[4:5]
	s_and_b64 exec, exec, s[8:9]
	s_cbranch_execz .LBB276_153
.LBB276_148:                            ;   in Loop: Header=BB276_13 Depth=1
	v_cvt_f32_i32_e32 v1, v1
	v_add_f32_e32 v0, v0, v1
	s_waitcnt vmcnt(0)
	v_lshlrev_b32_e32 v1, 16, v17
	v_add_f32_e32 v1, v0, v1
	v_and_b32_e32 v0, 0x7f800000, v1
	v_cmp_ne_u32_e32 vcc, s48, v0
                                        ; implicit-def: $vgpr0
	s_and_saveexec_b64 s[4:5], vcc
	s_xor_b64 s[4:5], exec, s[4:5]
; %bb.149:                              ;   in Loop: Header=BB276_13 Depth=1
	v_bfe_u32 v0, v1, 16, 1
	v_add3_u32 v0, v1, v0, s14
                                        ; implicit-def: $vgpr1
; %bb.150:                              ;   in Loop: Header=BB276_13 Depth=1
	s_andn2_saveexec_b64 s[4:5], s[4:5]
; %bb.151:                              ;   in Loop: Header=BB276_13 Depth=1
	v_or_b32_e32 v0, 0x10000, v1
	v_cmp_eq_u32_sdwa vcc, v1, v15 src0_sel:WORD_0 src1_sel:DWORD
	s_nop 1
	v_cndmask_b32_e32 v0, v0, v1, vcc
; %bb.152:                              ;   in Loop: Header=BB276_13 Depth=1
	s_or_b64 exec, exec, s[4:5]
	v_add_u32_e32 v14, 3, v14
	s_waitcnt lgkmcnt(0)
	v_lshl_add_u64 v[6:7], v[14:15], 1, s[24:25]
	global_store_short_d16_hi v[6:7], v0, off
.LBB276_153:                            ;   in Loop: Header=BB276_13 Depth=1
	s_or_b64 exec, exec, s[34:35]
	s_waitcnt vmcnt(3)
	v_add_u32_e32 v72, s42, v72
	v_add_u32_e32 v0, 4, v72
	v_cmp_gt_u32_e32 vcc, s15, v72
	v_cmp_le_u32_e64 s[4:5], s15, v0
	v_mov_b32_e32 v19, v74
	s_and_b64 s[4:5], vcc, s[4:5]
	s_and_saveexec_b64 s[6:7], s[4:5]
	s_cbranch_execz .LBB276_12
; %bb.154:                              ;   in Loop: Header=BB276_13 Depth=1
	v_cmp_ne_u32_e32 vcc, s21, v72
	s_and_saveexec_b64 s[8:9], vcc
	s_cbranch_execz .LBB276_11
; %bb.155:                              ;   in Loop: Header=BB276_13 Depth=1
	v_subrev_u32_e32 v0, s21, v72
	v_cmp_lt_u32_e32 vcc, 1, v0
	s_mov_b64 s[10:11], 0
	s_mov_b64 s[34:35], 0
	v_cndmask_b32_e32 v0, 1, v0, vcc
.LBB276_156:                            ;   Parent Loop BB276_13 Depth=1
                                        ; =>  This Inner Loop Header: Depth=2
	s_cmp_lg_u32 s34, 3
	s_cselect_b64 vcc, -1, 0
	s_cmp_lg_u32 s34, 2
	v_cndmask_b32_e32 v5, 0, v5, vcc
	s_cselect_b64 vcc, -1, 0
	s_cmp_lg_u32 s34, 1
	v_cndmask_b32_e32 v4, 0, v4, vcc
	s_cselect_b64 vcc, -1, 0
	s_cmp_lg_u32 s34, 0
	v_cndmask_b32_e32 v3, 0, v3, vcc
	s_cselect_b64 vcc, -1, 0
	s_add_u32 s34, s34, 1
	s_addc_u32 s35, s35, 0
	v_cmp_eq_u32_e64 s[4:5], s34, v0
	s_or_b64 s[10:11], s[4:5], s[10:11]
	v_cndmask_b32_e32 v2, 0, v2, vcc
	s_andn2_b64 exec, exec, s[10:11]
	s_cbranch_execnz .LBB276_156
; %bb.157:                              ;   in Loop: Header=BB276_13 Depth=1
	s_or_b64 exec, exec, s[10:11]
	s_branch .LBB276_11
.LBB276_158:
	s_endpgm
	.section	.rodata,"a",@progbits
	.p2align	6, 0x0
	.amdhsa_kernel _Z12wvSplitK_hf_I14__hip_bfloat16Li64ELi4ELi16ELi8ELi2ELi4EEviiiiiiPKT_S3_S3_PS1_ii
		.amdhsa_group_segment_fixed_size 65536
		.amdhsa_private_segment_fixed_size 156
		.amdhsa_kernarg_size 64
		.amdhsa_user_sgpr_count 2
		.amdhsa_user_sgpr_dispatch_ptr 0
		.amdhsa_user_sgpr_queue_ptr 0
		.amdhsa_user_sgpr_kernarg_segment_ptr 1
		.amdhsa_user_sgpr_dispatch_id 0
		.amdhsa_user_sgpr_kernarg_preload_length 0
		.amdhsa_user_sgpr_kernarg_preload_offset 0
		.amdhsa_user_sgpr_private_segment_size 0
		.amdhsa_uses_dynamic_stack 0
		.amdhsa_enable_private_segment 1
		.amdhsa_system_sgpr_workgroup_id_x 1
		.amdhsa_system_sgpr_workgroup_id_y 0
		.amdhsa_system_sgpr_workgroup_id_z 0
		.amdhsa_system_sgpr_workgroup_info 0
		.amdhsa_system_vgpr_workitem_id 1
		.amdhsa_next_free_vgpr 128
		.amdhsa_next_free_sgpr 49
		.amdhsa_accum_offset 128
		.amdhsa_reserve_vcc 1
		.amdhsa_float_round_mode_32 0
		.amdhsa_float_round_mode_16_64 0
		.amdhsa_float_denorm_mode_32 3
		.amdhsa_float_denorm_mode_16_64 3
		.amdhsa_dx10_clamp 1
		.amdhsa_ieee_mode 1
		.amdhsa_fp16_overflow 0
		.amdhsa_tg_split 0
		.amdhsa_exception_fp_ieee_invalid_op 0
		.amdhsa_exception_fp_denorm_src 0
		.amdhsa_exception_fp_ieee_div_zero 0
		.amdhsa_exception_fp_ieee_overflow 0
		.amdhsa_exception_fp_ieee_underflow 0
		.amdhsa_exception_fp_ieee_inexact 0
		.amdhsa_exception_int_div_zero 0
	.end_amdhsa_kernel
	.section	.text._Z12wvSplitK_hf_I14__hip_bfloat16Li64ELi4ELi16ELi8ELi2ELi4EEviiiiiiPKT_S3_S3_PS1_ii,"axG",@progbits,_Z12wvSplitK_hf_I14__hip_bfloat16Li64ELi4ELi16ELi8ELi2ELi4EEviiiiiiPKT_S3_S3_PS1_ii,comdat
.Lfunc_end276:
	.size	_Z12wvSplitK_hf_I14__hip_bfloat16Li64ELi4ELi16ELi8ELi2ELi4EEviiiiiiPKT_S3_S3_PS1_ii, .Lfunc_end276-_Z12wvSplitK_hf_I14__hip_bfloat16Li64ELi4ELi16ELi8ELi2ELi4EEviiiiiiPKT_S3_S3_PS1_ii
                                        ; -- End function
	.section	.AMDGPU.csdata,"",@progbits
; Kernel info:
; codeLenInByte = 8284
; NumSgprs: 55
; NumVgprs: 128
; NumAgprs: 0
; TotalNumVgprs: 128
; ScratchSize: 156
; MemoryBound: 1
; FloatMode: 240
; IeeeMode: 1
; LDSByteSize: 65536 bytes/workgroup (compile time only)
; SGPRBlocks: 6
; VGPRBlocks: 15
; NumSGPRsForWavesPerEU: 55
; NumVGPRsForWavesPerEU: 128
; AccumOffset: 128
; Occupancy: 4
; WaveLimiterHint : 0
; COMPUTE_PGM_RSRC2:SCRATCH_EN: 1
; COMPUTE_PGM_RSRC2:USER_SGPR: 2
; COMPUTE_PGM_RSRC2:TRAP_HANDLER: 0
; COMPUTE_PGM_RSRC2:TGID_X_EN: 1
; COMPUTE_PGM_RSRC2:TGID_Y_EN: 0
; COMPUTE_PGM_RSRC2:TGID_Z_EN: 0
; COMPUTE_PGM_RSRC2:TIDIG_COMP_CNT: 1
; COMPUTE_PGM_RSRC3_GFX90A:ACCUM_OFFSET: 31
; COMPUTE_PGM_RSRC3_GFX90A:TG_SPLIT: 0
	.section	.text._Z16wvSplitK_hf_big_I14__hip_bfloat16Li64ELi4ELi16ELi8ELi2ELi4EEviiiiiiPKT_S3_S3_PS1_ii,"axG",@progbits,_Z16wvSplitK_hf_big_I14__hip_bfloat16Li64ELi4ELi16ELi8ELi2ELi4EEviiiiiiPKT_S3_S3_PS1_ii,comdat
	.protected	_Z16wvSplitK_hf_big_I14__hip_bfloat16Li64ELi4ELi16ELi8ELi2ELi4EEviiiiiiPKT_S3_S3_PS1_ii ; -- Begin function _Z16wvSplitK_hf_big_I14__hip_bfloat16Li64ELi4ELi16ELi8ELi2ELi4EEviiiiiiPKT_S3_S3_PS1_ii
	.globl	_Z16wvSplitK_hf_big_I14__hip_bfloat16Li64ELi4ELi16ELi8ELi2ELi4EEviiiiiiPKT_S3_S3_PS1_ii
	.p2align	8
	.type	_Z16wvSplitK_hf_big_I14__hip_bfloat16Li64ELi4ELi16ELi8ELi2ELi4EEviiiiiiPKT_S3_S3_PS1_ii,@function
_Z16wvSplitK_hf_big_I14__hip_bfloat16Li64ELi4ELi16ELi8ELi2ELi4EEviiiiiiPKT_S3_S3_PS1_ii: ; @_Z16wvSplitK_hf_big_I14__hip_bfloat16Li64ELi4ELi16ELi8ELi2ELi4EEviiiiiiPKT_S3_S3_PS1_ii
; %bb.0:
	s_load_dwordx2 s[8:9], s[0:1], 0x38
	v_bfe_u32 v7, v0, 10, 10
	s_waitcnt lgkmcnt(0)
	v_cmp_gt_u32_e32 vcc, s8, v7
	s_and_saveexec_b64 s[4:5], vcc
	s_cbranch_execz .LBB277_136
; %bb.1:
	s_load_dwordx4 s[24:27], s[0:1], 0x0
	s_mul_i32 s2, s2, s8
	v_add_lshl_u32 v10, s2, v7, 2
	s_mov_b32 s4, 1
	v_add_u32_e32 v1, 4, v10
	s_mov_b32 s5, s4
	s_waitcnt lgkmcnt(0)
	v_cmp_gt_u32_e32 vcc, s27, v10
	v_cmp_le_u32_e64 s[2:3], s27, v1
	s_mov_b32 s6, s4
	s_mov_b32 s7, s4
	v_mov_b64_e32 v[2:3], s[4:5]
	s_and_b64 s[10:11], vcc, s[2:3]
	v_mov_b64_e32 v[4:5], s[6:7]
	s_and_saveexec_b64 s[2:3], s[10:11]
	s_cbranch_execz .LBB277_7
; %bb.2:
	s_add_i32 s16, s27, -4
	v_mov_b64_e32 v[2:3], s[4:5]
	v_cmp_ne_u32_e32 vcc, s16, v10
	v_mov_b64_e32 v[4:5], s[6:7]
	s_and_saveexec_b64 s[10:11], vcc
	s_cbranch_execz .LBB277_6
; %bb.3:
	v_subrev_u32_e32 v1, s16, v10
	v_cmp_lt_u32_e32 vcc, 1, v1
	s_mov_b64 s[12:13], 0
	s_mov_b64 s[14:15], 0
	v_cndmask_b32_e32 v6, 1, v1, vcc
	s_mov_b32 s5, s4
	s_mov_b32 s6, s4
	;; [unrolled: 1-line block ×3, first 2 shown]
.LBB277_4:                              ; =>This Inner Loop Header: Depth=1
	s_cmp_lg_u32 s14, 3
	s_cselect_b32 s7, s7, 0
	s_cmp_lg_u32 s14, 2
	s_cselect_b32 s6, s6, 0
	;; [unrolled: 2-line block ×4, first 2 shown]
	s_add_u32 s14, s14, 1
	s_addc_u32 s15, s15, 0
	v_cmp_eq_u32_e32 vcc, s14, v6
	v_mov_b64_e32 v[2:3], s[4:5]
	s_or_b64 s[12:13], vcc, s[12:13]
	v_mov_b64_e32 v[4:5], s[6:7]
	s_andn2_b64 exec, exec, s[12:13]
	s_cbranch_execnz .LBB277_4
; %bb.5:
	s_or_b64 exec, exec, s[12:13]
	v_mov_b32_e32 v10, s16
.LBB277_6:
	s_or_b64 exec, exec, s[10:11]
.LBB277_7:
	s_or_b64 exec, exec, s[2:3]
	s_lshl_b32 s2, s8, 2
	s_abs_i32 s3, s2
	v_cvt_f32_u32_e32 v1, s3
	s_sub_i32 s6, 0, s3
	s_abs_i32 s5, s27
	s_ashr_i32 s4, s27, 31
	v_rcp_iflag_f32_e32 v1, v1
	scratch_store_dwordx4 off, v[2:5], off offset:96 ; 16-byte Folded Spill
	v_mul_f32_e32 v1, 0x4f7ffffe, v1
	v_cvt_u32_f32_e32 v1, v1
	s_nop 0
	v_readfirstlane_b32 s7, v1
	s_mul_i32 s6, s6, s7
	s_mul_hi_u32 s6, s7, s6
	s_add_i32 s7, s7, s6
	s_mul_hi_u32 s6, s5, s7
	s_mul_i32 s6, s6, s3
	s_sub_i32 s5, s5, s6
	s_sub_i32 s6, s5, s3
	s_cmp_ge_u32 s5, s3
	s_cselect_b32 s5, s6, s5
	s_sub_i32 s6, s5, s3
	s_cmp_ge_u32 s5, s3
	s_cselect_b32 s3, s6, s5
	s_xor_b32 s3, s3, s4
	s_sub_i32 s3, s3, s4
	s_add_i32 s2, s2, s27
	s_sub_i32 s2, s2, s3
	s_cmp_eq_u32 s3, 0
	s_cselect_b32 s33, s27, s2
	v_cmp_gt_u32_e32 vcc, s33, v10
	s_and_b64 exec, exec, vcc
	s_cbranch_execz .LBB277_136
; %bb.8:
	s_load_dwordx8 s[16:23], s[0:1], 0x10
	s_min_u32 s44, s26, 0x2000
	s_cmp_lg_u32 s24, 0
	s_load_dwordx2 s[14:15], s[0:1], 0x30
	s_cselect_b64 s[2:3], -1, 0
	s_cmp_lg_u32 s26, 0
	s_mul_i32 s0, s9, s8
	s_cselect_b64 s[4:5], -1, 0
	s_lshl_b32 s45, s8, 9
	s_add_i32 s46, s24, -8
	s_add_i32 s47, s27, -1
	s_lshl_b32 s48, s0, 2
	s_waitcnt lgkmcnt(0)
	s_cmp_lg_u64 s[22:23], 0
	s_cselect_b64 s[30:31], -1, 0
	s_abs_i32 s6, s17
	v_cvt_f32_u32_e32 v1, s16
	v_cvt_f32_u32_e32 v6, s6
	s_sub_i32 s7, 0, s16
	s_add_i32 s17, s27, -4
	v_rcp_iflag_f32_e32 v1, v1
	v_rcp_iflag_f32_e32 v6, v6
	v_and_b32_e32 v0, 0x3ff, v0
	v_lshlrev_b32_e32 v9, 3, v0
	v_mul_f32_e32 v1, 0x4f7ffffe, v1
	v_mul_f32_e32 v6, 0x4f7ffffe, v6
	v_cvt_u32_f32_e32 v1, v1
	v_cvt_u32_f32_e32 v6, v6
	v_cmp_eq_u32_e64 s[0:1], 63, v0
	v_lshlrev_b32_e32 v0, 4, v0
	v_mul_lo_u32 v8, s7, v1
	s_sub_i32 s7, 0, s6
	v_readfirstlane_b32 s9, v6
	s_mul_i32 s7, s7, s9
	s_mul_hi_u32 s7, s9, s7
	s_add_i32 s9, s9, s7
	s_sub_i32 s7, 1, s6
	s_cmp_lt_u32 s6, 2
	s_cselect_b32 s7, s7, 1
	s_sub_i32 s10, s7, s6
	s_cmp_ge_u32 s7, s6
	s_cselect_b32 s49, s10, s7
	s_lshr_b32 s7, s9, 31
	s_mul_i32 s7, s7, s6
	s_sub_i32 s7, 2, s7
	s_sub_i32 s10, s7, s6
	s_cmp_ge_u32 s7, s6
	s_cselect_b32 s7, s10, s7
	s_sub_i32 s10, s7, s6
	s_cmp_ge_u32 s7, s6
	s_cselect_b32 s50, s10, s7
	s_mul_hi_u32 s7, s9, 3
	s_mul_i32 s7, s7, s6
	s_sub_i32 s7, 3, s7
	s_sub_i32 s9, s7, s6
	s_cmp_ge_u32 s7, s6
	v_lshl_add_u32 v0, v7, 10, v0
	v_lshl_add_u32 v126, v7, 9, v9
	s_cselect_b32 s7, s9, s7
	scratch_store_dword off, v0, off offset:68 ; 4-byte Folded Spill
	v_lshl_add_u32 v0, s26, 1, v126
	s_sub_i32 s9, s7, s6
	scratch_store_dword off, v0, off offset:72 ; 4-byte Folded Spill
	v_add_u32_e32 v0, s26, v126
	v_mul_hi_u32 v8, v1, v8
	s_cmp_ge_u32 s7, s6
	scratch_store_dword off, v0, off offset:84 ; 4-byte Folded Spill
	v_cndmask_b32_e64 v0, 0, 1, s[2:3]
	v_add_u32_e32 v1, v1, v8
	s_cselect_b32 s51, s9, s7
	s_add_u32 s34, s14, 2
	v_cmp_ne_u32_e64 s[2:3], 1, v0
	v_cndmask_b32_e64 v0, 0, 1, s[4:5]
	s_mov_b64 s[28:29], 0
	scratch_store_dword off, v1, off offset:112 ; 4-byte Folded Spill
	v_mov_b32_e32 v1, 0
	s_mul_i32 s49, s49, s16
	s_mul_i32 s50, s50, s16
	;; [unrolled: 1-line block ×3, first 2 shown]
	s_addc_u32 s35, s15, 0
	s_mul_i32 s52, s44, 6
	s_lshl_b32 s53, s8, 10
	s_lshl_b32 s54, s44, 2
	;; [unrolled: 1-line block ×3, first 2 shown]
	v_mad_u64_u32 v[6:7], s[6:7], s26, 3, v[126:127]
	s_mov_b32 s56, 0x7f800000
	s_movk_i32 s57, 0x7fff
	v_cmp_ne_u32_e64 s[4:5], 1, v0
	scratch_store_dword off, v9, off offset:64 ; 4-byte Folded Spill
	scratch_store_dwordx2 off, v[6:7], off offset:76 ; 8-byte Folded Spill
	s_branch .LBB277_12
.LBB277_9:                              ;   in Loop: Header=BB277_12 Depth=1
	s_or_b64 exec, exec, s[10:11]
	v_mov_b32_e32 v60, s17
.LBB277_10:                             ;   in Loop: Header=BB277_12 Depth=1
	s_or_b64 exec, exec, s[8:9]
	s_waitcnt vmcnt(0)
	scratch_store_dwordx4 off, v[2:5], off offset:96 ; 16-byte Folded Spill
	scratch_store_dwordx2 off, v[60:61], off offset:88 ; 8-byte Folded Spill
.LBB277_11:                             ;   in Loop: Header=BB277_12 Depth=1
	s_or_b64 exec, exec, s[36:37]
	scratch_load_dwordx2 v[10:11], off, off offset:88 ; 8-byte Folded Reload
	s_waitcnt vmcnt(0)
	v_cmp_le_u32_e32 vcc, s33, v10
	s_or_b64 s[28:29], vcc, s[28:29]
	s_andn2_b64 exec, exec, s[28:29]
	s_cbranch_execz .LBB277_136
.LBB277_12:                             ; =>This Loop Header: Depth=1
                                        ;     Child Loop BB277_17 Depth 2
                                        ;       Child Loop BB277_22 Depth 3
                                        ;     Child Loop BB277_134 Depth 2
	s_and_b64 vcc, exec, s[2:3]
	v_mov_b32_e32 v85, v1
	v_mov_b32_e32 v84, v1
	;; [unrolled: 1-line block ×64, first 2 shown]
	scratch_store_dwordx2 off, v[10:11], off offset:88 ; 8-byte Folded Spill
	s_cbranch_vccnz .LBB277_29
; %bb.13:                               ;   in Loop: Header=BB277_12 Depth=1
	scratch_load_dwordx2 v[6:7], off, off offset:88 ; 8-byte Folded Reload
	s_waitcnt vmcnt(0)
	v_mov_b32_e32 v7, v1
	v_mov_b32_e32 v9, v1
	;; [unrolled: 1-line block ×4, first 2 shown]
	s_mov_b32 s36, 0
	s_mov_b32 s37, 0
	v_mov_b32_e32 v39, v38
	v_mov_b32_e32 v40, v38
	;; [unrolled: 1-line block ×62, first 2 shown]
	v_min_u32_e32 v0, s47, v10
	v_add_u32_e32 v6, 1, v10
	v_mul_lo_u32 v0, v0, s25
	v_min_u32_e32 v6, s47, v6
	v_add_u32_e32 v8, 2, v10
	v_cmp_gt_u32_e64 s[6:7], s27, v10
	v_mul_lo_u32 v6, v6, s25
	v_min_u32_e32 v8, s47, v8
	v_add_u32_e32 v10, 3, v10
	v_lshlrev_b64 v[2:3], 1, v[0:1]
	v_mul_lo_u32 v8, v8, s25
	v_min_u32_e32 v10, s47, v10
	scratch_store_dwordx2 off, v[2:3], off offset:32 ; 8-byte Folded Spill
	v_lshlrev_b64 v[2:3], 1, v[6:7]
	v_mul_lo_u32 v10, v10, s25
	scratch_store_dwordx2 off, v[2:3], off offset:40 ; 8-byte Folded Spill
	v_lshlrev_b64 v[2:3], 1, v[8:9]
	scratch_store_dwordx2 off, v[2:3], off offset:48 ; 8-byte Folded Spill
	v_lshlrev_b64 v[2:3], 1, v[10:11]
	scratch_store_dwordx2 off, v[2:3], off offset:56 ; 8-byte Folded Spill
	v_mov_b32_e32 v2, v38
	v_mov_b32_e32 v3, v38
	s_branch .LBB277_17
.LBB277_14:                             ;   in Loop: Header=BB277_17 Depth=2
	s_or_b64 exec, exec, s[12:13]
.LBB277_15:                             ;   in Loop: Header=BB277_17 Depth=2
	s_or_b64 exec, exec, s[10:11]
	s_waitcnt lgkmcnt(2)
	v_mfma_f32_4x4x4_16b_bf16 v[50:53], v[6:7], v[94:95], v[50:53]
	v_mfma_f32_4x4x4_16b_bf16 v[46:49], v[6:7], v[90:91], v[46:49]
	s_waitcnt vmcnt(5)
	v_mfma_f32_4x4x4_16b_bf16 v[42:45], v[6:7], v[102:103], v[42:45]
	s_waitcnt vmcnt(4)
	v_mfma_f32_4x4x4_16b_bf16 v[38:41], v[6:7], v[98:99], v[38:41]
	v_mfma_f32_4x4x4_16b_bf16 v[50:53], v[8:9], v[96:97], v[50:53]
	v_mfma_f32_4x4x4_16b_bf16 v[46:49], v[8:9], v[92:93], v[46:49]
	v_mfma_f32_4x4x4_16b_bf16 v[42:45], v[8:9], v[104:105], v[42:45]
	v_mfma_f32_4x4x4_16b_bf16 v[6:9], v[8:9], v[100:101], v[38:41]
	s_waitcnt lgkmcnt(0)
	v_mfma_f32_4x4x4_16b_bf16 v[38:41], v[118:119], v[90:91], v[2:5]
	s_nop 0
	scratch_load_dwordx4 v[2:5], off, off offset:16 ; 16-byte Folded Reload
	v_mfma_f32_4x4x4_16b_bf16 v[62:65], v[10:11], v[90:91], v[62:65]
	v_mfma_f32_4x4x4_16b_bf16 v[30:33], v[122:123], v[90:91], v[30:33]
	s_nop 0
	v_mfma_f32_4x4x4_16b_bf16 v[62:65], v[12:13], v[92:93], v[62:65]
	v_mfma_f32_4x4x4_16b_bf16 v[30:33], v[124:125], v[92:93], v[30:33]
	;; [unrolled: 1-line block ×12, first 2 shown]
	s_waitcnt vmcnt(1)
	v_mfma_f32_4x4x4_16b_bf16 v[6:9], v[110:111], v[78:79], v[6:9]
	v_mfma_f32_4x4x4_16b_bf16 v[58:61], v[12:13], v[104:105], v[58:61]
	;; [unrolled: 1-line block ×5, first 2 shown]
	s_nop 0
	v_mfma_f32_4x4x4_16b_bf16 v[26:29], v[124:125], v[104:105], v[26:29]
	v_mfma_f32_4x4x4_16b_bf16 v[10:13], v[114:115], v[78:79], v[10:13]
	v_mfma_f32_4x4x4_16b_bf16 v[14:17], v[114:115], v[74:75], v[14:17]
	s_waitcnt vmcnt(0)
	v_mfma_f32_4x4x4_16b_bf16 v[38:41], v[118:119], v[102:103], v[2:5]
	s_nop 0
	scratch_load_dwordx4 v[2:5], off, off   ; 16-byte Folded Reload
	v_mfma_f32_4x4x4_16b_bf16 v[94:97], v[120:121], v[104:105], v[38:41]
	v_mfma_f32_4x4x4_16b_bf16 v[102:105], v[116:117], v[80:81], v[10:13]
	;; [unrolled: 1-line block ×12, first 2 shown]
	s_nop 0
	v_mfma_f32_4x4x4_16b_bf16 v[42:45], v[112:113], v[84:85], v[10:13]
	s_waitcnt vmcnt(0)
	v_mfma_f32_4x4x4_16b_bf16 v[38:41], v[118:119], v[98:99], v[2:5]
	s_nop 1
	v_mfma_f32_4x4x4_16b_bf16 v[98:101], v[120:121], v[100:101], v[38:41]
	v_mfma_f32_4x4x4_16b_bf16 v[38:41], v[112:113], v[80:81], v[6:9]
	;; [unrolled: 1-line block ×3, first 2 shown]
	s_nop 1
	v_mfma_f32_4x4x4_16b_bf16 v[34:37], v[108:109], v[76:77], v[6:9]
	v_mfma_f32_4x4x4_16b_bf16 v[6:9], v[106:107], v[70:71], v[30:33]
	s_nop 1
	v_mfma_f32_4x4x4_16b_bf16 v[30:33], v[108:109], v[72:73], v[6:9]
	v_mfma_f32_4x4x4_16b_bf16 v[6:9], v[106:107], v[82:83], v[26:29]
	;; [unrolled: 3-line block ×7, first 2 shown]
	s_nop 1
	v_mfma_f32_4x4x4_16b_bf16 v[82:85], v[88:89], v[80:81], v[6:9]
.LBB277_16:                             ;   in Loop: Header=BB277_17 Depth=2
	s_or_b64 exec, exec, s[8:9]
	s_addk_i32 s37, 0x400
	s_cmp_ge_u32 s37, s24
	s_cbranch_scc1 .LBB277_29
.LBB277_17:                             ;   Parent Loop BB277_12 Depth=1
                                        ; =>  This Loop Header: Depth=2
                                        ;       Child Loop BB277_22 Depth 3
	s_cmp_eq_u32 s37, 0
	s_cselect_b64 s[8:9], -1, 0
	s_add_i32 s10, s36, s44
	s_cmp_eq_u32 s37, s10
	s_cselect_b64 s[12:13], -1, 0
	s_or_b64 s[12:13], s[8:9], s[12:13]
	s_andn2_b64 vcc, exec, s[12:13]
	s_cbranch_vccz .LBB277_19
; %bb.18:                               ;   in Loop: Header=BB277_17 Depth=2
	s_and_saveexec_b64 s[8:9], s[6:7]
	s_cbranch_execz .LBB277_16
	s_branch .LBB277_26
.LBB277_19:                             ;   in Loop: Header=BB277_17 Depth=2
	s_and_b64 s[8:9], s[8:9], exec
	s_cselect_b32 s36, s36, s10
	s_and_b64 vcc, exec, s[4:5]
	s_barrier
	s_cbranch_vccnz .LBB277_25
; %bb.20:                               ;   in Loop: Header=BB277_17 Depth=2
	scratch_load_dword v0, off, off offset:72 ; 4-byte Folded Reload
	scratch_load_dwordx2 v[8:9], off, off offset:76 ; 8-byte Folded Reload
	scratch_load_dword v10, off, off offset:68 ; 4-byte Folded Reload
	s_waitcnt vmcnt(1)
	v_add_u32_e32 v9, s36, v126
	s_mov_b32 s38, 0
	s_mov_b64 s[10:11], 0
                                        ; implicit-def: $sgpr12_sgpr13
	v_add_u32_e32 v6, s36, v0
	scratch_load_dword v0, off, off offset:84 ; 4-byte Folded Reload
	v_add_u32_e32 v7, s36, v8
	s_waitcnt vmcnt(0)
	v_add_u32_e32 v8, s36, v0
	s_branch .LBB277_22
.LBB277_21:                             ;   in Loop: Header=BB277_22 Depth=3
	s_or_b64 exec, exec, s[8:9]
	s_and_b64 s[8:9], exec, s[12:13]
	s_or_b64 s[10:11], s[8:9], s[10:11]
	s_andn2_b64 exec, exec, s[10:11]
	s_cbranch_execz .LBB277_24
.LBB277_22:                             ;   Parent Loop BB277_12 Depth=1
                                        ;     Parent Loop BB277_17 Depth=2
                                        ; =>    This Inner Loop Header: Depth=3
	v_add_u32_e32 v11, s38, v126
	v_add_u32_e32 v0, s38, v9
	v_cmp_gt_u32_e32 vcc, s26, v0
	v_cmp_gt_u32_e64 s[8:9], s44, v11
	s_and_b64 s[40:41], s[8:9], vcc
	s_or_b64 s[12:13], s[12:13], exec
	s_and_saveexec_b64 s[8:9], s[40:41]
	s_cbranch_execz .LBB277_21
; %bb.23:                               ;   in Loop: Header=BB277_22 Depth=3
	v_lshl_add_u64 v[12:13], v[0:1], 1, s[20:21]
	v_add_u32_e32 v0, s38, v8
	v_lshl_add_u64 v[16:17], v[0:1], 1, s[20:21]
	v_add_u32_e32 v0, s38, v6
	global_load_dwordx4 v[12:15], v[12:13], off
	s_nop 0
	global_load_dwordx4 v[70:73], v[16:17], off
	v_lshl_add_u64 v[16:17], v[0:1], 1, s[20:21]
	v_add_u32_e32 v0, s38, v7
	global_load_dwordx4 v[74:77], v[16:17], off
	v_lshl_add_u64 v[16:17], v[0:1], 1, s[20:21]
	global_load_dwordx4 v[78:81], v[16:17], off
	s_add_i32 s38, s38, s45
	s_cmp_ge_u32 s38, s44
	s_cselect_b64 s[40:41], -1, 0
	s_andn2_b64 s[12:13], s[12:13], exec
	s_and_b64 s[40:41], s[40:41], exec
	v_add_u32_e32 v0, s55, v10
	v_add_u32_e32 v11, s54, v10
	;; [unrolled: 1-line block ×3, first 2 shown]
	s_or_b64 s[12:13], s[12:13], s[40:41]
	s_waitcnt vmcnt(3)
	ds_write_b128 v10, v[12:15]
	v_add_u32_e32 v10, s53, v10
	s_waitcnt vmcnt(2)
	ds_write2_b64 v0, v[70:71], v[72:73] offset1:1
	s_waitcnt vmcnt(1)
	ds_write2_b32 v11, v74, v75 offset1:1
	ds_write2_b32 v11, v76, v77 offset0:2 offset1:3
	s_waitcnt vmcnt(0)
	ds_write2_b64 v16, v[78:79], v[80:81] offset1:1
	s_branch .LBB277_21
.LBB277_24:                             ;   in Loop: Header=BB277_17 Depth=2
	s_or_b64 exec, exec, s[10:11]
.LBB277_25:                             ;   in Loop: Header=BB277_17 Depth=2
	s_waitcnt lgkmcnt(0)
	s_barrier
	s_and_saveexec_b64 s[8:9], s[6:7]
	s_cbranch_execz .LBB277_16
.LBB277_26:                             ;   in Loop: Header=BB277_17 Depth=2
	scratch_store_dwordx4 off, v[90:93], off offset:16 ; 16-byte Folded Spill
	scratch_store_dwordx4 off, v[82:85], off ; 16-byte Folded Spill
	scratch_load_dword v0, off, off offset:64 ; 4-byte Folded Reload
	scratch_load_dwordx2 v[16:17], off, off offset:40 ; 8-byte Folded Reload
	scratch_load_dwordx2 v[12:13], off, off offset:32 ; 8-byte Folded Reload
	v_mov_b64_e32 v[18:19], v[102:103]
	v_mov_b64_e32 v[20:21], v[104:105]
	v_mov_b32_e32 v88, 0
	v_mov_b32_e32 v89, 0
	;; [unrolled: 1-line block ×24, first 2 shown]
	s_waitcnt vmcnt(2)
	v_add_u32_e32 v127, s37, v0
	v_min_u32_e32 v0, s46, v127
	v_lshl_add_u64 v[6:7], v[0:1], 1, s[18:19]
	s_waitcnt vmcnt(0)
	v_lshl_add_u64 v[8:9], v[6:7], 0, v[12:13]
	v_lshl_add_u64 v[10:11], v[6:7], 0, v[16:17]
	global_load_dwordx4 v[94:97], v[8:9], off nt
	global_load_dwordx4 v[90:93], v[10:11], off nt
	scratch_load_dwordx2 v[78:79], off, off offset:48 ; 8-byte Folded Reload
	scratch_load_dwordx2 v[80:81], off, off offset:56 ; 8-byte Folded Reload
	v_add_u32_e32 v14, 0x200, v127
	v_min_u32_e32 v0, s46, v14
	v_cmp_gt_u32_e32 vcc, s24, v127
	s_waitcnt vmcnt(1)
	v_lshl_add_u64 v[8:9], v[6:7], 0, v[78:79]
	s_waitcnt vmcnt(0)
	v_lshl_add_u64 v[6:7], v[6:7], 0, v[80:81]
	global_load_dwordx4 v[102:105], v[8:9], off nt
	global_load_dwordx4 v[98:101], v[6:7], off nt
	v_lshl_add_u64 v[6:7], v[0:1], 1, s[18:19]
	v_lshl_add_u64 v[8:9], v[6:7], 0, v[12:13]
	v_lshl_add_u64 v[10:11], v[6:7], 0, v[16:17]
	global_load_dwordx4 v[74:77], v[8:9], off nt
	global_load_dwordx4 v[70:73], v[10:11], off nt
	v_lshl_add_u64 v[8:9], v[6:7], 0, v[78:79]
	v_lshl_add_u64 v[6:7], v[6:7], 0, v[80:81]
	global_load_dwordx4 v[82:85], v[8:9], off nt
	global_load_dwordx4 v[78:81], v[6:7], off nt
	v_mov_b32_e32 v8, 0
	v_mov_b32_e32 v9, 0
	;; [unrolled: 1-line block ×8, first 2 shown]
	s_and_saveexec_b64 s[10:11], vcc
	s_cbranch_execz .LBB277_15
; %bb.27:                               ;   in Loop: Header=BB277_17 Depth=2
	v_subrev_u32_e32 v0, s36, v127
	v_lshlrev_b32_e32 v17, 1, v0
	v_add_u32_e32 v16, s55, v17
	v_add_u32_e32 v15, s55, v16
	ds_read_b128 v[10:13], v17
	ds_read_b128 v[6:9], v16
	v_add_u32_e32 v0, s55, v15
	ds_read_b128 v[122:125], v15
	ds_read_b128 v[118:121], v0
	v_cmp_gt_u32_e32 vcc, s24, v14
	v_mov_b32_e32 v115, 0
	v_mov_b32_e32 v114, 0
	v_mov_b32_e32 v117, 0
	v_mov_b32_e32 v116, 0
	v_mov_b32_e32 v111, 0
	v_mov_b32_e32 v110, 0
	v_mov_b32_e32 v113, 0
	v_mov_b32_e32 v112, 0
	v_mov_b32_e32 v107, 0
	v_mov_b32_e32 v106, 0
	v_mov_b32_e32 v109, 0
	v_mov_b32_e32 v108, 0
	v_mov_b32_e32 v87, 0
	v_mov_b32_e32 v86, 0
	v_mov_b32_e32 v89, 0
	v_mov_b32_e32 v88, 0
	s_and_saveexec_b64 s[12:13], vcc
	s_cbranch_execz .LBB277_14
; %bb.28:                               ;   in Loop: Header=BB277_17 Depth=2
	ds_read_b128 v[114:117], v17 offset:1024
	ds_read_b128 v[110:113], v16 offset:1024
	;; [unrolled: 1-line block ×4, first 2 shown]
	s_branch .LBB277_14
.LBB277_29:                             ;   in Loop: Header=BB277_12 Depth=1
	scratch_load_dwordx2 v[6:7], off, off offset:88 ; 8-byte Folded Reload
	s_waitcnt vmcnt(0)
	v_cmp_le_u32_e32 vcc, s27, v6
	s_and_saveexec_b64 s[6:7], vcc
	s_xor_b64 s[6:7], exec, s[6:7]
	s_cbranch_execz .LBB277_31
; %bb.30:                               ;   in Loop: Header=BB277_12 Depth=1
	scratch_load_dwordx2 v[6:7], off, off offset:88 ; 8-byte Folded Reload
                                        ; implicit-def: $vgpr85
                                        ; implicit-def: $vgpr93
                                        ; implicit-def: $vgpr5
                                        ; implicit-def: $vgpr69
                                        ; implicit-def: $vgpr25
                                        ; implicit-def: $vgpr29
                                        ; implicit-def: $vgpr33
                                        ; implicit-def: $vgpr37
                                        ; implicit-def: $vgpr57
                                        ; implicit-def: $vgpr65
                                        ; implicit-def: $vgpr61
                                        ; implicit-def: $vgpr105
                                        ; implicit-def: $vgpr53
                                        ; implicit-def: $vgpr49
                                        ; implicit-def: $vgpr45
                                        ; implicit-def: $vgpr41
	s_waitcnt vmcnt(0)
	v_add_u32_e32 v6, s48, v6
	scratch_store_dwordx2 off, v[6:7], off offset:88 ; 8-byte Folded Spill
.LBB277_31:                             ;   in Loop: Header=BB277_12 Depth=1
	s_andn2_saveexec_b64 s[36:37], s[6:7]
	s_cbranch_execz .LBB277_11
; %bb.32:                               ;   in Loop: Header=BB277_12 Depth=1
	v_cvt_i32_f32_e32 v0, v55
	v_cvt_i32_f32_e32 v6, v56
	;; [unrolled: 1-line block ×4, first 2 shown]
	v_cvt_f32_i32_dpp v0, v0 row_shl:1 row_mask:0xf bank_mask:0xf bound_ctrl:1
	v_cvt_f32_i32_dpp v6, v6 row_shl:2 row_mask:0xf bank_mask:0xf bound_ctrl:1
	v_cvt_i32_f32_e32 v9, v64
	v_cvt_f32_i32_dpp v7, v7 row_shl:3 row_mask:0xf bank_mask:0xf bound_ctrl:1
	v_add_f32_e32 v0, v54, v0
	v_add_f32_e32 v0, v0, v6
	v_cvt_i32_f32_e32 v6, v65
	v_cvt_f32_i32_dpp v8, v8 row_shl:1 row_mask:0xf bank_mask:0xf bound_ctrl:1
	v_cvt_f32_i32_dpp v9, v9 row_shl:2 row_mask:0xf bank_mask:0xf bound_ctrl:1
	v_add_f32_e32 v0, v0, v7
	v_cvt_f32_i32_dpp v6, v6 row_shl:3 row_mask:0xf bank_mask:0xf bound_ctrl:1
	v_cvt_i32_f32_e32 v7, v0
	v_add_f32_e32 v8, v62, v8
	v_add_f32_e32 v8, v8, v9
	;; [unrolled: 1-line block ×3, first 2 shown]
	v_cvt_f32_i32_dpp v7, v7 row_shl:4 row_mask:0xf bank_mask:0xf bound_ctrl:1
	v_cvt_i32_f32_e32 v8, v6
	v_cvt_i32_f32_e32 v9, v59
	v_cvt_i32_f32_e32 v10, v61
	v_add_f32_e32 v0, v0, v7
	v_cvt_f32_i32_dpp v8, v8 row_shl:4 row_mask:0xf bank_mask:0xf bound_ctrl:1
	v_cvt_i32_f32_e32 v7, v0
	v_cvt_i32_f32_e32 v11, v104
	v_cvt_i32_f32_e32 v12, v105
	v_add_f32_e32 v6, v6, v8
	;; [unrolled: 5-line block ×3, first 2 shown]
	v_cvt_f32_i32_dpp v7, v8 row_shl:8 row_mask:0xf bank_mask:0xf bound_ctrl:1
	v_cvt_i32_f32_e32 v8, v60
	v_cvt_i32_f32_e32 v0, v0
	v_add_f32_e32 v6, v6, v7
	v_cvt_f32_i32_dpp v7, v9 row_shl:1 row_mask:0xf bank_mask:0xf bound_ctrl:1
	v_cvt_f32_i32_dpp v8, v8 row_shl:2 row_mask:0xf bank_mask:0xf bound_ctrl:1
	v_cvt_f32_i32_dpp v9, v10 row_shl:3 row_mask:0xf bank_mask:0xf bound_ctrl:1
	v_cvt_f32_i32_dpp v0, v0 row_shr:15 row_mask:0xf bank_mask:0xf bound_ctrl:1
	v_add_f32_e32 v7, v58, v7
	v_add_f32_e32 v7, v7, v8
	;; [unrolled: 1-line block ×3, first 2 shown]
	v_cvt_i32_f32_e32 v8, v7
	v_cvt_i32_f32_e32 v6, v6
	;; [unrolled: 1-line block ×3, first 2 shown]
	v_cvt_f32_i32_dpp v8, v8 row_shl:4 row_mask:0xf bank_mask:0xf bound_ctrl:1
	v_cvt_f32_i32_dpp v6, v6 row_shr:15 row_mask:0xf bank_mask:0xf bound_ctrl:1
	v_cvt_f32_i32_dpp v9, v9 row_bcast:15 row_mask:0xf bank_mask:0xf bound_ctrl:1
	v_add_f32_e32 v7, v7, v8
	v_cvt_i32_f32_e32 v10, v6
	v_cvt_i32_f32_e32 v8, v7
	v_add_f32_e32 v58, v0, v9
	v_cvt_i32_f32_e32 v0, v58
	v_cvt_f32_i32_dpp v9, v10 row_bcast:15 row_mask:0xf bank_mask:0xf bound_ctrl:1
	v_cvt_f32_i32_dpp v8, v8 row_shl:8 row_mask:0xf bank_mask:0xf bound_ctrl:1
	v_cvt_i32_f32_e32 v10, v103
	v_mov_b32_dpp v56, v0 row_bcast:31 row_mask:0xf bank_mask:0xf bound_ctrl:1
	v_add_f32_e32 v54, v6, v9
	v_add_f32_e32 v7, v7, v8
	v_cvt_f32_i32_dpp v8, v10 row_shl:1 row_mask:0xf bank_mask:0xf bound_ctrl:1
	v_cvt_f32_i32_dpp v10, v11 row_shl:2 row_mask:0xf bank_mask:0xf bound_ctrl:1
	;; [unrolled: 1-line block ×3, first 2 shown]
	v_cvt_i32_f32_e32 v6, v54
	v_add_f32_e32 v8, v102, v8
	v_add_f32_e32 v8, v8, v10
	;; [unrolled: 1-line block ×3, first 2 shown]
	v_cvt_i32_f32_e32 v10, v8
	v_mov_b32_dpp v55, v6 row_bcast:31 row_mask:0xf bank_mask:0xf bound_ctrl:1
	v_cvt_i32_f32_e32 v7, v7
	v_cvt_i32_f32_e32 v12, v44
	v_cvt_f32_i32_dpp v9, v10 row_shl:4 row_mask:0xf bank_mask:0xf bound_ctrl:1
	v_cvt_i32_f32_e32 v10, v53
	v_cvt_f32_i32_dpp v7, v7 row_shr:15 row_mask:0xf bank_mask:0xf bound_ctrl:1
	v_add_f32_e32 v6, v8, v9
	v_cvt_i32_f32_e32 v8, v51
	v_cvt_i32_f32_e32 v9, v52
	v_cvt_f32_i32_dpp v10, v10 row_shl:3 row_mask:0xf bank_mask:0xf bound_ctrl:1
	v_cvt_i32_f32_e32 v0, v7
	v_cvt_f32_i32_dpp v8, v8 row_shl:1 row_mask:0xf bank_mask:0xf bound_ctrl:1
	v_cvt_f32_i32_dpp v9, v9 row_shl:2 row_mask:0xf bank_mask:0xf bound_ctrl:1
	v_cvt_i32_f32_e32 v11, v6
	v_cvt_f32_i32_dpp v0, v0 row_bcast:15 row_mask:0xf bank_mask:0xf bound_ctrl:1
	v_add_f32_e32 v8, v50, v8
	v_add_f32_e32 v8, v8, v9
	;; [unrolled: 1-line block ×3, first 2 shown]
	v_cvt_i32_f32_e32 v9, v8
	v_add_f32_e32 v50, v7, v0
	v_cvt_i32_f32_e32 v10, v49
	v_cvt_f32_i32_dpp v11, v11 row_shl:8 row_mask:0xf bank_mask:0xf bound_ctrl:1
	v_cvt_f32_i32_dpp v9, v9 row_shl:4 row_mask:0xf bank_mask:0xf bound_ctrl:1
	v_cvt_i32_f32_e32 v0, v50
	v_cvt_f32_i32_dpp v10, v10 row_shl:3 row_mask:0xf bank_mask:0xf bound_ctrl:1
	v_add_f32_e32 v6, v6, v11
	v_add_f32_e32 v7, v8, v9
	v_cvt_i32_f32_e32 v8, v47
	v_cvt_i32_f32_e32 v9, v48
	;; [unrolled: 1-line block ×4, first 2 shown]
	v_cvt_f32_i32_dpp v8, v8 row_shl:1 row_mask:0xf bank_mask:0xf bound_ctrl:1
	v_cvt_f32_i32_dpp v9, v9 row_shl:2 row_mask:0xf bank_mask:0xf bound_ctrl:1
	;; [unrolled: 1-line block ×3, first 2 shown]
	v_cvt_f32_i32_dpp v6, v6 row_shr:15 row_mask:0xf bank_mask:0xf bound_ctrl:1
	v_add_f32_e32 v8, v46, v8
	v_add_f32_e32 v8, v8, v9
	;; [unrolled: 1-line block ×3, first 2 shown]
	v_cvt_i32_f32_e32 v9, v8
	v_add_f32_e32 v7, v7, v11
	v_cvt_i32_f32_e32 v11, v43
	v_cvt_i32_f32_e32 v10, v6
	v_cvt_f32_i32_dpp v9, v9 row_shl:4 row_mask:0xf bank_mask:0xf bound_ctrl:1
	v_cvt_i32_f32_e32 v7, v7
	v_mov_b32_dpp v46, v0 row_bcast:31 row_mask:0xf bank_mask:0xf bound_ctrl:1
	v_cvt_f32_i32_dpp v0, v10 row_bcast:15 row_mask:0xf bank_mask:0xf bound_ctrl:1
	v_add_f32_e32 v8, v8, v9
	v_cvt_i32_f32_e32 v9, v8
	v_cvt_f32_i32_dpp v10, v7 row_shr:15 row_mask:0xf bank_mask:0xf bound_ctrl:1
	v_add_f32_e32 v7, v6, v0
	v_cvt_i32_f32_e32 v0, v7
	v_cvt_f32_i32_dpp v9, v9 row_shl:8 row_mask:0xf bank_mask:0xf bound_ctrl:1
	v_cvt_i32_f32_e32 v6, v10
	v_mov_b32_dpp v43, v0 row_bcast:31 row_mask:0xf bank_mask:0xf bound_ctrl:1
	v_add_f32_e32 v8, v8, v9
	v_cvt_f32_i32_dpp v9, v11 row_shl:1 row_mask:0xf bank_mask:0xf bound_ctrl:1
	v_cvt_f32_i32_dpp v11, v12 row_shl:2 row_mask:0xf bank_mask:0xf bound_ctrl:1
	v_cvt_f32_i32_dpp v12, v13 row_shl:3 row_mask:0xf bank_mask:0xf bound_ctrl:1
	v_cvt_i32_f32_e32 v8, v8
	v_add_f32_e32 v9, v42, v9
	v_add_f32_e32 v9, v9, v11
	;; [unrolled: 1-line block ×3, first 2 shown]
	v_cvt_i32_f32_e32 v11, v9
	v_cvt_f32_i32_dpp v0, v8 row_shr:15 row_mask:0xf bank_mask:0xf bound_ctrl:1
	v_cvt_i32_f32_e32 v12, v41
	v_cvt_f32_i32_dpp v6, v6 row_bcast:15 row_mask:0xf bank_mask:0xf bound_ctrl:1
	v_cvt_f32_i32_dpp v8, v11 row_shl:4 row_mask:0xf bank_mask:0xf bound_ctrl:1
	v_cvt_i32_f32_e32 v11, v40
	v_cvt_f32_i32_dpp v12, v12 row_shl:3 row_mask:0xf bank_mask:0xf bound_ctrl:1
	v_add_f32_e32 v42, v10, v6
	v_add_f32_e32 v8, v9, v8
	v_cvt_i32_f32_e32 v9, v39
	v_cvt_i32_f32_e32 v13, v8
	v_cvt_f32_i32_dpp v11, v11 row_shl:2 row_mask:0xf bank_mask:0xf bound_ctrl:1
	v_cvt_i32_f32_e32 v10, v0
	v_cvt_f32_i32_dpp v9, v9 row_shl:1 row_mask:0xf bank_mask:0xf bound_ctrl:1
	v_cvt_f32_i32_dpp v13, v13 row_shl:8 row_mask:0xf bank_mask:0xf bound_ctrl:1
	v_cvt_i32_f32_e32 v6, v42
	v_cvt_f32_i32_dpp v10, v10 row_bcast:15 row_mask:0xf bank_mask:0xf bound_ctrl:1
	v_add_f32_e32 v9, v38, v9
	v_add_f32_e32 v9, v9, v11
	;; [unrolled: 1-line block ×3, first 2 shown]
	v_cvt_i32_f32_e32 v11, v9
	v_add_f32_e32 v8, v8, v13
	v_cvt_i32_f32_e32 v8, v8
	v_add_f32_e32 v38, v0, v10
	v_cvt_f32_i32_dpp v11, v11 row_shl:4 row_mask:0xf bank_mask:0xf bound_ctrl:1
	v_mov_b32_dpp v39, v6 row_bcast:31 row_mask:0xf bank_mask:0xf bound_ctrl:1
	v_cvt_f32_i32_dpp v0, v8 row_shr:15 row_mask:0xf bank_mask:0xf bound_ctrl:1
	v_cvt_i32_f32_e32 v8, v35
	v_add_f32_e32 v6, v9, v11
	v_cvt_i32_f32_e32 v9, v36
	v_cvt_i32_f32_e32 v10, v37
	v_cvt_f32_i32_dpp v8, v8 row_shl:1 row_mask:0xf bank_mask:0xf bound_ctrl:1
	v_cvt_i32_f32_e32 v11, v6
	v_cvt_f32_i32_dpp v9, v9 row_shl:2 row_mask:0xf bank_mask:0xf bound_ctrl:1
	v_cvt_f32_i32_dpp v10, v10 row_shl:3 row_mask:0xf bank_mask:0xf bound_ctrl:1
	v_add_f32_e32 v8, v34, v8
	v_cvt_f32_i32_dpp v11, v11 row_shl:8 row_mask:0xf bank_mask:0xf bound_ctrl:1
	v_add_f32_e32 v8, v8, v9
	v_add_f32_e32 v8, v8, v10
	v_cvt_i32_f32_e32 v9, v8
	v_cvt_i32_f32_e32 v10, v0
	v_add_f32_e32 v6, v6, v11
	v_cvt_i32_f32_e32 v6, v6
	v_cvt_f32_i32_dpp v9, v9 row_shl:4 row_mask:0xf bank_mask:0xf bound_ctrl:1
	v_cvt_f32_i32_dpp v10, v10 row_bcast:15 row_mask:0xf bank_mask:0xf bound_ctrl:1
	v_cvt_i32_f32_e32 v11, v38
	v_cvt_f32_i32_dpp v6, v6 row_shr:15 row_mask:0xf bank_mask:0xf bound_ctrl:1
	v_add_f32_e32 v8, v8, v9
	v_cvt_i32_f32_e32 v9, v8
	v_add_f32_e32 v34, v0, v10
	v_cvt_i32_f32_e32 v0, v34
	v_cvt_i32_f32_e32 v10, v6
	v_cvt_f32_i32_dpp v9, v9 row_shl:8 row_mask:0xf bank_mask:0xf bound_ctrl:1
	v_mov_b32_dpp v36, v11 row_bcast:31 row_mask:0xf bank_mask:0xf bound_ctrl:1
	v_mov_b32_dpp v35, v0 row_bcast:31 row_mask:0xf bank_mask:0xf bound_ctrl:1
	v_cvt_f32_i32_dpp v0, v10 row_bcast:15 row_mask:0xf bank_mask:0xf bound_ctrl:1
	v_add_f32_e32 v8, v8, v9
	v_cvt_i32_f32_e32 v9, v31
	v_cvt_i32_f32_e32 v10, v32
	;; [unrolled: 1-line block ×4, first 2 shown]
	v_cvt_f32_i32_dpp v9, v9 row_shl:1 row_mask:0xf bank_mask:0xf bound_ctrl:1
	v_cvt_f32_i32_dpp v10, v10 row_shl:2 row_mask:0xf bank_mask:0xf bound_ctrl:1
	v_cvt_f32_i32_dpp v11, v11 row_shl:3 row_mask:0xf bank_mask:0xf bound_ctrl:1
	v_cvt_i32_f32_e32 v12, v28
	v_add_f32_e32 v9, v30, v9
	v_add_f32_e32 v9, v9, v10
	;; [unrolled: 1-line block ×3, first 2 shown]
	v_cvt_i32_f32_e32 v10, v9
	v_cvt_i32_f32_e32 v11, v27
	;; [unrolled: 1-line block ×3, first 2 shown]
	v_cvt_f32_i32_dpp v8, v8 row_shr:15 row_mask:0xf bank_mask:0xf bound_ctrl:1
	v_cvt_f32_i32_dpp v10, v10 row_shl:4 row_mask:0xf bank_mask:0xf bound_ctrl:1
	v_add_f32_e32 v30, v6, v0
	v_cvt_i32_f32_e32 v0, v30
	v_cvt_i32_f32_e32 v6, v8
	v_add_f32_e32 v9, v9, v10
	v_cvt_f32_i32_dpp v10, v11 row_shl:1 row_mask:0xf bank_mask:0xf bound_ctrl:1
	v_cvt_f32_i32_dpp v11, v12 row_shl:2 row_mask:0xf bank_mask:0xf bound_ctrl:1
	;; [unrolled: 1-line block ×3, first 2 shown]
	v_cvt_i32_f32_e32 v13, v9
	v_add_f32_e32 v10, v26, v10
	v_add_f32_e32 v10, v10, v11
	;; [unrolled: 1-line block ×3, first 2 shown]
	v_cvt_i32_f32_e32 v11, v10
	v_cvt_f32_i32_dpp v6, v6 row_bcast:15 row_mask:0xf bank_mask:0xf bound_ctrl:1
	v_cvt_f32_i32_dpp v12, v13 row_shl:8 row_mask:0xf bank_mask:0xf bound_ctrl:1
	v_mov_b32_dpp v27, v0 row_bcast:31 row_mask:0xf bank_mask:0xf bound_ctrl:1
	v_cvt_f32_i32_dpp v0, v11 row_shl:4 row_mask:0xf bank_mask:0xf bound_ctrl:1
	v_add_f32_e32 v26, v8, v6
	v_cvt_i32_f32_e32 v8, v23
	v_add_f32_e32 v6, v9, v12
	v_cvt_i32_f32_e32 v9, v24
	;; [unrolled: 2-line block ×3, first 2 shown]
	v_cvt_f32_i32_dpp v8, v8 row_shl:1 row_mask:0xf bank_mask:0xf bound_ctrl:1
	v_cvt_f32_i32_dpp v9, v9 row_shl:2 row_mask:0xf bank_mask:0xf bound_ctrl:1
	v_cvt_i32_f32_e32 v6, v6
	v_cvt_f32_i32_dpp v10, v10 row_shl:3 row_mask:0xf bank_mask:0xf bound_ctrl:1
	v_add_f32_e32 v8, v22, v8
	v_add_f32_e32 v8, v8, v9
	v_cvt_i32_f32_e32 v11, v0
	v_add_f32_e32 v8, v8, v10
	v_cvt_i32_f32_e32 v9, v8
	v_cvt_f32_i32_dpp v6, v6 row_shr:15 row_mask:0xf bank_mask:0xf bound_ctrl:1
	v_cvt_f32_i32_dpp v11, v11 row_shl:8 row_mask:0xf bank_mask:0xf bound_ctrl:1
	v_cvt_i32_f32_e32 v12, v69
	v_cvt_f32_i32_dpp v9, v9 row_shl:4 row_mask:0xf bank_mask:0xf bound_ctrl:1
	v_cvt_i32_f32_e32 v10, v26
	v_add_f32_e32 v0, v0, v11
	v_cvt_i32_f32_e32 v11, v6
	v_add_f32_e32 v8, v8, v9
	v_cvt_i32_f32_e32 v9, v8
	v_cvt_i32_f32_e32 v0, v0
	v_cvt_f32_i32_dpp v11, v11 row_bcast:15 row_mask:0xf bank_mask:0xf bound_ctrl:1
	v_cvt_f32_i32_dpp v12, v12 row_shl:3 row_mask:0xf bank_mask:0xf bound_ctrl:1
	v_cvt_f32_i32_dpp v9, v9 row_shl:8 row_mask:0xf bank_mask:0xf bound_ctrl:1
	v_cvt_f32_i32_dpp v0, v0 row_shr:15 row_mask:0xf bank_mask:0xf bound_ctrl:1
	v_add_f32_e32 v22, v6, v11
	v_cvt_i32_f32_e32 v11, v68
	v_add_f32_e32 v8, v8, v9
	v_cvt_i32_f32_e32 v9, v67
	v_cvt_i32_f32_e32 v8, v8
	v_cvt_f32_i32_dpp v11, v11 row_shl:2 row_mask:0xf bank_mask:0xf bound_ctrl:1
	v_mov_b32_dpp v24, v10 row_bcast:31 row_mask:0xf bank_mask:0xf bound_ctrl:1
	v_cvt_f32_i32_dpp v9, v9 row_shl:1 row_mask:0xf bank_mask:0xf bound_ctrl:1
	v_cvt_f32_i32_dpp v8, v8 row_shr:15 row_mask:0xf bank_mask:0xf bound_ctrl:1
	v_cvt_i32_f32_e32 v10, v0
	v_cvt_i32_f32_e32 v6, v22
	v_add_f32_e32 v9, v66, v9
	v_add_f32_e32 v9, v9, v11
	v_cvt_i32_f32_e32 v13, v8
	v_add_f32_e32 v9, v9, v12
	v_cvt_f32_i32_dpp v10, v10 row_bcast:15 row_mask:0xf bank_mask:0xf bound_ctrl:1
	v_cvt_i32_f32_e32 v11, v9
	v_mov_b32_dpp v21, v6 row_bcast:31 row_mask:0xf bank_mask:0xf bound_ctrl:1
	v_cvt_f32_i32_dpp v6, v13 row_bcast:15 row_mask:0xf bank_mask:0xf bound_ctrl:1
	v_add_f32_e32 v18, v0, v10
	v_cvt_f32_i32_dpp v0, v11 row_shl:4 row_mask:0xf bank_mask:0xf bound_ctrl:1
	v_cvt_i32_f32_e32 v11, v5
	v_add_f32_e32 v12, v8, v6
	v_cvt_i32_f32_e32 v8, v3
	v_add_f32_e32 v0, v9, v0
	v_cvt_i32_f32_e32 v9, v4
	v_cvt_f32_i32_dpp v11, v11 row_shl:3 row_mask:0xf bank_mask:0xf bound_ctrl:1
	v_cvt_f32_i32_dpp v8, v8 row_shl:1 row_mask:0xf bank_mask:0xf bound_ctrl:1
	v_cvt_i32_f32_e32 v6, v12
	v_cvt_f32_i32_dpp v9, v9 row_shl:2 row_mask:0xf bank_mask:0xf bound_ctrl:1
	v_cvt_i32_f32_e32 v10, v18
	v_add_f32_e32 v8, v2, v8
	v_mov_b32_dpp v15, v6 row_bcast:31 row_mask:0xf bank_mask:0xf bound_ctrl:1
	v_add_f32_e32 v8, v8, v9
	v_add_f32_e32 v8, v8, v11
	v_cvt_i32_f32_e32 v9, v8
	v_mov_b32_dpp v20, v10 row_bcast:31 row_mask:0xf bank_mask:0xf bound_ctrl:1
	v_cvt_i32_f32_e32 v10, v92
	v_cvt_i32_f32_e32 v13, v0
	v_cvt_f32_i32_dpp v6, v9 row_shl:4 row_mask:0xf bank_mask:0xf bound_ctrl:1
	v_cvt_i32_f32_e32 v9, v91
	v_cvt_f32_i32_dpp v13, v13 row_shl:8 row_mask:0xf bank_mask:0xf bound_ctrl:1
	v_add_f32_e32 v6, v8, v6
	v_cvt_f32_i32_dpp v8, v9 row_shl:1 row_mask:0xf bank_mask:0xf bound_ctrl:1
	v_cvt_f32_i32_dpp v9, v10 row_shl:2 row_mask:0xf bank_mask:0xf bound_ctrl:1
	v_cvt_i32_f32_e32 v10, v93
	v_add_f32_e32 v0, v0, v13
	v_add_f32_e32 v8, v90, v8
	;; [unrolled: 1-line block ×3, first 2 shown]
	v_cvt_f32_i32_dpp v9, v10 row_shl:3 row_mask:0xf bank_mask:0xf bound_ctrl:1
	v_cvt_i32_f32_e32 v10, v83
	v_cvt_i32_f32_e32 v13, v84
	;; [unrolled: 1-line block ×3, first 2 shown]
	v_add_f32_e32 v8, v8, v9
	v_cvt_f32_i32_dpp v9, v10 row_shl:1 row_mask:0xf bank_mask:0xf bound_ctrl:1
	v_cvt_f32_i32_dpp v10, v13 row_shl:2 row_mask:0xf bank_mask:0xf bound_ctrl:1
	;; [unrolled: 1-line block ×3, first 2 shown]
	v_cvt_i32_f32_e32 v14, v8
	v_add_f32_e32 v9, v82, v9
	v_add_f32_e32 v9, v9, v10
	;; [unrolled: 1-line block ×3, first 2 shown]
	v_cvt_i32_f32_e32 v10, v9
	v_cvt_f32_i32_dpp v13, v14 row_shl:4 row_mask:0xf bank_mask:0xf bound_ctrl:1
	v_cvt_f32_i32_dpp v11, v11 row_shl:8 row_mask:0xf bank_mask:0xf bound_ctrl:1
	v_cvt_i32_f32_e32 v0, v0
	v_cvt_f32_i32_dpp v10, v10 row_shl:4 row_mask:0xf bank_mask:0xf bound_ctrl:1
	v_add_f32_e32 v8, v8, v13
	v_add_f32_e32 v6, v6, v11
	v_cvt_i32_f32_e32 v11, v8
	v_add_f32_e32 v9, v9, v10
	v_cvt_i32_f32_e32 v10, v9
	v_cvt_f32_i32_dpp v0, v0 row_shr:15 row_mask:0xf bank_mask:0xf bound_ctrl:1
	v_cvt_f32_i32_dpp v11, v11 row_shl:8 row_mask:0xf bank_mask:0xf bound_ctrl:1
	v_cvt_i32_f32_e32 v6, v6
	v_cvt_f32_i32_dpp v10, v10 row_shl:8 row_mask:0xf bank_mask:0xf bound_ctrl:1
	v_cvt_i32_f32_e32 v13, v0
	v_add_f32_e32 v8, v8, v11
	v_cvt_f32_i32_dpp v6, v6 row_shr:15 row_mask:0xf bank_mask:0xf bound_ctrl:1
	v_add_f32_e32 v9, v9, v10
	v_cvt_i32_f32_e32 v8, v8
	v_cvt_i32_f32_e32 v9, v9
	v_cvt_f32_i32_dpp v10, v13 row_bcast:15 row_mask:0xf bank_mask:0xf bound_ctrl:1
	v_cvt_i32_f32_e32 v11, v6
	v_cvt_f32_i32_dpp v8, v8 row_shr:15 row_mask:0xf bank_mask:0xf bound_ctrl:1
	v_cvt_f32_i32_dpp v9, v9 row_shr:15 row_mask:0xf bank_mask:0xf bound_ctrl:1
	v_add_f32_e32 v16, v0, v10
	v_cvt_f32_i32_dpp v10, v11 row_bcast:15 row_mask:0xf bank_mask:0xf bound_ctrl:1
	v_cvt_i32_f32_e32 v0, v8
	v_cvt_i32_f32_e32 v11, v9
	;; [unrolled: 1-line block ×3, first 2 shown]
	v_add_f32_e32 v13, v6, v10
	v_cvt_f32_i32_dpp v0, v0 row_bcast:15 row_mask:0xf bank_mask:0xf bound_ctrl:1
	v_cvt_f32_i32_dpp v6, v11 row_bcast:15 row_mask:0xf bank_mask:0xf bound_ctrl:1
	v_cvt_i32_f32_e32 v11, v13
	v_mov_b32_dpp v17, v14 row_bcast:31 row_mask:0xf bank_mask:0xf bound_ctrl:1
	v_add_f32_e32 v10, v8, v0
	v_add_f32_e32 v8, v9, v6
	v_cvt_i32_f32_e32 v0, v10
	v_cvt_i32_f32_e32 v6, v8
	v_mov_b32_dpp v14, v11 row_bcast:31 row_mask:0xf bank_mask:0xf bound_ctrl:1
	v_mov_b32_dpp v11, v0 row_bcast:31 row_mask:0xf bank_mask:0xf bound_ctrl:1
	;; [unrolled: 1-line block ×3, first 2 shown]
	s_mov_b64 s[38:39], exec
	scratch_load_dwordx2 v[60:61], off, off offset:88 ; 8-byte Folded Reload
	scratch_load_dwordx4 v[2:5], off, off offset:96 ; 16-byte Folded Reload
	s_and_b64 s[6:7], s[38:39], s[0:1]
	s_mov_b64 exec, s[6:7]
	s_cbranch_execz .LBB277_131
; %bb.33:                               ;   in Loop: Header=BB277_12 Depth=1
	s_andn2_b64 vcc, exec, s[30:31]
	v_mov_b32_e32 v49, 0
	s_waitcnt vmcnt(1)
	v_add_u32_e32 v0, 2, v60
	v_add_u32_e32 v6, 3, v60
	v_mov_b32_e32 v48, 0
	v_mov_b32_e32 v47, 0
	;; [unrolled: 1-line block ×15, first 2 shown]
	s_cbranch_vccnz .LBB277_35
; %bb.34:                               ;   in Loop: Header=BB277_12 Depth=1
	scratch_load_dword v25, off, off offset:112 ; 4-byte Folded Reload
	v_mov_b32_e32 v49, v1
	v_mov_b32_e32 v29, v1
	v_mov_b32_e32 v53, v1
	v_mov_b32_e32 v61, v1
	v_mov_b32_e32 v63, v1
	s_waitcnt vmcnt(0)
	v_mul_hi_u32 v19, v60, v25
	v_mul_lo_u32 v19, v19, s16
	v_sub_u32_e32 v19, v60, v19
	v_subrev_u32_e32 v23, s16, v19
	v_cmp_le_u32_e32 vcc, s16, v19
	s_nop 1
	v_cndmask_b32_e32 v19, v19, v23, vcc
	v_subrev_u32_e32 v23, s16, v19
	v_cmp_le_u32_e32 vcc, s16, v19
	s_nop 1
	v_cndmask_b32_e32 v28, v19, v23, vcc
	v_add_u32_e32 v19, 1, v60
	v_mul_hi_u32 v23, v19, v25
	v_mul_lo_u32 v23, v23, s16
	v_sub_u32_e32 v19, v19, v23
	v_subrev_u32_e32 v23, s16, v19
	v_cmp_le_u32_e32 vcc, s16, v19
	v_add_u32_e32 v48, s49, v28
	v_lshl_add_u64 v[66:67], v[48:49], 1, s[22:23]
	v_cndmask_b32_e32 v19, v19, v23, vcc
	v_subrev_u32_e32 v23, s16, v19
	v_cmp_le_u32_e32 vcc, s16, v19
	v_lshl_add_u64 v[32:33], v[28:29], 1, s[22:23]
	s_nop 0
	v_cndmask_b32_e32 v52, v19, v23, vcc
	v_mul_hi_u32 v19, v0, v25
	v_mul_lo_u32 v19, v19, s16
	v_sub_u32_e32 v19, v0, v19
	v_subrev_u32_e32 v23, s16, v19
	v_cmp_le_u32_e32 vcc, s16, v19
	v_add_u32_e32 v48, s49, v52
	v_lshl_add_u64 v[68:69], v[48:49], 1, s[22:23]
	v_cndmask_b32_e32 v19, v19, v23, vcc
	v_subrev_u32_e32 v23, s16, v19
	v_cmp_le_u32_e32 vcc, s16, v19
	v_lshl_add_u64 v[40:41], v[52:53], 1, s[22:23]
	s_nop 0
	v_cndmask_b32_e32 v60, v19, v23, vcc
	;; [unrolled: 13-line block ×3, first 2 shown]
	v_add_u32_e32 v48, s49, v62
	v_lshl_add_u64 v[64:65], v[62:63], 1, s[22:23]
	v_lshl_add_u64 v[72:73], v[48:49], 1, s[22:23]
	global_load_ushort v49, v[32:33], off
	global_load_ushort v48, v[40:41], off
	;; [unrolled: 1-line block ×3, first 2 shown]
	s_nop 0
	global_load_ushort v45, v[64:65], off
	global_load_ushort v44, v[66:67], off
	;; [unrolled: 1-line block ×4, first 2 shown]
                                        ; kill: killed $vgpr68_vgpr69
                                        ; kill: killed $vgpr70_vgpr71
	global_load_ushort v37, v[72:73], off
	v_add_u32_e32 v32, s50, v28
	v_add_u32_e32 v28, s51, v28
	v_lshl_add_u64 v[70:71], v[28:29], 1, s[22:23]
	v_add_u32_e32 v28, s51, v52
	v_mov_b32_e32 v33, v1
	v_add_u32_e32 v64, s50, v52
	v_lshl_add_u64 v[52:53], v[28:29], 1, s[22:23]
	v_add_u32_e32 v28, s51, v60
	v_lshl_add_u64 v[32:33], v[32:33], 1, s[22:23]
	v_mov_b32_e32 v65, v1
	v_add_u32_e32 v66, s50, v60
	v_mov_b32_e32 v67, v1
	v_add_u32_e32 v68, s50, v62
	v_mov_b32_e32 v69, v1
	v_lshl_add_u64 v[60:61], v[28:29], 1, s[22:23]
	v_add_u32_e32 v28, s51, v62
	v_lshl_add_u64 v[64:65], v[64:65], 1, s[22:23]
	v_lshl_add_u64 v[66:67], v[66:67], 1, s[22:23]
	;; [unrolled: 1-line block ×4, first 2 shown]
	global_load_ushort v33, v[32:33], off
	s_nop 0
	global_load_ushort v32, v[64:65], off
	global_load_ushort v31, v[66:67], off
	;; [unrolled: 1-line block ×6, first 2 shown]
	s_nop 0
	scratch_load_dwordx2 v[60:61], off, off offset:88 ; 8-byte Folded Reload
	global_load_ushort v19, v[62:63], off
.LBB277_35:                             ;   in Loop: Header=BB277_12 Depth=1
	s_waitcnt vmcnt(0)
	v_cmp_ne_u32_e32 vcc, 0, v2
	s_and_saveexec_b64 s[8:9], vcc
	s_cbranch_execnz .LBB277_51
; %bb.36:                               ;   in Loop: Header=BB277_12 Depth=1
	s_or_b64 exec, exec, s[8:9]
	v_cmp_ne_u32_e64 s[6:7], 0, v3
	s_and_saveexec_b64 s[10:11], s[6:7]
	s_cbranch_execnz .LBB277_56
.LBB277_37:                             ;   in Loop: Header=BB277_12 Depth=1
	s_or_b64 exec, exec, s[10:11]
	v_cmp_ne_u32_e64 s[8:9], 0, v4
	s_and_saveexec_b64 s[12:13], s[8:9]
	s_cbranch_execnz .LBB277_61
.LBB277_38:                             ;   in Loop: Header=BB277_12 Depth=1
	s_or_b64 exec, exec, s[12:13]
	v_cmp_ne_u32_e64 s[10:11], 0, v5
	s_and_saveexec_b64 s[40:41], s[10:11]
	s_cbranch_execnz .LBB277_66
.LBB277_39:                             ;   in Loop: Header=BB277_12 Depth=1
	s_or_b64 exec, exec, s[40:41]
	v_add_u32_e32 v0, s27, v60
	s_and_saveexec_b64 s[40:41], vcc
	s_cbranch_execnz .LBB277_71
.LBB277_40:                             ;   in Loop: Header=BB277_12 Depth=1
	s_or_b64 exec, exec, s[40:41]
	s_and_saveexec_b64 s[40:41], s[6:7]
	s_cbranch_execnz .LBB277_76
.LBB277_41:                             ;   in Loop: Header=BB277_12 Depth=1
	s_or_b64 exec, exec, s[40:41]
	s_and_saveexec_b64 s[40:41], s[8:9]
	s_cbranch_execnz .LBB277_81
.LBB277_42:                             ;   in Loop: Header=BB277_12 Depth=1
	s_or_b64 exec, exec, s[40:41]
	s_and_saveexec_b64 s[40:41], s[10:11]
	s_cbranch_execnz .LBB277_86
.LBB277_43:                             ;   in Loop: Header=BB277_12 Depth=1
	s_or_b64 exec, exec, s[40:41]
	v_add_u32_e32 v0, s27, v0
	s_and_saveexec_b64 s[40:41], vcc
	s_cbranch_execnz .LBB277_91
.LBB277_44:                             ;   in Loop: Header=BB277_12 Depth=1
	s_or_b64 exec, exec, s[40:41]
	s_and_saveexec_b64 s[40:41], s[6:7]
	s_cbranch_execnz .LBB277_96
.LBB277_45:                             ;   in Loop: Header=BB277_12 Depth=1
	s_or_b64 exec, exec, s[40:41]
	s_and_saveexec_b64 s[40:41], s[8:9]
	s_cbranch_execnz .LBB277_101
.LBB277_46:                             ;   in Loop: Header=BB277_12 Depth=1
	s_or_b64 exec, exec, s[40:41]
	s_and_saveexec_b64 s[40:41], s[10:11]
	s_cbranch_execnz .LBB277_106
.LBB277_47:                             ;   in Loop: Header=BB277_12 Depth=1
	s_or_b64 exec, exec, s[40:41]
	v_add_u32_e32 v0, s27, v0
	s_and_saveexec_b64 s[12:13], vcc
	s_cbranch_execnz .LBB277_111
.LBB277_48:                             ;   in Loop: Header=BB277_12 Depth=1
	s_or_b64 exec, exec, s[12:13]
	s_and_saveexec_b64 s[12:13], s[6:7]
	s_cbranch_execnz .LBB277_116
.LBB277_49:                             ;   in Loop: Header=BB277_12 Depth=1
	s_or_b64 exec, exec, s[12:13]
	s_and_saveexec_b64 s[6:7], s[8:9]
	s_cbranch_execnz .LBB277_121
.LBB277_50:                             ;   in Loop: Header=BB277_12 Depth=1
	s_or_b64 exec, exec, s[6:7]
	s_and_b64 exec, exec, s[10:11]
	s_cbranch_execnz .LBB277_126
	s_branch .LBB277_131
.LBB277_51:                             ;   in Loop: Header=BB277_12 Depth=1
	v_cvt_f32_i32_e32 v51, v56
	v_lshlrev_b32_e32 v49, 16, v49
	v_add_f32_e32 v51, v58, v51
	v_add_f32_e32 v51, v51, v49
	v_and_b32_e32 v49, 0x7f800000, v51
	v_cmp_ne_u32_e64 s[6:7], s56, v49
                                        ; implicit-def: $vgpr49
	s_and_saveexec_b64 s[10:11], s[6:7]
	s_xor_b64 s[6:7], exec, s[10:11]
; %bb.52:                               ;   in Loop: Header=BB277_12 Depth=1
	v_bfe_u32 v49, v51, 16, 1
	v_add3_u32 v49, v51, v49, s57
                                        ; implicit-def: $vgpr51
; %bb.53:                               ;   in Loop: Header=BB277_12 Depth=1
	s_andn2_saveexec_b64 s[10:11], s[6:7]
; %bb.54:                               ;   in Loop: Header=BB277_12 Depth=1
	v_or_b32_e32 v49, 0x10000, v51
	v_cmp_eq_u32_sdwa s[6:7], v51, v1 src0_sel:WORD_0 src1_sel:DWORD
	s_nop 1
	v_cndmask_b32_e64 v49, v49, v51, s[6:7]
; %bb.55:                               ;   in Loop: Header=BB277_12 Depth=1
	s_or_b64 exec, exec, s[10:11]
	v_mov_b32_e32 v61, v1
	v_lshl_add_u64 v[52:53], v[60:61], 1, s[14:15]
	global_store_short_d16_hi v[52:53], v49, off
	s_or_b64 exec, exec, s[8:9]
	v_cmp_ne_u32_e64 s[6:7], 0, v3
	s_and_saveexec_b64 s[10:11], s[6:7]
	s_cbranch_execz .LBB277_37
.LBB277_56:                             ;   in Loop: Header=BB277_12 Depth=1
	v_cvt_f32_i32_e32 v49, v55
	v_lshlrev_b32_e32 v48, 16, v48
	v_add_f32_e32 v49, v54, v49
	v_add_f32_e32 v49, v49, v48
	v_and_b32_e32 v48, 0x7f800000, v49
	v_cmp_ne_u32_e64 s[8:9], s56, v48
                                        ; implicit-def: $vgpr48
	s_and_saveexec_b64 s[12:13], s[8:9]
	s_xor_b64 s[8:9], exec, s[12:13]
; %bb.57:                               ;   in Loop: Header=BB277_12 Depth=1
	v_bfe_u32 v48, v49, 16, 1
	v_add3_u32 v48, v49, v48, s57
                                        ; implicit-def: $vgpr49
; %bb.58:                               ;   in Loop: Header=BB277_12 Depth=1
	s_andn2_saveexec_b64 s[12:13], s[8:9]
; %bb.59:                               ;   in Loop: Header=BB277_12 Depth=1
	v_or_b32_e32 v48, 0x10000, v49
	v_cmp_eq_u32_sdwa s[8:9], v49, v1 src0_sel:WORD_0 src1_sel:DWORD
	s_nop 1
	v_cndmask_b32_e64 v48, v48, v49, s[8:9]
; %bb.60:                               ;   in Loop: Header=BB277_12 Depth=1
	s_or_b64 exec, exec, s[12:13]
	v_mov_b32_e32 v61, v1
	v_lshl_add_u64 v[52:53], v[60:61], 1, s[34:35]
	global_store_short_d16_hi v[52:53], v48, off
	s_or_b64 exec, exec, s[10:11]
	v_cmp_ne_u32_e64 s[8:9], 0, v4
	s_and_saveexec_b64 s[12:13], s[8:9]
	s_cbranch_execz .LBB277_38
.LBB277_61:                             ;   in Loop: Header=BB277_12 Depth=1
	v_cvt_f32_i32_e32 v46, v46
	v_lshlrev_b32_e32 v47, 16, v47
	v_add_f32_e32 v46, v50, v46
	v_add_f32_e32 v47, v46, v47
	v_and_b32_e32 v46, 0x7f800000, v47
	v_cmp_ne_u32_e64 s[10:11], s56, v46
                                        ; implicit-def: $vgpr46
	s_and_saveexec_b64 s[40:41], s[10:11]
	s_xor_b64 s[10:11], exec, s[40:41]
; %bb.62:                               ;   in Loop: Header=BB277_12 Depth=1
	v_bfe_u32 v46, v47, 16, 1
	v_add3_u32 v46, v47, v46, s57
                                        ; implicit-def: $vgpr47
; %bb.63:                               ;   in Loop: Header=BB277_12 Depth=1
	s_andn2_saveexec_b64 s[40:41], s[10:11]
; %bb.64:                               ;   in Loop: Header=BB277_12 Depth=1
	v_or_b32_e32 v46, 0x10000, v47
	v_cmp_eq_u32_sdwa s[10:11], v47, v1 src0_sel:WORD_0 src1_sel:DWORD
	s_nop 1
	v_cndmask_b32_e64 v46, v46, v47, s[10:11]
; %bb.65:                               ;   in Loop: Header=BB277_12 Depth=1
	s_or_b64 exec, exec, s[40:41]
	v_lshl_add_u64 v[48:49], v[0:1], 1, s[14:15]
	global_store_short_d16_hi v[48:49], v46, off
	s_or_b64 exec, exec, s[12:13]
	v_cmp_ne_u32_e64 s[10:11], 0, v5
	s_and_saveexec_b64 s[40:41], s[10:11]
	s_cbranch_execz .LBB277_39
.LBB277_66:                             ;   in Loop: Header=BB277_12 Depth=1
	v_cvt_f32_i32_e32 v0, v43
	v_add_f32_e32 v0, v7, v0
	v_lshlrev_b32_e32 v7, 16, v45
	v_add_f32_e32 v7, v0, v7
	v_and_b32_e32 v0, 0x7f800000, v7
	v_cmp_ne_u32_e64 s[12:13], s56, v0
                                        ; implicit-def: $vgpr0
	s_and_saveexec_b64 s[42:43], s[12:13]
	s_xor_b64 s[12:13], exec, s[42:43]
; %bb.67:                               ;   in Loop: Header=BB277_12 Depth=1
	v_bfe_u32 v0, v7, 16, 1
	v_add3_u32 v0, v7, v0, s57
                                        ; implicit-def: $vgpr7
; %bb.68:                               ;   in Loop: Header=BB277_12 Depth=1
	s_andn2_saveexec_b64 s[42:43], s[12:13]
; %bb.69:                               ;   in Loop: Header=BB277_12 Depth=1
	v_or_b32_e32 v0, 0x10000, v7
	v_cmp_eq_u32_sdwa s[12:13], v7, v1 src0_sel:WORD_0 src1_sel:DWORD
	s_nop 1
	v_cndmask_b32_e64 v0, v0, v7, s[12:13]
; %bb.70:                               ;   in Loop: Header=BB277_12 Depth=1
	s_or_b64 exec, exec, s[42:43]
	v_mov_b32_e32 v7, v1
	v_lshl_add_u64 v[6:7], v[6:7], 1, s[14:15]
	global_store_short_d16_hi v[6:7], v0, off
	s_or_b64 exec, exec, s[40:41]
	v_add_u32_e32 v0, s27, v60
	s_and_saveexec_b64 s[40:41], vcc
	s_cbranch_execz .LBB277_40
.LBB277_71:                             ;   in Loop: Header=BB277_12 Depth=1
	v_cvt_f32_i32_e32 v6, v39
	v_lshlrev_b32_e32 v7, 16, v44
	v_add_f32_e32 v6, v42, v6
	v_add_f32_e32 v7, v6, v7
	v_and_b32_e32 v6, 0x7f800000, v7
	v_cmp_ne_u32_e64 s[12:13], s56, v6
                                        ; implicit-def: $vgpr6
	s_and_saveexec_b64 s[42:43], s[12:13]
	s_xor_b64 s[12:13], exec, s[42:43]
; %bb.72:                               ;   in Loop: Header=BB277_12 Depth=1
	v_bfe_u32 v6, v7, 16, 1
	v_add3_u32 v6, v7, v6, s57
                                        ; implicit-def: $vgpr7
; %bb.73:                               ;   in Loop: Header=BB277_12 Depth=1
	s_andn2_saveexec_b64 s[42:43], s[12:13]
; %bb.74:                               ;   in Loop: Header=BB277_12 Depth=1
	v_or_b32_e32 v6, 0x10000, v7
	v_cmp_eq_u32_sdwa s[12:13], v7, v1 src0_sel:WORD_0 src1_sel:DWORD
	s_nop 1
	v_cndmask_b32_e64 v6, v6, v7, s[12:13]
; %bb.75:                               ;   in Loop: Header=BB277_12 Depth=1
	s_or_b64 exec, exec, s[42:43]
	v_lshl_add_u64 v[42:43], v[0:1], 1, s[14:15]
	global_store_short_d16_hi v[42:43], v6, off
	s_or_b64 exec, exec, s[40:41]
	s_and_saveexec_b64 s[40:41], s[6:7]
	s_cbranch_execz .LBB277_41
.LBB277_76:                             ;   in Loop: Header=BB277_12 Depth=1
	v_cvt_f32_i32_e32 v6, v36
	v_lshlrev_b32_e32 v7, 16, v41
	v_add_f32_e32 v6, v38, v6
	v_add_f32_e32 v7, v6, v7
	v_and_b32_e32 v6, 0x7f800000, v7
	v_cmp_ne_u32_e64 s[12:13], s56, v6
                                        ; implicit-def: $vgpr6
	s_and_saveexec_b64 s[42:43], s[12:13]
	s_xor_b64 s[12:13], exec, s[42:43]
; %bb.77:                               ;   in Loop: Header=BB277_12 Depth=1
	v_bfe_u32 v6, v7, 16, 1
	v_add3_u32 v6, v7, v6, s57
                                        ; implicit-def: $vgpr7
; %bb.78:                               ;   in Loop: Header=BB277_12 Depth=1
	s_andn2_saveexec_b64 s[42:43], s[12:13]
; %bb.79:                               ;   in Loop: Header=BB277_12 Depth=1
	v_or_b32_e32 v6, 0x10000, v7
	v_cmp_eq_u32_sdwa s[12:13], v7, v1 src0_sel:WORD_0 src1_sel:DWORD
	s_nop 1
	v_cndmask_b32_e64 v6, v6, v7, s[12:13]
; %bb.80:                               ;   in Loop: Header=BB277_12 Depth=1
	s_or_b64 exec, exec, s[42:43]
	v_add_u32_e32 v38, 1, v0
	v_mov_b32_e32 v39, v1
	v_lshl_add_u64 v[38:39], v[38:39], 1, s[14:15]
	global_store_short_d16_hi v[38:39], v6, off
	s_or_b64 exec, exec, s[40:41]
	s_and_saveexec_b64 s[40:41], s[8:9]
	s_cbranch_execz .LBB277_42
.LBB277_81:                             ;   in Loop: Header=BB277_12 Depth=1
	v_cvt_f32_i32_e32 v6, v35
	v_lshlrev_b32_e32 v7, 16, v40
	v_add_f32_e32 v6, v34, v6
	v_add_f32_e32 v7, v6, v7
	v_and_b32_e32 v6, 0x7f800000, v7
	v_cmp_ne_u32_e64 s[12:13], s56, v6
                                        ; implicit-def: $vgpr6
	s_and_saveexec_b64 s[42:43], s[12:13]
	s_xor_b64 s[12:13], exec, s[42:43]
; %bb.82:                               ;   in Loop: Header=BB277_12 Depth=1
	v_bfe_u32 v6, v7, 16, 1
	v_add3_u32 v6, v7, v6, s57
                                        ; implicit-def: $vgpr7
; %bb.83:                               ;   in Loop: Header=BB277_12 Depth=1
	s_andn2_saveexec_b64 s[42:43], s[12:13]
; %bb.84:                               ;   in Loop: Header=BB277_12 Depth=1
	v_or_b32_e32 v6, 0x10000, v7
	v_cmp_eq_u32_sdwa s[12:13], v7, v1 src0_sel:WORD_0 src1_sel:DWORD
	s_nop 1
	v_cndmask_b32_e64 v6, v6, v7, s[12:13]
; %bb.85:                               ;   in Loop: Header=BB277_12 Depth=1
	s_or_b64 exec, exec, s[42:43]
	v_add_u32_e32 v34, 2, v0
	v_mov_b32_e32 v35, v1
	v_lshl_add_u64 v[34:35], v[34:35], 1, s[14:15]
	global_store_short_d16_hi v[34:35], v6, off
	s_or_b64 exec, exec, s[40:41]
	s_and_saveexec_b64 s[40:41], s[10:11]
	s_cbranch_execz .LBB277_43
.LBB277_86:                             ;   in Loop: Header=BB277_12 Depth=1
	v_cvt_f32_i32_e32 v6, v27
	v_lshlrev_b32_e32 v7, 16, v37
	v_add_f32_e32 v6, v30, v6
	v_add_f32_e32 v7, v6, v7
	v_and_b32_e32 v6, 0x7f800000, v7
	v_cmp_ne_u32_e64 s[12:13], s56, v6
                                        ; implicit-def: $vgpr6
	s_and_saveexec_b64 s[42:43], s[12:13]
	s_xor_b64 s[12:13], exec, s[42:43]
; %bb.87:                               ;   in Loop: Header=BB277_12 Depth=1
	v_bfe_u32 v6, v7, 16, 1
	v_add3_u32 v6, v7, v6, s57
                                        ; implicit-def: $vgpr7
; %bb.88:                               ;   in Loop: Header=BB277_12 Depth=1
	s_andn2_saveexec_b64 s[42:43], s[12:13]
; %bb.89:                               ;   in Loop: Header=BB277_12 Depth=1
	v_or_b32_e32 v6, 0x10000, v7
	v_cmp_eq_u32_sdwa s[12:13], v7, v1 src0_sel:WORD_0 src1_sel:DWORD
	s_nop 1
	v_cndmask_b32_e64 v6, v6, v7, s[12:13]
; %bb.90:                               ;   in Loop: Header=BB277_12 Depth=1
	s_or_b64 exec, exec, s[42:43]
	v_add_u32_e32 v34, 3, v0
	v_mov_b32_e32 v35, v1
	v_lshl_add_u64 v[34:35], v[34:35], 1, s[14:15]
	global_store_short_d16_hi v[34:35], v6, off
	s_or_b64 exec, exec, s[40:41]
	v_add_u32_e32 v0, s27, v0
	s_and_saveexec_b64 s[40:41], vcc
	s_cbranch_execz .LBB277_44
.LBB277_91:                             ;   in Loop: Header=BB277_12 Depth=1
	v_cvt_f32_i32_e32 v6, v24
	v_lshlrev_b32_e32 v7, 16, v33
	v_add_f32_e32 v6, v26, v6
	v_add_f32_e32 v7, v6, v7
	v_and_b32_e32 v6, 0x7f800000, v7
	v_cmp_ne_u32_e64 s[12:13], s56, v6
                                        ; implicit-def: $vgpr6
	s_and_saveexec_b64 s[42:43], s[12:13]
	s_xor_b64 s[12:13], exec, s[42:43]
; %bb.92:                               ;   in Loop: Header=BB277_12 Depth=1
	v_bfe_u32 v6, v7, 16, 1
	v_add3_u32 v6, v7, v6, s57
                                        ; implicit-def: $vgpr7
; %bb.93:                               ;   in Loop: Header=BB277_12 Depth=1
	s_andn2_saveexec_b64 s[42:43], s[12:13]
; %bb.94:                               ;   in Loop: Header=BB277_12 Depth=1
	v_or_b32_e32 v6, 0x10000, v7
	v_cmp_eq_u32_sdwa s[12:13], v7, v1 src0_sel:WORD_0 src1_sel:DWORD
	s_nop 1
	v_cndmask_b32_e64 v6, v6, v7, s[12:13]
; %bb.95:                               ;   in Loop: Header=BB277_12 Depth=1
	s_or_b64 exec, exec, s[42:43]
	v_lshl_add_u64 v[26:27], v[0:1], 1, s[14:15]
	global_store_short_d16_hi v[26:27], v6, off
	s_or_b64 exec, exec, s[40:41]
	s_and_saveexec_b64 s[40:41], s[6:7]
	s_cbranch_execz .LBB277_45
.LBB277_96:                             ;   in Loop: Header=BB277_12 Depth=1
	v_cvt_f32_i32_e32 v6, v21
	v_lshlrev_b32_e32 v7, 16, v32
	v_add_f32_e32 v6, v22, v6
	v_add_f32_e32 v7, v6, v7
	v_and_b32_e32 v6, 0x7f800000, v7
	v_cmp_ne_u32_e64 s[12:13], s56, v6
                                        ; implicit-def: $vgpr6
	s_and_saveexec_b64 s[42:43], s[12:13]
	s_xor_b64 s[12:13], exec, s[42:43]
; %bb.97:                               ;   in Loop: Header=BB277_12 Depth=1
	v_bfe_u32 v6, v7, 16, 1
	v_add3_u32 v6, v7, v6, s57
                                        ; implicit-def: $vgpr7
; %bb.98:                               ;   in Loop: Header=BB277_12 Depth=1
	s_andn2_saveexec_b64 s[42:43], s[12:13]
; %bb.99:                               ;   in Loop: Header=BB277_12 Depth=1
	v_or_b32_e32 v6, 0x10000, v7
	v_cmp_eq_u32_sdwa s[12:13], v7, v1 src0_sel:WORD_0 src1_sel:DWORD
	s_nop 1
	v_cndmask_b32_e64 v6, v6, v7, s[12:13]
; %bb.100:                              ;   in Loop: Header=BB277_12 Depth=1
	s_or_b64 exec, exec, s[42:43]
	v_add_u32_e32 v26, 1, v0
	v_mov_b32_e32 v27, v1
	v_lshl_add_u64 v[26:27], v[26:27], 1, s[14:15]
	global_store_short_d16_hi v[26:27], v6, off
	s_or_b64 exec, exec, s[40:41]
	s_and_saveexec_b64 s[40:41], s[8:9]
	s_cbranch_execz .LBB277_46
.LBB277_101:                            ;   in Loop: Header=BB277_12 Depth=1
	v_cvt_f32_i32_e32 v6, v20
	v_lshlrev_b32_e32 v7, 16, v31
	v_add_f32_e32 v6, v18, v6
	v_add_f32_e32 v7, v6, v7
	v_and_b32_e32 v6, 0x7f800000, v7
	v_cmp_ne_u32_e64 s[12:13], s56, v6
                                        ; implicit-def: $vgpr6
	s_and_saveexec_b64 s[42:43], s[12:13]
	s_xor_b64 s[12:13], exec, s[42:43]
; %bb.102:                              ;   in Loop: Header=BB277_12 Depth=1
	v_bfe_u32 v6, v7, 16, 1
	v_add3_u32 v6, v7, v6, s57
                                        ; implicit-def: $vgpr7
; %bb.103:                              ;   in Loop: Header=BB277_12 Depth=1
	s_andn2_saveexec_b64 s[42:43], s[12:13]
; %bb.104:                              ;   in Loop: Header=BB277_12 Depth=1
	v_or_b32_e32 v6, 0x10000, v7
	v_cmp_eq_u32_sdwa s[12:13], v7, v1 src0_sel:WORD_0 src1_sel:DWORD
	s_nop 1
	v_cndmask_b32_e64 v6, v6, v7, s[12:13]
; %bb.105:                              ;   in Loop: Header=BB277_12 Depth=1
	s_or_b64 exec, exec, s[42:43]
	v_add_u32_e32 v20, 2, v0
	v_mov_b32_e32 v21, v1
	v_lshl_add_u64 v[20:21], v[20:21], 1, s[14:15]
	global_store_short_d16_hi v[20:21], v6, off
	s_or_b64 exec, exec, s[40:41]
	s_and_saveexec_b64 s[40:41], s[10:11]
	s_cbranch_execz .LBB277_47
.LBB277_106:                            ;   in Loop: Header=BB277_12 Depth=1
	v_cvt_f32_i32_e32 v6, v15
	v_lshlrev_b32_e32 v7, 16, v29
	v_add_f32_e32 v6, v12, v6
	v_add_f32_e32 v7, v6, v7
	v_and_b32_e32 v6, 0x7f800000, v7
	v_cmp_ne_u32_e64 s[12:13], s56, v6
                                        ; implicit-def: $vgpr6
	s_and_saveexec_b64 s[42:43], s[12:13]
	s_xor_b64 s[12:13], exec, s[42:43]
; %bb.107:                              ;   in Loop: Header=BB277_12 Depth=1
	v_bfe_u32 v6, v7, 16, 1
	v_add3_u32 v6, v7, v6, s57
                                        ; implicit-def: $vgpr7
; %bb.108:                              ;   in Loop: Header=BB277_12 Depth=1
	s_andn2_saveexec_b64 s[42:43], s[12:13]
; %bb.109:                              ;   in Loop: Header=BB277_12 Depth=1
	v_or_b32_e32 v6, 0x10000, v7
	v_cmp_eq_u32_sdwa s[12:13], v7, v1 src0_sel:WORD_0 src1_sel:DWORD
	s_nop 1
	v_cndmask_b32_e64 v6, v6, v7, s[12:13]
; %bb.110:                              ;   in Loop: Header=BB277_12 Depth=1
	s_or_b64 exec, exec, s[42:43]
	v_add_u32_e32 v20, 3, v0
	v_mov_b32_e32 v21, v1
	v_lshl_add_u64 v[20:21], v[20:21], 1, s[14:15]
	global_store_short_d16_hi v[20:21], v6, off
	s_or_b64 exec, exec, s[40:41]
	v_add_u32_e32 v0, s27, v0
	s_and_saveexec_b64 s[12:13], vcc
	s_cbranch_execz .LBB277_48
.LBB277_111:                            ;   in Loop: Header=BB277_12 Depth=1
	v_cvt_f32_i32_e32 v6, v17
	v_lshlrev_b32_e32 v7, 16, v28
	v_add_f32_e32 v6, v16, v6
	v_add_f32_e32 v7, v6, v7
	v_and_b32_e32 v6, 0x7f800000, v7
	v_cmp_ne_u32_e32 vcc, s56, v6
                                        ; implicit-def: $vgpr6
	s_and_saveexec_b64 s[40:41], vcc
	s_xor_b64 s[40:41], exec, s[40:41]
; %bb.112:                              ;   in Loop: Header=BB277_12 Depth=1
	v_bfe_u32 v6, v7, 16, 1
	v_add3_u32 v6, v7, v6, s57
                                        ; implicit-def: $vgpr7
; %bb.113:                              ;   in Loop: Header=BB277_12 Depth=1
	s_andn2_saveexec_b64 s[40:41], s[40:41]
; %bb.114:                              ;   in Loop: Header=BB277_12 Depth=1
	v_or_b32_e32 v6, 0x10000, v7
	v_cmp_eq_u32_sdwa vcc, v7, v1 src0_sel:WORD_0 src1_sel:DWORD
	s_nop 1
	v_cndmask_b32_e32 v6, v6, v7, vcc
; %bb.115:                              ;   in Loop: Header=BB277_12 Depth=1
	s_or_b64 exec, exec, s[40:41]
	v_lshl_add_u64 v[16:17], v[0:1], 1, s[14:15]
	global_store_short_d16_hi v[16:17], v6, off
	s_or_b64 exec, exec, s[12:13]
	s_and_saveexec_b64 s[12:13], s[6:7]
	s_cbranch_execz .LBB277_49
.LBB277_116:                            ;   in Loop: Header=BB277_12 Depth=1
	v_cvt_f32_i32_e32 v6, v14
	v_lshlrev_b32_e32 v7, 16, v25
	v_add_f32_e32 v6, v13, v6
	v_add_f32_e32 v7, v6, v7
	v_and_b32_e32 v6, 0x7f800000, v7
	v_cmp_ne_u32_e32 vcc, s56, v6
                                        ; implicit-def: $vgpr6
	s_and_saveexec_b64 s[6:7], vcc
	s_xor_b64 s[6:7], exec, s[6:7]
; %bb.117:                              ;   in Loop: Header=BB277_12 Depth=1
	v_bfe_u32 v6, v7, 16, 1
	v_add3_u32 v6, v7, v6, s57
                                        ; implicit-def: $vgpr7
; %bb.118:                              ;   in Loop: Header=BB277_12 Depth=1
	s_andn2_saveexec_b64 s[6:7], s[6:7]
; %bb.119:                              ;   in Loop: Header=BB277_12 Depth=1
	v_or_b32_e32 v6, 0x10000, v7
	v_cmp_eq_u32_sdwa vcc, v7, v1 src0_sel:WORD_0 src1_sel:DWORD
	s_nop 1
	v_cndmask_b32_e32 v6, v6, v7, vcc
; %bb.120:                              ;   in Loop: Header=BB277_12 Depth=1
	s_or_b64 exec, exec, s[6:7]
	v_add_u32_e32 v12, 1, v0
	v_mov_b32_e32 v13, v1
	v_lshl_add_u64 v[12:13], v[12:13], 1, s[14:15]
	global_store_short_d16_hi v[12:13], v6, off
	s_or_b64 exec, exec, s[12:13]
	s_and_saveexec_b64 s[6:7], s[8:9]
	s_cbranch_execz .LBB277_50
.LBB277_121:                            ;   in Loop: Header=BB277_12 Depth=1
	v_cvt_f32_i32_e32 v6, v11
	v_lshlrev_b32_e32 v7, 16, v23
	v_add_f32_e32 v6, v10, v6
	v_add_f32_e32 v7, v6, v7
	v_and_b32_e32 v6, 0x7f800000, v7
	v_cmp_ne_u32_e32 vcc, s56, v6
                                        ; implicit-def: $vgpr6
	s_and_saveexec_b64 s[8:9], vcc
	s_xor_b64 s[8:9], exec, s[8:9]
; %bb.122:                              ;   in Loop: Header=BB277_12 Depth=1
	v_bfe_u32 v6, v7, 16, 1
	v_add3_u32 v6, v7, v6, s57
                                        ; implicit-def: $vgpr7
; %bb.123:                              ;   in Loop: Header=BB277_12 Depth=1
	s_andn2_saveexec_b64 s[8:9], s[8:9]
; %bb.124:                              ;   in Loop: Header=BB277_12 Depth=1
	v_or_b32_e32 v6, 0x10000, v7
	v_cmp_eq_u32_sdwa vcc, v7, v1 src0_sel:WORD_0 src1_sel:DWORD
	s_nop 1
	v_cndmask_b32_e32 v6, v6, v7, vcc
; %bb.125:                              ;   in Loop: Header=BB277_12 Depth=1
	s_or_b64 exec, exec, s[8:9]
	v_add_u32_e32 v10, 2, v0
	v_mov_b32_e32 v11, v1
	v_lshl_add_u64 v[10:11], v[10:11], 1, s[14:15]
	global_store_short_d16_hi v[10:11], v6, off
	s_or_b64 exec, exec, s[6:7]
	s_and_b64 exec, exec, s[10:11]
	s_cbranch_execz .LBB277_131
.LBB277_126:                            ;   in Loop: Header=BB277_12 Depth=1
	v_cvt_f32_i32_e32 v6, v9
	v_lshlrev_b32_e32 v7, 16, v19
	v_add_f32_e32 v6, v8, v6
	v_add_f32_e32 v7, v6, v7
	v_and_b32_e32 v6, 0x7f800000, v7
	v_cmp_ne_u32_e32 vcc, s56, v6
                                        ; implicit-def: $vgpr6
	s_and_saveexec_b64 s[6:7], vcc
	s_xor_b64 s[6:7], exec, s[6:7]
; %bb.127:                              ;   in Loop: Header=BB277_12 Depth=1
	v_bfe_u32 v6, v7, 16, 1
	v_add3_u32 v6, v7, v6, s57
                                        ; implicit-def: $vgpr7
; %bb.128:                              ;   in Loop: Header=BB277_12 Depth=1
	s_andn2_saveexec_b64 s[6:7], s[6:7]
; %bb.129:                              ;   in Loop: Header=BB277_12 Depth=1
	v_or_b32_e32 v6, 0x10000, v7
	v_cmp_eq_u32_sdwa vcc, v7, v1 src0_sel:WORD_0 src1_sel:DWORD
	s_nop 1
	v_cndmask_b32_e32 v6, v6, v7, vcc
; %bb.130:                              ;   in Loop: Header=BB277_12 Depth=1
	s_or_b64 exec, exec, s[6:7]
	v_add_u32_e32 v0, 3, v0
	v_lshl_add_u64 v[8:9], v[0:1], 1, s[14:15]
	global_store_short_d16_hi v[8:9], v6, off
.LBB277_131:                            ;   in Loop: Header=BB277_12 Depth=1
	s_or_b64 exec, exec, s[38:39]
	s_waitcnt vmcnt(1)
	v_add_u32_e32 v60, s48, v60
	v_add_u32_e32 v0, 4, v60
	v_cmp_gt_u32_e32 vcc, s27, v60
	v_cmp_le_u32_e64 s[6:7], s27, v0
	s_and_b64 s[6:7], vcc, s[6:7]
	s_and_saveexec_b64 s[8:9], s[6:7]
	s_cbranch_execz .LBB277_10
; %bb.132:                              ;   in Loop: Header=BB277_12 Depth=1
	v_cmp_ne_u32_e32 vcc, s17, v60
	s_and_saveexec_b64 s[10:11], vcc
	s_cbranch_execz .LBB277_9
; %bb.133:                              ;   in Loop: Header=BB277_12 Depth=1
	v_subrev_u32_e32 v0, s17, v60
	v_cmp_lt_u32_e32 vcc, 1, v0
	s_mov_b64 s[12:13], 0
	s_mov_b64 s[38:39], 0
	v_cndmask_b32_e32 v0, 1, v0, vcc
.LBB277_134:                            ;   Parent Loop BB277_12 Depth=1
                                        ; =>  This Inner Loop Header: Depth=2
	s_cmp_lg_u32 s38, 3
	s_cselect_b64 vcc, -1, 0
	s_cmp_lg_u32 s38, 2
	s_waitcnt vmcnt(0)
	v_cndmask_b32_e32 v5, 0, v5, vcc
	s_cselect_b64 vcc, -1, 0
	s_cmp_lg_u32 s38, 1
	v_cndmask_b32_e32 v4, 0, v4, vcc
	s_cselect_b64 vcc, -1, 0
	s_cmp_lg_u32 s38, 0
	v_cndmask_b32_e32 v3, 0, v3, vcc
	s_cselect_b64 vcc, -1, 0
	s_add_u32 s38, s38, 1
	s_addc_u32 s39, s39, 0
	v_cmp_eq_u32_e64 s[6:7], s38, v0
	s_or_b64 s[12:13], s[6:7], s[12:13]
	v_cndmask_b32_e32 v2, 0, v2, vcc
	s_andn2_b64 exec, exec, s[12:13]
	s_cbranch_execnz .LBB277_134
; %bb.135:                              ;   in Loop: Header=BB277_12 Depth=1
	s_or_b64 exec, exec, s[12:13]
	s_branch .LBB277_9
.LBB277_136:
	s_endpgm
	.section	.rodata,"a",@progbits
	.p2align	6, 0x0
	.amdhsa_kernel _Z16wvSplitK_hf_big_I14__hip_bfloat16Li64ELi4ELi16ELi8ELi2ELi4EEviiiiiiPKT_S3_S3_PS1_ii
		.amdhsa_group_segment_fixed_size 65536
		.amdhsa_private_segment_fixed_size 120
		.amdhsa_kernarg_size 64
		.amdhsa_user_sgpr_count 2
		.amdhsa_user_sgpr_dispatch_ptr 0
		.amdhsa_user_sgpr_queue_ptr 0
		.amdhsa_user_sgpr_kernarg_segment_ptr 1
		.amdhsa_user_sgpr_dispatch_id 0
		.amdhsa_user_sgpr_kernarg_preload_length 0
		.amdhsa_user_sgpr_kernarg_preload_offset 0
		.amdhsa_user_sgpr_private_segment_size 0
		.amdhsa_uses_dynamic_stack 0
		.amdhsa_enable_private_segment 1
		.amdhsa_system_sgpr_workgroup_id_x 1
		.amdhsa_system_sgpr_workgroup_id_y 0
		.amdhsa_system_sgpr_workgroup_id_z 0
		.amdhsa_system_sgpr_workgroup_info 0
		.amdhsa_system_vgpr_workitem_id 1
		.amdhsa_next_free_vgpr 128
		.amdhsa_next_free_sgpr 58
		.amdhsa_accum_offset 128
		.amdhsa_reserve_vcc 1
		.amdhsa_float_round_mode_32 0
		.amdhsa_float_round_mode_16_64 0
		.amdhsa_float_denorm_mode_32 3
		.amdhsa_float_denorm_mode_16_64 3
		.amdhsa_dx10_clamp 1
		.amdhsa_ieee_mode 1
		.amdhsa_fp16_overflow 0
		.amdhsa_tg_split 0
		.amdhsa_exception_fp_ieee_invalid_op 0
		.amdhsa_exception_fp_denorm_src 0
		.amdhsa_exception_fp_ieee_div_zero 0
		.amdhsa_exception_fp_ieee_overflow 0
		.amdhsa_exception_fp_ieee_underflow 0
		.amdhsa_exception_fp_ieee_inexact 0
		.amdhsa_exception_int_div_zero 0
	.end_amdhsa_kernel
	.section	.text._Z16wvSplitK_hf_big_I14__hip_bfloat16Li64ELi4ELi16ELi8ELi2ELi4EEviiiiiiPKT_S3_S3_PS1_ii,"axG",@progbits,_Z16wvSplitK_hf_big_I14__hip_bfloat16Li64ELi4ELi16ELi8ELi2ELi4EEviiiiiiPKT_S3_S3_PS1_ii,comdat
.Lfunc_end277:
	.size	_Z16wvSplitK_hf_big_I14__hip_bfloat16Li64ELi4ELi16ELi8ELi2ELi4EEviiiiiiPKT_S3_S3_PS1_ii, .Lfunc_end277-_Z16wvSplitK_hf_big_I14__hip_bfloat16Li64ELi4ELi16ELi8ELi2ELi4EEviiiiiiPKT_S3_S3_PS1_ii
                                        ; -- End function
	.section	.AMDGPU.csdata,"",@progbits
; Kernel info:
; codeLenInByte = 8240
; NumSgprs: 64
; NumVgprs: 128
; NumAgprs: 0
; TotalNumVgprs: 128
; ScratchSize: 120
; MemoryBound: 0
; FloatMode: 240
; IeeeMode: 1
; LDSByteSize: 65536 bytes/workgroup (compile time only)
; SGPRBlocks: 7
; VGPRBlocks: 15
; NumSGPRsForWavesPerEU: 64
; NumVGPRsForWavesPerEU: 128
; AccumOffset: 128
; Occupancy: 4
; WaveLimiterHint : 0
; COMPUTE_PGM_RSRC2:SCRATCH_EN: 1
; COMPUTE_PGM_RSRC2:USER_SGPR: 2
; COMPUTE_PGM_RSRC2:TRAP_HANDLER: 0
; COMPUTE_PGM_RSRC2:TGID_X_EN: 1
; COMPUTE_PGM_RSRC2:TGID_Y_EN: 0
; COMPUTE_PGM_RSRC2:TGID_Z_EN: 0
; COMPUTE_PGM_RSRC2:TIDIG_COMP_CNT: 1
; COMPUTE_PGM_RSRC3_GFX90A:ACCUM_OFFSET: 31
; COMPUTE_PGM_RSRC3_GFX90A:TG_SPLIT: 0
	.section	.text._Z16wvSplitK_hf_sml_I14__hip_bfloat16Li32ELi1ELi16ELi8ELi4ELi5EEviiiiiiPKT_S3_S3_PS1_ii,"axG",@progbits,_Z16wvSplitK_hf_sml_I14__hip_bfloat16Li32ELi1ELi16ELi8ELi4ELi5EEviiiiiiPKT_S3_S3_PS1_ii,comdat
	.protected	_Z16wvSplitK_hf_sml_I14__hip_bfloat16Li32ELi1ELi16ELi8ELi4ELi5EEviiiiiiPKT_S3_S3_PS1_ii ; -- Begin function _Z16wvSplitK_hf_sml_I14__hip_bfloat16Li32ELi1ELi16ELi8ELi4ELi5EEviiiiiiPKT_S3_S3_PS1_ii
	.globl	_Z16wvSplitK_hf_sml_I14__hip_bfloat16Li32ELi1ELi16ELi8ELi4ELi5EEviiiiiiPKT_S3_S3_PS1_ii
	.p2align	8
	.type	_Z16wvSplitK_hf_sml_I14__hip_bfloat16Li32ELi1ELi16ELi8ELi4ELi5EEviiiiiiPKT_S3_S3_PS1_ii,@function
_Z16wvSplitK_hf_sml_I14__hip_bfloat16Li32ELi1ELi16ELi8ELi4ELi5EEviiiiiiPKT_S3_S3_PS1_ii: ; @_Z16wvSplitK_hf_sml_I14__hip_bfloat16Li32ELi1ELi16ELi8ELi4ELi5EEviiiiiiPKT_S3_S3_PS1_ii
; %bb.0:
	s_load_dwordx4 s[4:7], s[0:1], 0x0
	v_and_b32_e32 v4, 0x3ff, v0
	v_bfe_u32 v5, v0, 10, 10
	v_lshlrev_b32_e32 v122, 3, v4
	v_lshl_add_u32 v6, v5, 8, v122
	s_waitcnt lgkmcnt(0)
	s_mul_i32 s3, s6, 5
	s_min_u32 s3, s3, 0x8000
	v_cmp_gt_u32_e32 vcc, s3, v6
	s_and_saveexec_b64 s[8:9], vcc
	s_cbranch_execz .LBB278_9
; %bb.1:
	s_load_dwordx2 s[10:11], s[0:1], 0x20
	v_lshlrev_b32_e32 v0, 1, v6
	v_add_u32_e32 v1, 0x1000, v6
	v_cmp_gt_u32_e32 vcc, s3, v1
	s_waitcnt lgkmcnt(0)
	global_load_dwordx4 v[8:11], v0, s[10:11]
	s_waitcnt vmcnt(0)
	ds_write_b128 v0, v[8:11]
	s_and_saveexec_b64 s[12:13], vcc
	s_xor_b64 s[12:13], exec, s[12:13]
	s_cbranch_execz .LBB278_9
; %bb.2:
	v_mov_b32_e32 v1, 0
	v_lshl_add_u64 v[2:3], s[10:11], 0, v[0:1]
	v_add_co_u32_e32 v8, vcc, 0x2000, v2
	v_add_u32_e32 v1, 0x2000, v6
	s_nop 0
	v_addc_co_u32_e32 v9, vcc, 0, v3, vcc
	global_load_dwordx4 v[8:11], v[8:9], off
	v_cmp_gt_u32_e32 vcc, s3, v1
	s_waitcnt vmcnt(0)
	ds_write_b128 v0, v[8:11] offset:8192
	s_and_saveexec_b64 s[10:11], vcc
	s_xor_b64 s[10:11], exec, s[10:11]
	s_cbranch_execz .LBB278_9
; %bb.3:
	v_add_co_u32_e32 v8, vcc, 0x4000, v2
	v_add_u32_e32 v1, 0x3000, v6
	s_nop 0
	v_addc_co_u32_e32 v9, vcc, 0, v3, vcc
	global_load_dwordx4 v[8:11], v[8:9], off
	v_cmp_gt_u32_e32 vcc, s3, v1
	s_waitcnt vmcnt(0)
	ds_write_b128 v0, v[8:11] offset:16384
	s_and_saveexec_b64 s[10:11], vcc
	s_xor_b64 s[10:11], exec, s[10:11]
	s_cbranch_execz .LBB278_9
; %bb.4:
	v_add_co_u32_e32 v8, vcc, 0x6000, v2
	v_add_u32_e32 v1, 0x4000, v6
	s_nop 0
	v_addc_co_u32_e32 v9, vcc, 0, v3, vcc
	global_load_dwordx4 v[8:11], v[8:9], off
	v_cmp_gt_u32_e32 vcc, s3, v1
	s_waitcnt vmcnt(0)
	ds_write_b128 v0, v[8:11] offset:24576
	s_and_saveexec_b64 s[10:11], vcc
	s_xor_b64 s[10:11], exec, s[10:11]
	s_cbranch_execz .LBB278_9
; %bb.5:
	v_add_co_u32_e32 v8, vcc, 0x8000, v2
	v_add_u32_e32 v1, 0x5000, v6
	s_nop 0
	v_addc_co_u32_e32 v9, vcc, 0, v3, vcc
	global_load_dwordx4 v[8:11], v[8:9], off
	v_cmp_gt_u32_e32 vcc, s3, v1
	s_waitcnt vmcnt(0)
	ds_write_b128 v0, v[8:11] offset:32768
	s_and_saveexec_b64 s[10:11], vcc
	s_xor_b64 s[10:11], exec, s[10:11]
	s_cbranch_execz .LBB278_9
; %bb.6:
	v_add_co_u32_e32 v8, vcc, 0xa000, v2
	v_add_u32_e32 v1, 0x6000, v6
	s_nop 0
	v_addc_co_u32_e32 v9, vcc, 0, v3, vcc
	global_load_dwordx4 v[8:11], v[8:9], off
	v_cmp_gt_u32_e32 vcc, s3, v1
	s_waitcnt vmcnt(0)
	ds_write_b128 v0, v[8:11] offset:40960
	s_and_saveexec_b64 s[10:11], vcc
	s_xor_b64 s[10:11], exec, s[10:11]
	s_cbranch_execz .LBB278_9
; %bb.7:
	v_add_co_u32_e32 v8, vcc, 0xc000, v2
	v_add_u32_e32 v1, 0x7000, v6
	s_nop 0
	v_addc_co_u32_e32 v9, vcc, 0, v3, vcc
	global_load_dwordx4 v[8:11], v[8:9], off
	v_cmp_gt_u32_e32 vcc, s3, v1
	s_waitcnt vmcnt(0)
	ds_write_b128 v0, v[8:11] offset:49152
	s_and_saveexec_b64 s[10:11], vcc
	s_xor_b64 s[10:11], exec, s[10:11]
	s_cbranch_execz .LBB278_9
; %bb.8:
	v_add_co_u32_e32 v2, vcc, 0xe000, v2
	s_nop 1
	v_addc_co_u32_e32 v3, vcc, 0, v3, vcc
	global_load_dwordx4 v[6:9], v[2:3], off
	s_waitcnt vmcnt(0)
	ds_write_b128 v0, v[6:9] offset:57344
.LBB278_9:
	s_or_b64 exec, exec, s[8:9]
	s_load_dwordx2 s[20:21], s[0:1], 0x38
	s_waitcnt lgkmcnt(0)
	s_barrier
	v_cmp_gt_u32_e32 vcc, s20, v5
	s_and_saveexec_b64 s[8:9], vcc
	s_cbranch_execz .LBB278_48
; %bb.10:
	s_load_dwordx2 s[12:13], s[0:1], 0x10
	s_mul_i32 s2, s2, s20
	v_add_u32_e32 v100, s2, v5
	v_cmp_gt_u32_e32 vcc, s7, v100
	s_and_b64 exec, exec, vcc
	s_cbranch_execz .LBB278_48
; %bb.11:
	s_load_dwordx4 s[8:11], s[0:1], 0x28
	s_load_dwordx2 s[14:15], s[0:1], 0x18
	s_cmp_lg_u32 s4, 0
	s_cselect_b64 s[2:3], -1, 0
	s_add_i32 s28, s4, -8
	s_add_i32 s29, s7, -1
	s_waitcnt lgkmcnt(0)
	s_cmp_lg_u64 s[8:9], 0
	s_cselect_b64 s[18:19], -1, 0
	s_abs_i32 s22, s13
	v_cvt_f32_u32_e32 v0, s12
	v_cvt_f32_u32_e32 v1, s22
	s_mul_i32 s13, s21, s20
	s_sub_i32 s20, 0, s12
	v_rcp_iflag_f32_e32 v0, v0
	v_rcp_iflag_f32_e32 v1, v1
	v_cmp_eq_u32_e64 s[0:1], 31, v4
	s_mov_b64 s[16:17], 0
	v_mul_f32_e32 v0, 0x4f7ffffe, v0
	v_mul_f32_e32 v1, 0x4f7ffffe, v1
	v_cvt_u32_f32_e32 v0, v0
	v_cvt_u32_f32_e32 v1, v1
	v_mov_b32_e32 v103, 0
	v_lshlrev_b32_e32 v124, 4, v4
	v_mul_lo_u32 v2, s20, v0
	s_sub_i32 s20, 0, s22
	v_readfirstlane_b32 s21, v1
	s_mul_i32 s20, s20, s21
	s_mul_hi_u32 s20, s21, s20
	s_add_i32 s21, s21, s20
	s_sub_i32 s20, 1, s22
	s_cmp_lt_u32 s22, 2
	s_cselect_b32 s20, s20, 1
	s_sub_i32 s23, s20, s22
	s_cmp_ge_u32 s20, s22
	s_cselect_b32 s30, s23, s20
	s_lshr_b32 s20, s21, 31
	s_mul_i32 s20, s20, s22
	s_sub_i32 s20, 2, s20
	s_sub_i32 s23, s20, s22
	s_cmp_ge_u32 s20, s22
	s_cselect_b32 s20, s23, s20
	s_sub_i32 s23, s20, s22
	s_cmp_ge_u32 s20, s22
	s_cselect_b32 s31, s23, s20
	s_mul_hi_u32 s20, s21, 3
	s_mul_i32 s20, s20, s22
	s_sub_i32 s20, 3, s20
	s_sub_i32 s23, s20, s22
	s_cmp_ge_u32 s20, s22
	s_cselect_b32 s20, s23, s20
	s_sub_i32 s23, s20, s22
	s_cmp_ge_u32 s20, s22
	s_cselect_b32 s33, s23, s20
	s_lshr_b32 s20, s21, 30
	s_mul_i32 s20, s20, s22
	s_sub_i32 s20, 4, s20
	s_sub_i32 s21, s20, s22
	s_cmp_ge_u32 s20, s22
	s_cselect_b32 s20, s21, s20
	s_sub_i32 s21, s20, s22
	v_mul_hi_u32 v2, v0, v2
	s_cmp_ge_u32 s20, s22
	v_add_u32_e32 v123, v0, v2
	s_cselect_b32 s34, s21, s20
	v_cndmask_b32_e64 v0, 0, 1, s[2:3]
	s_mul_i32 s30, s30, s12
	s_mul_i32 s31, s31, s12
	;; [unrolled: 1-line block ×4, first 2 shown]
	s_lshl_b32 s35, s6, 3
	s_mul_i32 s36, s6, 6
	s_lshl_b32 s37, s6, 2
	s_lshl_b32 s6, s6, 1
	v_cmp_ne_u32_e64 s[2:3], 1, v0
	s_mov_b32 s38, 0x7f800000
	s_movk_i32 s39, 0x7fff
	s_branch .LBB278_14
.LBB278_12:                             ;   in Loop: Header=BB278_14 Depth=1
	s_or_b64 exec, exec, s[22:23]
	v_add_u32_e32 v102, s7, v102
	v_lshl_add_u64 v[2:3], v[102:103], 1, s[10:11]
	global_store_short_d16_hi v[2:3], v0, off
.LBB278_13:                             ;   in Loop: Header=BB278_14 Depth=1
	s_or_b64 exec, exec, s[20:21]
	v_add_u32_e32 v100, s13, v100
	v_cmp_le_u32_e32 vcc, s7, v100
	s_or_b64 s[16:17], vcc, s[16:17]
	s_andn2_b64 exec, exec, s[16:17]
	s_cbranch_execz .LBB278_48
.LBB278_14:                             ; =>This Loop Header: Depth=1
                                        ;     Child Loop BB278_20 Depth 2
	s_and_b64 vcc, exec, s[2:3]
	v_mov_b32_e32 v3, v103
	v_mov_b32_e32 v2, v103
	;; [unrolled: 1-line block ×20, first 2 shown]
	s_cbranch_vccnz .LBB278_25
; %bb.15:                               ;   in Loop: Header=BB278_14 Depth=1
	v_min_u32_e32 v0, s29, v100
	v_mul_lo_u32 v102, v0, s5
	v_mov_b32_e32 v16, 0
	v_lshl_add_u64 v[104:105], v[102:103], 1, s[14:15]
	s_mov_b32 s40, 0
	v_mov_b32_e32 v101, v124
	v_mov_b32_e32 v17, v16
	;; [unrolled: 1-line block ×20, first 2 shown]
	s_branch .LBB278_20
.LBB278_16:                             ;   in Loop: Header=BB278_20 Depth=2
	s_or_b64 exec, exec, s[26:27]
.LBB278_17:                             ;   in Loop: Header=BB278_20 Depth=2
	s_or_b64 exec, exec, s[24:25]
.LBB278_18:                             ;   in Loop: Header=BB278_20 Depth=2
	s_or_b64 exec, exec, s[22:23]
.LBB278_19:                             ;   in Loop: Header=BB278_20 Depth=2
	s_or_b64 exec, exec, s[20:21]
	s_waitcnt vmcnt(3) lgkmcnt(1)
	v_mfma_f32_4x4x4_16b_bf16 v[16:19], v[92:93], v[32:33], v[16:19]
	s_addk_i32 s40, 0x400
	v_mfma_f32_4x4x4_16b_bf16 v[12:15], v[52:53], v[32:33], v[12:15]
	v_add_u32_e32 v101, 0x800, v101
	v_mfma_f32_4x4x4_16b_bf16 v[8:11], v[108:109], v[32:33], v[8:11]
	s_cmp_ge_u32 s40, s4
	v_mfma_f32_4x4x4_16b_bf16 v[4:7], v[40:41], v[32:33], v[4:7]
	s_waitcnt lgkmcnt(0)
	v_mfma_f32_4x4x4_16b_bf16 v[0:3], v[36:37], v[32:33], v[0:3]
	v_mfma_f32_4x4x4_16b_bf16 v[16:19], v[94:95], v[34:35], v[16:19]
	v_mfma_f32_4x4x4_16b_bf16 v[12:15], v[54:55], v[34:35], v[12:15]
	v_mfma_f32_4x4x4_16b_bf16 v[8:11], v[106:107], v[34:35], v[8:11]
	v_mfma_f32_4x4x4_16b_bf16 v[4:7], v[42:43], v[34:35], v[4:7]
	v_mfma_f32_4x4x4_16b_bf16 v[0:3], v[38:39], v[34:35], v[0:3]
	s_waitcnt vmcnt(2)
	v_mfma_f32_4x4x4_16b_bf16 v[16:19], v[68:69], v[28:29], v[16:19]
	v_mfma_f32_4x4x4_16b_bf16 v[12:15], v[56:57], v[28:29], v[12:15]
	v_mfma_f32_4x4x4_16b_bf16 v[8:11], v[112:113], v[28:29], v[8:11]
	v_mfma_f32_4x4x4_16b_bf16 v[4:7], v[48:49], v[28:29], v[4:7]
	v_mfma_f32_4x4x4_16b_bf16 v[0:3], v[44:45], v[28:29], v[0:3]
	v_mfma_f32_4x4x4_16b_bf16 v[16:19], v[70:71], v[30:31], v[16:19]
	v_mfma_f32_4x4x4_16b_bf16 v[12:15], v[58:59], v[30:31], v[12:15]
	v_mfma_f32_4x4x4_16b_bf16 v[8:11], v[110:111], v[30:31], v[8:11]
	v_mfma_f32_4x4x4_16b_bf16 v[4:7], v[50:51], v[30:31], v[4:7]
	v_mfma_f32_4x4x4_16b_bf16 v[0:3], v[46:47], v[30:31], v[0:3]
	s_waitcnt vmcnt(1)
	v_mfma_f32_4x4x4_16b_bf16 v[16:19], v[60:61], v[24:25], v[16:19]
	v_mfma_f32_4x4x4_16b_bf16 v[12:15], v[64:65], v[24:25], v[12:15]
	v_mfma_f32_4x4x4_16b_bf16 v[8:11], v[116:117], v[24:25], v[8:11]
	v_mfma_f32_4x4x4_16b_bf16 v[4:7], v[76:77], v[24:25], v[4:7]
	;; [unrolled: 11-line block ×3, first 2 shown]
	v_mfma_f32_4x4x4_16b_bf16 v[0:3], v[88:89], v[20:21], v[0:3]
	v_mfma_f32_4x4x4_16b_bf16 v[16:19], v[74:75], v[22:23], v[16:19]
	;; [unrolled: 1-line block ×6, first 2 shown]
	s_cbranch_scc1 .LBB278_25
.LBB278_20:                             ;   Parent Loop BB278_14 Depth=1
                                        ; =>  This Inner Loop Header: Depth=2
	v_add_u32_e32 v40, s40, v122
	v_min_u32_e32 v102, s28, v40
	v_add_u32_e32 v130, 0x100, v40
	v_lshl_add_u64 v[20:21], v[102:103], 1, v[104:105]
	v_min_u32_e32 v102, s28, v130
	v_add_u32_e32 v126, 0x200, v40
	v_lshl_add_u64 v[22:23], v[102:103], 1, v[104:105]
	;; [unrolled: 3-line block ×3, first 2 shown]
	v_min_u32_e32 v102, s28, v125
	global_load_dwordx4 v[32:35], v[20:21], off nt
	global_load_dwordx4 v[28:31], v[22:23], off nt
	v_lshl_add_u64 v[38:39], v[102:103], 1, v[104:105]
	global_load_dwordx4 v[24:27], v[36:37], off nt
	global_load_dwordx4 v[20:23], v[38:39], off nt
	v_cmp_gt_u32_e32 vcc, s4, v40
	v_mov_b32_e32 v90, 0
	v_mov_b32_e32 v91, 0
	;; [unrolled: 1-line block ×80, first 2 shown]
	s_and_saveexec_b64 s[20:21], vcc
	s_cbranch_execz .LBB278_19
; %bb.21:                               ;   in Loop: Header=BB278_20 Depth=2
	v_add_u32_e32 v102, s6, v101
	v_add_u32_e32 v128, s37, v101
	ds_read_b128 v[52:55], v102
	ds_read2_b32 v[108:109], v128 offset1:1
	v_add_u32_e32 v129, s36, v101
	ds_read2_b32 v[106:107], v128 offset0:2 offset1:3
	ds_read_b128 v[40:43], v129
	v_add_u32_e32 v127, s35, v101
	ds_read_b128 v[92:95], v101
	ds_read2_b64 v[36:39], v127 offset1:1
	v_cmp_gt_u32_e32 vcc, s4, v130
	v_mov_b32_e32 v69, 0
	v_mov_b32_e32 v68, 0
	;; [unrolled: 1-line block ×60, first 2 shown]
	s_and_saveexec_b64 s[22:23], vcc
	s_cbranch_execz .LBB278_18
; %bb.22:                               ;   in Loop: Header=BB278_20 Depth=2
	ds_read_b128 v[56:59], v102 offset:512
	ds_read2_b32 v[112:113], v128 offset0:128 offset1:129
	ds_read2_b32 v[110:111], v128 offset0:130 offset1:131
	ds_read_b128 v[48:51], v129 offset:512
	ds_read_b128 v[68:71], v101 offset:512
	ds_read2_b64 v[44:47], v127 offset0:64 offset1:65
	v_cmp_gt_u32_e32 vcc, s4, v126
	v_mov_b32_e32 v61, 0
	v_mov_b32_e32 v60, 0
	;; [unrolled: 1-line block ×40, first 2 shown]
	s_and_saveexec_b64 s[24:25], vcc
	s_cbranch_execz .LBB278_17
; %bb.23:                               ;   in Loop: Header=BB278_20 Depth=2
	v_add_u32_e32 v64, 0x408, v128
	v_add_u32_e32 v72, 0x400, v128
	ds_read_b128 v[60:63], v101 offset:1024
	ds_read2_b32 v[114:115], v64 offset1:1
	ds_read_b128 v[64:67], v102 offset:1024
	ds_read_b128 v[76:79], v129 offset:1024
	ds_read2_b32 v[116:117], v72 offset1:1
	ds_read2_b64 v[80:83], v127 offset0:128 offset1:129
	v_cmp_gt_u32_e32 vcc, s4, v125
	v_mov_b32_e32 v73, 0
	v_mov_b32_e32 v72, 0
	;; [unrolled: 1-line block ×20, first 2 shown]
	s_and_saveexec_b64 s[26:27], vcc
	s_cbranch_execz .LBB278_16
; %bb.24:                               ;   in Loop: Header=BB278_20 Depth=2
	v_add_u32_e32 v88, 0x600, v128
	v_add_u32_e32 v84, 0x608, v128
	ds_read_b128 v[72:75], v101 offset:1536
	ds_read2_b32 v[118:119], v84 offset1:1
	ds_read_b128 v[84:87], v102 offset:1536
	ds_read_b128 v[96:99], v129 offset:1536
	ds_read2_b32 v[120:121], v88 offset1:1
	ds_read2_b64 v[88:91], v127 offset0:192 offset1:193
	s_branch .LBB278_16
.LBB278_25:                             ;   in Loop: Header=BB278_14 Depth=1
	; sched_barrier mask(0x00000000)
	v_cvt_i32_f32_e32 v17, v17
	v_cvt_i32_f32_e32 v18, v18
	v_cvt_i32_f32_e32 v19, v19
	v_cvt_i32_f32_e32 v13, v13
	v_cvt_f32_i32_dpp v17, v17 row_shl:1 row_mask:0xf bank_mask:0xf bound_ctrl:1
	v_cvt_f32_i32_dpp v18, v18 row_shl:2 row_mask:0xf bank_mask:0xf bound_ctrl:1
	;; [unrolled: 1-line block ×3, first 2 shown]
	v_cvt_i32_f32_e32 v14, v14
	v_add_f32_e32 v16, v16, v17
	v_add_f32_e32 v16, v16, v18
	;; [unrolled: 1-line block ×3, first 2 shown]
	v_cvt_i32_f32_e32 v17, v16
	v_cvt_i32_f32_e32 v18, v6
	;; [unrolled: 1-line block ×3, first 2 shown]
	v_cvt_f32_i32_dpp v13, v13 row_shl:1 row_mask:0xf bank_mask:0xf bound_ctrl:1
	v_cvt_f32_i32_dpp v17, v17 row_shl:4 row_mask:0xf bank_mask:0xf bound_ctrl:1
	;; [unrolled: 1-line block ×4, first 2 shown]
	v_cvt_i32_f32_e32 v9, v9
	v_add_f32_e32 v6, v16, v17
	v_cvt_i32_f32_e32 v16, v6
	v_add_f32_e32 v12, v12, v13
	v_add_f32_e32 v12, v12, v14
	;; [unrolled: 1-line block ×3, first 2 shown]
	v_cvt_f32_i32_dpp v16, v16 row_shl:8 row_mask:0xf bank_mask:0xf bound_ctrl:1
	v_cvt_i32_f32_e32 v10, v10
	v_cvt_i32_f32_e32 v13, v12
	;; [unrolled: 1-line block ×3, first 2 shown]
	v_add_f32_e32 v6, v6, v16
	v_cvt_i32_f32_e32 v6, v6
	v_cvt_f32_i32_dpp v9, v9 row_shl:1 row_mask:0xf bank_mask:0xf bound_ctrl:1
	v_cvt_f32_i32_dpp v10, v10 row_shl:2 row_mask:0xf bank_mask:0xf bound_ctrl:1
	;; [unrolled: 1-line block ×3, first 2 shown]
	v_cvt_f32_i32_dpp v6, v6 row_shr:15 row_mask:0xf bank_mask:0xf bound_ctrl:1
	v_cvt_f32_i32_dpp v11, v11 row_shl:3 row_mask:0xf bank_mask:0xf bound_ctrl:1
	v_add_f32_e32 v8, v8, v9
	v_add_f32_e32 v8, v8, v10
	v_cvt_i32_f32_e32 v9, v6
	v_add_f32_e32 v10, v12, v13
	v_cvt_i32_f32_e32 v12, v10
	v_add_f32_e32 v11, v8, v11
	v_cvt_f32_i32_dpp v9, v9 row_bcast:15 row_mask:0xf bank_mask:0xf bound_ctrl:1
	v_cvt_i32_f32_e32 v8, v11
	v_cvt_i32_f32_e32 v5, v5
	v_cvt_f32_i32_dpp v12, v12 row_shl:8 row_mask:0xf bank_mask:0xf bound_ctrl:1
	v_add_f32_e32 v6, v6, v9
	v_cvt_i32_f32_e32 v1, v1
	v_cvt_i32_f32_e32 v9, v6
	v_cvt_f32_i32_dpp v13, v8 row_shl:4 row_mask:0xf bank_mask:0xf bound_ctrl:1
	v_cvt_i32_f32_e32 v2, v2
	v_cvt_f32_i32_dpp v5, v5 row_shl:1 row_mask:0xf bank_mask:0xf bound_ctrl:1
	v_cvt_i32_f32_e32 v7, v7
	v_cvt_i32_f32_e32 v3, v3
	v_add_f32_e32 v8, v10, v12
	v_cvt_f32_i32_dpp v1, v1 row_shl:1 row_mask:0xf bank_mask:0xf bound_ctrl:1
	v_cvt_i32_f32_e32 v10, v8
	v_mov_b32_dpp v8, v9 row_bcast:31 row_mask:0xf bank_mask:0xf bound_ctrl:1
	v_add_f32_e32 v9, v11, v13
	v_cvt_f32_i32_dpp v11, v18 row_shl:2 row_mask:0xf bank_mask:0xf bound_ctrl:1
	v_cvt_f32_i32_dpp v2, v2 row_shl:2 row_mask:0xf bank_mask:0xf bound_ctrl:1
	v_add_f32_e32 v4, v4, v5
	v_cvt_f32_i32_dpp v5, v7 row_shl:3 row_mask:0xf bank_mask:0xf bound_ctrl:1
	v_cvt_f32_i32_dpp v3, v3 row_shl:3 row_mask:0xf bank_mask:0xf bound_ctrl:1
	v_add_f32_e32 v0, v0, v1
	v_add_f32_e32 v4, v4, v11
	;; [unrolled: 1-line block ×5, first 2 shown]
	v_cvt_i32_f32_e32 v5, v4
	v_cvt_i32_f32_e32 v1, v0
	;; [unrolled: 1-line block ×3, first 2 shown]
	v_cvt_f32_i32_dpp v3, v5 row_shl:4 row_mask:0xf bank_mask:0xf bound_ctrl:1
	v_cvt_f32_i32_dpp v1, v1 row_shl:4 row_mask:0xf bank_mask:0xf bound_ctrl:1
	;; [unrolled: 1-line block ×3, first 2 shown]
	v_cvt_f32_i32_dpp v5, v10 row_shr:15 row_mask:0xf bank_mask:0xf bound_ctrl:1
	v_add_f32_e32 v3, v4, v3
	v_add_f32_e32 v0, v0, v1
	v_cvt_i32_f32_e32 v4, v3
	v_cvt_i32_f32_e32 v1, v0
	v_add_f32_e32 v2, v9, v2
	v_cvt_i32_f32_e32 v2, v2
	v_cvt_f32_i32_dpp v4, v4 row_shl:8 row_mask:0xf bank_mask:0xf bound_ctrl:1
	v_cvt_f32_i32_dpp v1, v1 row_shl:8 row_mask:0xf bank_mask:0xf bound_ctrl:1
	v_cvt_i32_f32_e32 v7, v5
	v_cvt_f32_i32_dpp v2, v2 row_shr:15 row_mask:0xf bank_mask:0xf bound_ctrl:1
	v_add_f32_e32 v3, v3, v4
	v_add_f32_e32 v0, v0, v1
	v_cvt_i32_f32_e32 v3, v3
	v_cvt_i32_f32_e32 v0, v0
	v_cvt_f32_i32_dpp v1, v7 row_bcast:15 row_mask:0xf bank_mask:0xf bound_ctrl:1
	v_cvt_i32_f32_e32 v4, v2
	v_cvt_f32_i32_dpp v3, v3 row_shr:15 row_mask:0xf bank_mask:0xf bound_ctrl:1
	v_cvt_f32_i32_dpp v0, v0 row_shr:15 row_mask:0xf bank_mask:0xf bound_ctrl:1
	v_add_f32_e32 v10, v5, v1
	v_cvt_f32_i32_dpp v4, v4 row_bcast:15 row_mask:0xf bank_mask:0xf bound_ctrl:1
	v_cvt_i32_f32_e32 v1, v3
	v_cvt_i32_f32_e32 v7, v0
	;; [unrolled: 1-line block ×3, first 2 shown]
	v_add_f32_e32 v5, v2, v4
	v_cvt_f32_i32_dpp v1, v1 row_bcast:15 row_mask:0xf bank_mask:0xf bound_ctrl:1
	v_cvt_f32_i32_dpp v4, v7 row_bcast:15 row_mask:0xf bank_mask:0xf bound_ctrl:1
	v_cvt_i32_f32_e32 v7, v5
	v_mov_b32_dpp v11, v9 row_bcast:31 row_mask:0xf bank_mask:0xf bound_ctrl:1
	v_add_f32_e32 v2, v3, v1
	v_add_f32_e32 v0, v0, v4
	v_cvt_i32_f32_e32 v1, v2
	v_cvt_i32_f32_e32 v4, v0
	v_mov_b32_dpp v7, v7 row_bcast:31 row_mask:0xf bank_mask:0xf bound_ctrl:1
	v_mov_b32_dpp v3, v1 row_bcast:31 row_mask:0xf bank_mask:0xf bound_ctrl:1
	;; [unrolled: 1-line block ×3, first 2 shown]
	s_and_saveexec_b64 s[20:21], s[0:1]
	s_cbranch_execz .LBB278_13
; %bb.26:                               ;   in Loop: Header=BB278_14 Depth=1
	s_andn2_b64 vcc, exec, s[18:19]
	v_mov_b32_e32 v14, 0
	v_mov_b32_e32 v13, 0
	;; [unrolled: 1-line block ×5, first 2 shown]
	s_cbranch_vccnz .LBB278_28
; %bb.27:                               ;   in Loop: Header=BB278_14 Depth=1
	v_mul_hi_u32 v4, v100, v123
	v_mul_lo_u32 v4, v4, s12
	v_sub_u32_e32 v4, v100, v4
	v_subrev_u32_e32 v9, s12, v4
	v_cmp_le_u32_e32 vcc, s12, v4
	v_mov_b32_e32 v13, v103
	s_nop 0
	v_cndmask_b32_e32 v4, v4, v9, vcc
	v_subrev_u32_e32 v9, s12, v4
	v_cmp_le_u32_e32 vcc, s12, v4
	s_nop 1
	v_cndmask_b32_e32 v102, v4, v9, vcc
	v_add_u32_e32 v12, s30, v102
	v_lshl_add_u64 v[18:19], v[12:13], 1, s[8:9]
	v_add_u32_e32 v12, s31, v102
	v_lshl_add_u64 v[16:17], v[102:103], 1, s[8:9]
	v_lshl_add_u64 v[20:21], v[12:13], 1, s[8:9]
	v_add_u32_e32 v12, s33, v102
	v_add_u32_e32 v102, s34, v102
	v_lshl_add_u64 v[22:23], v[12:13], 1, s[8:9]
	v_lshl_add_u64 v[24:25], v[102:103], 1, s[8:9]
	global_load_ushort v14, v[16:17], off
	global_load_ushort v13, v[18:19], off
	;; [unrolled: 1-line block ×5, first 2 shown]
.LBB278_28:                             ;   in Loop: Header=BB278_14 Depth=1
	v_cvt_f32_i32_e32 v8, v8
	v_add_f32_e32 v6, v6, v8
	s_waitcnt vmcnt(4)
	v_lshlrev_b32_e32 v8, 16, v14
	v_add_f32_e32 v8, v6, v8
	v_and_b32_e32 v6, 0x7f800000, v8
	v_cmp_ne_u32_e32 vcc, s38, v6
                                        ; implicit-def: $vgpr6
	s_and_saveexec_b64 s[22:23], vcc
	s_xor_b64 s[22:23], exec, s[22:23]
; %bb.29:                               ;   in Loop: Header=BB278_14 Depth=1
	v_bfe_u32 v6, v8, 16, 1
	v_add3_u32 v6, v8, v6, s39
                                        ; implicit-def: $vgpr8
; %bb.30:                               ;   in Loop: Header=BB278_14 Depth=1
	s_andn2_saveexec_b64 s[22:23], s[22:23]
; %bb.31:                               ;   in Loop: Header=BB278_14 Depth=1
	v_or_b32_e32 v6, 0x10000, v8
	v_cmp_eq_u32_sdwa vcc, v8, v103 src0_sel:WORD_0 src1_sel:DWORD
	s_nop 1
	v_cndmask_b32_e32 v6, v6, v8, vcc
; %bb.32:                               ;   in Loop: Header=BB278_14 Depth=1
	s_or_b64 exec, exec, s[22:23]
	v_cvt_f32_i32_e32 v8, v11
	v_mov_b32_e32 v101, v103
	v_lshl_add_u64 v[14:15], v[100:101], 1, s[10:11]
	global_store_short_d16_hi v[14:15], v6, off
	v_add_f32_e32 v6, v10, v8
	s_waitcnt vmcnt(4)
	v_lshlrev_b32_e32 v8, 16, v13
	v_add_f32_e32 v8, v6, v8
	v_and_b32_e32 v6, 0x7f800000, v8
	v_cmp_ne_u32_e32 vcc, s38, v6
                                        ; implicit-def: $vgpr6
	s_and_saveexec_b64 s[22:23], vcc
	s_xor_b64 s[22:23], exec, s[22:23]
; %bb.33:                               ;   in Loop: Header=BB278_14 Depth=1
	v_bfe_u32 v6, v8, 16, 1
	v_add3_u32 v6, v8, v6, s39
                                        ; implicit-def: $vgpr8
; %bb.34:                               ;   in Loop: Header=BB278_14 Depth=1
	s_andn2_saveexec_b64 s[22:23], s[22:23]
; %bb.35:                               ;   in Loop: Header=BB278_14 Depth=1
	v_or_b32_e32 v6, 0x10000, v8
	v_cmp_eq_u32_sdwa vcc, v8, v103 src0_sel:WORD_0 src1_sel:DWORD
	s_nop 1
	v_cndmask_b32_e32 v6, v6, v8, vcc
; %bb.36:                               ;   in Loop: Header=BB278_14 Depth=1
	s_or_b64 exec, exec, s[22:23]
	v_cvt_f32_i32_e32 v7, v7
	v_add_u32_e32 v102, s7, v100
	v_lshl_add_u64 v[10:11], v[102:103], 1, s[10:11]
	global_store_short_d16_hi v[10:11], v6, off
	v_add_f32_e32 v5, v5, v7
	s_waitcnt vmcnt(4)
	v_lshlrev_b32_e32 v6, 16, v12
	v_add_f32_e32 v6, v5, v6
	v_and_b32_e32 v5, 0x7f800000, v6
	v_cmp_ne_u32_e32 vcc, s38, v5
                                        ; implicit-def: $vgpr5
	s_and_saveexec_b64 s[22:23], vcc
	s_xor_b64 s[22:23], exec, s[22:23]
; %bb.37:                               ;   in Loop: Header=BB278_14 Depth=1
	v_bfe_u32 v5, v6, 16, 1
	v_add3_u32 v5, v6, v5, s39
                                        ; implicit-def: $vgpr6
; %bb.38:                               ;   in Loop: Header=BB278_14 Depth=1
	s_andn2_saveexec_b64 s[22:23], s[22:23]
; %bb.39:                               ;   in Loop: Header=BB278_14 Depth=1
	v_or_b32_e32 v5, 0x10000, v6
	v_cmp_eq_u32_sdwa vcc, v6, v103 src0_sel:WORD_0 src1_sel:DWORD
	s_nop 1
	v_cndmask_b32_e32 v5, v5, v6, vcc
; %bb.40:                               ;   in Loop: Header=BB278_14 Depth=1
	s_or_b64 exec, exec, s[22:23]
	v_cvt_f32_i32_e32 v3, v3
	v_add_u32_e32 v102, s7, v102
	v_lshl_add_u64 v[6:7], v[102:103], 1, s[10:11]
	global_store_short_d16_hi v[6:7], v5, off
	v_add_f32_e32 v2, v2, v3
	s_waitcnt vmcnt(4)
	v_lshlrev_b32_e32 v3, 16, v9
	v_add_f32_e32 v3, v2, v3
	v_and_b32_e32 v2, 0x7f800000, v3
	v_cmp_ne_u32_e32 vcc, s38, v2
                                        ; implicit-def: $vgpr2
	s_and_saveexec_b64 s[22:23], vcc
	s_xor_b64 s[22:23], exec, s[22:23]
; %bb.41:                               ;   in Loop: Header=BB278_14 Depth=1
	v_bfe_u32 v2, v3, 16, 1
	v_add3_u32 v2, v3, v2, s39
                                        ; implicit-def: $vgpr3
; %bb.42:                               ;   in Loop: Header=BB278_14 Depth=1
	s_andn2_saveexec_b64 s[22:23], s[22:23]
; %bb.43:                               ;   in Loop: Header=BB278_14 Depth=1
	v_or_b32_e32 v2, 0x10000, v3
	v_cmp_eq_u32_sdwa vcc, v3, v103 src0_sel:WORD_0 src1_sel:DWORD
	s_nop 1
	v_cndmask_b32_e32 v2, v2, v3, vcc
; %bb.44:                               ;   in Loop: Header=BB278_14 Depth=1
	s_or_b64 exec, exec, s[22:23]
	v_cvt_f32_i32_e32 v1, v1
	v_add_u32_e32 v102, s7, v102
	v_lshl_add_u64 v[6:7], v[102:103], 1, s[10:11]
	global_store_short_d16_hi v[6:7], v2, off
	v_add_f32_e32 v0, v0, v1
	s_waitcnt vmcnt(4)
	v_lshlrev_b32_e32 v1, 16, v4
	v_add_f32_e32 v1, v0, v1
	v_and_b32_e32 v0, 0x7f800000, v1
	v_cmp_ne_u32_e32 vcc, s38, v0
                                        ; implicit-def: $vgpr0
	s_and_saveexec_b64 s[22:23], vcc
	s_xor_b64 s[22:23], exec, s[22:23]
; %bb.45:                               ;   in Loop: Header=BB278_14 Depth=1
	v_bfe_u32 v0, v1, 16, 1
	v_add3_u32 v0, v1, v0, s39
                                        ; implicit-def: $vgpr1
; %bb.46:                               ;   in Loop: Header=BB278_14 Depth=1
	s_andn2_saveexec_b64 s[22:23], s[22:23]
	s_cbranch_execz .LBB278_12
; %bb.47:                               ;   in Loop: Header=BB278_14 Depth=1
	v_or_b32_e32 v0, 0x10000, v1
	v_cmp_eq_u32_sdwa vcc, v1, v103 src0_sel:WORD_0 src1_sel:DWORD
	s_nop 1
	v_cndmask_b32_e32 v0, v0, v1, vcc
	s_branch .LBB278_12
.LBB278_48:
	s_endpgm
	.section	.rodata,"a",@progbits
	.p2align	6, 0x0
	.amdhsa_kernel _Z16wvSplitK_hf_sml_I14__hip_bfloat16Li32ELi1ELi16ELi8ELi4ELi5EEviiiiiiPKT_S3_S3_PS1_ii
		.amdhsa_group_segment_fixed_size 65536
		.amdhsa_private_segment_fixed_size 0
		.amdhsa_kernarg_size 64
		.amdhsa_user_sgpr_count 2
		.amdhsa_user_sgpr_dispatch_ptr 0
		.amdhsa_user_sgpr_queue_ptr 0
		.amdhsa_user_sgpr_kernarg_segment_ptr 1
		.amdhsa_user_sgpr_dispatch_id 0
		.amdhsa_user_sgpr_kernarg_preload_length 0
		.amdhsa_user_sgpr_kernarg_preload_offset 0
		.amdhsa_user_sgpr_private_segment_size 0
		.amdhsa_uses_dynamic_stack 0
		.amdhsa_enable_private_segment 0
		.amdhsa_system_sgpr_workgroup_id_x 1
		.amdhsa_system_sgpr_workgroup_id_y 0
		.amdhsa_system_sgpr_workgroup_id_z 0
		.amdhsa_system_sgpr_workgroup_info 0
		.amdhsa_system_vgpr_workitem_id 1
		.amdhsa_next_free_vgpr 131
		.amdhsa_next_free_sgpr 41
		.amdhsa_accum_offset 132
		.amdhsa_reserve_vcc 1
		.amdhsa_float_round_mode_32 0
		.amdhsa_float_round_mode_16_64 0
		.amdhsa_float_denorm_mode_32 3
		.amdhsa_float_denorm_mode_16_64 3
		.amdhsa_dx10_clamp 1
		.amdhsa_ieee_mode 1
		.amdhsa_fp16_overflow 0
		.amdhsa_tg_split 0
		.amdhsa_exception_fp_ieee_invalid_op 0
		.amdhsa_exception_fp_denorm_src 0
		.amdhsa_exception_fp_ieee_div_zero 0
		.amdhsa_exception_fp_ieee_overflow 0
		.amdhsa_exception_fp_ieee_underflow 0
		.amdhsa_exception_fp_ieee_inexact 0
		.amdhsa_exception_int_div_zero 0
	.end_amdhsa_kernel
	.section	.text._Z16wvSplitK_hf_sml_I14__hip_bfloat16Li32ELi1ELi16ELi8ELi4ELi5EEviiiiiiPKT_S3_S3_PS1_ii,"axG",@progbits,_Z16wvSplitK_hf_sml_I14__hip_bfloat16Li32ELi1ELi16ELi8ELi4ELi5EEviiiiiiPKT_S3_S3_PS1_ii,comdat
.Lfunc_end278:
	.size	_Z16wvSplitK_hf_sml_I14__hip_bfloat16Li32ELi1ELi16ELi8ELi4ELi5EEviiiiiiPKT_S3_S3_PS1_ii, .Lfunc_end278-_Z16wvSplitK_hf_sml_I14__hip_bfloat16Li32ELi1ELi16ELi8ELi4ELi5EEviiiiiiPKT_S3_S3_PS1_ii
                                        ; -- End function
	.section	.AMDGPU.csdata,"",@progbits
; Kernel info:
; codeLenInByte = 4084
; NumSgprs: 47
; NumVgprs: 131
; NumAgprs: 0
; TotalNumVgprs: 131
; ScratchSize: 0
; MemoryBound: 0
; FloatMode: 240
; IeeeMode: 1
; LDSByteSize: 65536 bytes/workgroup (compile time only)
; SGPRBlocks: 5
; VGPRBlocks: 16
; NumSGPRsForWavesPerEU: 47
; NumVGPRsForWavesPerEU: 131
; AccumOffset: 132
; Occupancy: 2
; WaveLimiterHint : 0
; COMPUTE_PGM_RSRC2:SCRATCH_EN: 0
; COMPUTE_PGM_RSRC2:USER_SGPR: 2
; COMPUTE_PGM_RSRC2:TRAP_HANDLER: 0
; COMPUTE_PGM_RSRC2:TGID_X_EN: 1
; COMPUTE_PGM_RSRC2:TGID_Y_EN: 0
; COMPUTE_PGM_RSRC2:TGID_Z_EN: 0
; COMPUTE_PGM_RSRC2:TIDIG_COMP_CNT: 1
; COMPUTE_PGM_RSRC3_GFX90A:ACCUM_OFFSET: 32
; COMPUTE_PGM_RSRC3_GFX90A:TG_SPLIT: 0
	.section	.text._Z12wvSplitK_hf_I14__hip_bfloat16Li32ELi1ELi16ELi8ELi4ELi5EEviiiiiiPKT_S3_S3_PS1_ii,"axG",@progbits,_Z12wvSplitK_hf_I14__hip_bfloat16Li32ELi1ELi16ELi8ELi4ELi5EEviiiiiiPKT_S3_S3_PS1_ii,comdat
	.protected	_Z12wvSplitK_hf_I14__hip_bfloat16Li32ELi1ELi16ELi8ELi4ELi5EEviiiiiiPKT_S3_S3_PS1_ii ; -- Begin function _Z12wvSplitK_hf_I14__hip_bfloat16Li32ELi1ELi16ELi8ELi4ELi5EEviiiiiiPKT_S3_S3_PS1_ii
	.globl	_Z12wvSplitK_hf_I14__hip_bfloat16Li32ELi1ELi16ELi8ELi4ELi5EEviiiiiiPKT_S3_S3_PS1_ii
	.p2align	8
	.type	_Z12wvSplitK_hf_I14__hip_bfloat16Li32ELi1ELi16ELi8ELi4ELi5EEviiiiiiPKT_S3_S3_PS1_ii,@function
_Z12wvSplitK_hf_I14__hip_bfloat16Li32ELi1ELi16ELi8ELi4ELi5EEviiiiiiPKT_S3_S3_PS1_ii: ; @_Z12wvSplitK_hf_I14__hip_bfloat16Li32ELi1ELi16ELi8ELi4ELi5EEviiiiiiPKT_S3_S3_PS1_ii
; %bb.0:
	s_load_dwordx2 s[4:5], s[0:1], 0x38
	s_load_dwordx2 s[16:17], s[0:1], 0x20
	s_load_dwordx4 s[8:11], s[0:1], 0x0
	s_load_dwordx2 s[18:19], s[0:1], 0x10
	v_bfe_u32 v5, v0, 10, 10
	s_waitcnt lgkmcnt(0)
	s_mul_i32 s2, s2, s4
	v_add_u32_e32 v116, s2, v5
	v_add_u32_e32 v1, 1, v116
	v_cmp_gt_u32_e32 vcc, s11, v116
	v_cmp_le_u32_e64 s[2:3], s11, v1
	s_and_b64 s[6:7], vcc, s[2:3]
	v_mov_b32_e32 v119, 1
	s_and_saveexec_b64 s[2:3], s[6:7]
; %bb.1:
	v_subrev_u32_e32 v1, s11, v116
	v_cmp_eq_u32_e32 vcc, -1, v1
	s_add_i32 s6, s11, -1
	v_mov_b32_e32 v116, s6
	v_cndmask_b32_e64 v119, 0, 1, vcc
; %bb.2:
	s_or_b64 exec, exec, s[2:3]
	v_and_b32_e32 v4, 0x3ff, v0
	v_lshlrev_b32_e32 v118, 3, v4
	s_mul_i32 s2, s10, 5
	v_lshl_add_u32 v6, v5, 8, v118
	s_min_u32 s6, s2, 0x8000
	v_cmp_gt_u32_e32 vcc, s6, v6
	s_and_saveexec_b64 s[2:3], vcc
	s_cbranch_execz .LBB279_11
; %bb.3:
	v_lshlrev_b32_e32 v0, 1, v6
	global_load_dwordx4 v[8:11], v0, s[16:17]
	v_add_u32_e32 v1, 0x1000, v6
	v_cmp_gt_u32_e32 vcc, s6, v1
	s_waitcnt vmcnt(0)
	ds_write_b128 v0, v[8:11]
	s_and_saveexec_b64 s[12:13], vcc
	s_xor_b64 s[12:13], exec, s[12:13]
	s_cbranch_execz .LBB279_11
; %bb.4:
	v_mov_b32_e32 v1, 0
	v_lshl_add_u64 v[2:3], s[16:17], 0, v[0:1]
	v_add_co_u32_e32 v8, vcc, 0x2000, v2
	v_add_u32_e32 v1, 0x2000, v6
	s_nop 0
	v_addc_co_u32_e32 v9, vcc, 0, v3, vcc
	global_load_dwordx4 v[8:11], v[8:9], off
	v_cmp_gt_u32_e32 vcc, s6, v1
	s_waitcnt vmcnt(0)
	ds_write_b128 v0, v[8:11] offset:8192
	s_and_saveexec_b64 s[12:13], vcc
	s_xor_b64 s[12:13], exec, s[12:13]
	s_cbranch_execz .LBB279_11
; %bb.5:
	v_add_co_u32_e32 v8, vcc, 0x4000, v2
	v_add_u32_e32 v1, 0x3000, v6
	s_nop 0
	v_addc_co_u32_e32 v9, vcc, 0, v3, vcc
	global_load_dwordx4 v[8:11], v[8:9], off
	v_cmp_gt_u32_e32 vcc, s6, v1
	s_waitcnt vmcnt(0)
	ds_write_b128 v0, v[8:11] offset:16384
	s_and_saveexec_b64 s[12:13], vcc
	s_xor_b64 s[12:13], exec, s[12:13]
	s_cbranch_execz .LBB279_11
; %bb.6:
	;; [unrolled: 12-line block ×6, first 2 shown]
	v_add_co_u32_e32 v2, vcc, 0xe000, v2
	s_nop 1
	v_addc_co_u32_e32 v3, vcc, 0, v3, vcc
	global_load_dwordx4 v[6:9], v[2:3], off
	s_waitcnt vmcnt(0)
	ds_write_b128 v0, v[6:9] offset:57344
.LBB279_11:
	s_or_b64 exec, exec, s[2:3]
	v_cmp_gt_u32_e32 vcc, s4, v5
	v_cmp_gt_u32_e64 s[2:3], s11, v116
	s_and_b64 s[2:3], vcc, s[2:3]
	s_waitcnt lgkmcnt(0)
	s_barrier
	s_and_saveexec_b64 s[6:7], s[2:3]
	s_cbranch_execz .LBB279_130
; %bb.12:
	s_load_dwordx4 s[12:15], s[0:1], 0x28
	s_load_dwordx2 s[20:21], s[0:1], 0x18
	s_cmp_lg_u32 s8, 0
	s_cselect_b64 s[2:3], -1, 0
	s_add_i32 s33, s8, -8
	s_add_i32 s38, s11, -1
	s_waitcnt lgkmcnt(0)
	s_cmp_lg_u64 s[12:13], 0
	s_cselect_b64 s[24:25], -1, 0
	s_mul_i32 s39, s5, s4
	s_abs_i32 s4, s19
	v_cvt_f32_u32_e32 v0, s18
	v_cvt_f32_u32_e32 v1, s4
	s_sub_i32 s5, 0, s18
	s_sub_i32 s40, s39, s11
	v_rcp_iflag_f32_e32 v0, v0
	v_rcp_iflag_f32_e32 v1, v1
	s_add_i32 s40, s40, 2
	s_lshl_b32 s41, s10, 1
	v_mul_f32_e32 v0, 0x4f7ffffe, v0
	v_mul_f32_e32 v1, 0x4f7ffffe, v1
	v_cvt_u32_f32_e32 v0, v0
	v_cvt_u32_f32_e32 v1, v1
	s_lshl_b32 s19, s10, 2
	v_cmp_eq_u32_e64 s[0:1], 31, v4
	v_mul_lo_u32 v2, s5, v0
	s_sub_i32 s5, 0, s4
	v_readfirstlane_b32 s6, v1
	s_mul_i32 s5, s5, s6
	s_mul_hi_u32 s5, s6, s5
	s_add_i32 s6, s6, s5
	s_sub_i32 s5, 1, s4
	s_cmp_lt_u32 s4, 2
	s_cselect_b32 s5, s5, 1
	s_sub_i32 s7, s5, s4
	s_cmp_ge_u32 s5, s4
	s_cselect_b32 s42, s7, s5
	s_lshr_b32 s5, s6, 31
	s_mul_i32 s5, s5, s4
	s_sub_i32 s5, 2, s5
	s_sub_i32 s7, s5, s4
	s_cmp_ge_u32 s5, s4
	s_cselect_b32 s5, s7, s5
	s_sub_i32 s7, s5, s4
	s_cmp_ge_u32 s5, s4
	s_cselect_b32 s43, s7, s5
	s_mul_hi_u32 s5, s6, 3
	s_mul_i32 s5, s5, s4
	s_sub_i32 s5, 3, s5
	s_sub_i32 s7, s5, s4
	s_cmp_ge_u32 s5, s4
	s_cselect_b32 s5, s7, s5
	s_sub_i32 s7, s5, s4
	s_cmp_ge_u32 s5, s4
	s_cselect_b32 s44, s7, s5
	s_lshr_b32 s5, s6, 30
	s_mul_i32 s5, s5, s4
	s_sub_i32 s5, 4, s5
	s_sub_i32 s6, s5, s4
	s_cmp_ge_u32 s5, s4
	s_cselect_b32 s5, s6, s5
	s_sub_i32 s6, s5, s4
	v_mul_hi_u32 v2, v0, v2
	s_cmp_ge_u32 s5, s4
	v_add_u32_e32 v138, v0, v2
	s_cselect_b32 s45, s6, s5
	v_mad_u64_u32 v[122:123], s[4:5], s10, 3, v[118:119]
	v_cndmask_b32_e64 v0, 0, 1, s[2:3]
	s_mov_b64 s[22:23], 0
	v_mov_b32_e32 v121, 0
	s_mul_i32 s42, s42, s18
	s_mul_i32 s43, s43, s18
	;; [unrolled: 1-line block ×4, first 2 shown]
	v_lshlrev_b32_e32 v139, 4, v4
	s_lshl_b32 s46, s10, 3
	s_mul_i32 s47, s10, 6
	v_add_u32_e32 v140, s41, v118
	v_add_u32_e32 v123, s19, v118
	;; [unrolled: 1-line block ×3, first 2 shown]
	v_cmp_ne_u32_e64 s[2:3], 1, v0
	s_movk_i32 s10, 0x7fff
	s_mov_b32 s48, 0x7f800000
	s_mov_b32 s26, 0
	s_branch .LBB279_15
.LBB279_13:                             ;   in Loop: Header=BB279_15 Depth=1
	s_or_b64 exec, exec, s[6:7]
	v_add_u32_e32 v120, s11, v120
	v_lshl_add_u64 v[2:3], v[120:121], 1, s[14:15]
	global_store_short_d16_hi v[2:3], v0, off
.LBB279_14:                             ;   in Loop: Header=BB279_15 Depth=1
	s_or_b64 exec, exec, s[4:5]
	v_add_u32_e32 v0, s39, v116
	v_add_u32_e32 v1, 1, v0
	v_cmp_le_u32_e32 vcc, s11, v0
	v_cmp_gt_u32_e64 s[4:5], s11, v1
	v_add_u32_e32 v1, s40, v116
	v_cmp_eq_u32_e64 s[6:7], 1, v1
	v_mov_b32_e32 v1, s38
	s_or_b64 vcc, vcc, s[4:5]
	v_cndmask_b32_e32 v116, v1, v0, vcc
	v_cmp_le_u32_e64 s[4:5], s11, v116
	s_or_b64 vcc, vcc, s[6:7]
	s_or_b64 s[22:23], s[4:5], s[22:23]
	v_cndmask_b32_e32 v119, 0, v119, vcc
	s_andn2_b64 exec, exec, s[22:23]
	s_cbranch_execz .LBB279_130
.LBB279_15:                             ; =>This Loop Header: Depth=1
                                        ;     Child Loop BB279_22 Depth 2
	s_and_b64 vcc, exec, s[2:3]
	v_mov_b32_e32 v3, v121
	v_mov_b32_e32 v2, v121
	;; [unrolled: 1-line block ×7, first 2 shown]
	s_waitcnt vmcnt(0)
	v_mov_b32_e32 v4, v121
	v_mov_b32_e32 v11, v121
	;; [unrolled: 1-line block ×13, first 2 shown]
	s_cbranch_vccnz .LBB279_106
; %bb.16:                               ;   in Loop: Header=BB279_15 Depth=1
	v_min_u32_e32 v0, s38, v116
	v_mul_lo_u32 v120, v0, s9
	v_mov_b32_e32 v16, 0
	v_lshl_add_u64 v[124:125], v[120:121], 1, s[20:21]
	s_mov_b32 s4, 0
	v_mov_b32_e32 v117, v139
	s_mov_b32 s49, 0
	v_mov_b32_e32 v17, v16
	v_mov_b32_e32 v18, v16
	;; [unrolled: 1-line block ×19, first 2 shown]
	s_branch .LBB279_22
.LBB279_17:                             ;   in Loop: Header=BB279_22 Depth=2
	s_or_b64 exec, exec, s[36:37]
.LBB279_18:                             ;   in Loop: Header=BB279_22 Depth=2
	s_or_b64 exec, exec, s[34:35]
.LBB279_19:                             ;   in Loop: Header=BB279_22 Depth=2
	s_or_b64 exec, exec, s[30:31]
.LBB279_20:                             ;   in Loop: Header=BB279_22 Depth=2
	s_or_b64 exec, exec, s[28:29]
.LBB279_21:                             ;   in Loop: Header=BB279_22 Depth=2
	s_or_b64 exec, exec, s[6:7]
	s_waitcnt vmcnt(0) lgkmcnt(0)
	v_mfma_f32_4x4x4_16b_bf16 v[16:19], v[36:37], v[28:29], v[16:19]
	s_addk_i32 s49, 0x400
	v_mfma_f32_4x4x4_16b_bf16 v[12:15], v[40:41], v[28:29], v[12:15]
	v_add_u32_e32 v117, 0x800, v117
	v_mfma_f32_4x4x4_16b_bf16 v[8:11], v[44:45], v[28:29], v[8:11]
	s_cmp_ge_u32 s49, s8
	v_mfma_f32_4x4x4_16b_bf16 v[4:7], v[48:49], v[28:29], v[4:7]
	v_mfma_f32_4x4x4_16b_bf16 v[0:3], v[52:53], v[28:29], v[0:3]
	;; [unrolled: 1-line block ×37, first 2 shown]
	s_cbranch_scc1 .LBB279_106
.LBB279_22:                             ;   Parent Loop BB279_15 Depth=1
                                        ; =>  This Inner Loop Header: Depth=2
	v_add_u32_e32 v128, s49, v118
	v_min_u32_e32 v120, s33, v128
	v_add_u32_e32 v136, 0x100, v128
	v_lshl_add_u64 v[20:21], v[120:121], 1, v[124:125]
	v_min_u32_e32 v120, s33, v136
	v_add_u32_e32 v134, 0x200, v128
	v_lshl_add_u64 v[22:23], v[120:121], 1, v[124:125]
	;; [unrolled: 3-line block ×3, first 2 shown]
	v_min_u32_e32 v120, s33, v126
	global_load_dwordx4 v[28:31], v[20:21], off nt
	global_load_dwordx4 v[24:27], v[22:23], off nt
	v_lshl_add_u64 v[38:39], v[120:121], 1, v[124:125]
	global_load_dwordx4 v[32:35], v[36:37], off nt
	global_load_dwordx4 v[20:23], v[38:39], off nt
	s_mov_b32 s5, s4
	v_cmp_gt_u32_e32 vcc, s8, v128
	v_mov_b64_e32 v[36:37], s[4:5]
	v_mov_b32_e32 v105, 0
	v_mov_b32_e32 v104, 0
	v_mov_b32_e32 v107, 0
	v_mov_b32_e32 v106, 0
	v_mov_b64_e32 v[38:39], s[4:5]
	v_mov_b64_e32 v[56:57], s[4:5]
	;; [unrolled: 1-line block ×37, first 2 shown]
	s_and_saveexec_b64 s[6:7], vcc
	s_cbranch_execz .LBB279_21
; %bb.23:                               ;   in Loop: Header=BB279_22 Depth=2
	v_cmp_lt_u32_e32 vcc, s10, v128
                                        ; implicit-def: $vgpr36_vgpr37
	s_and_saveexec_b64 s[28:29], vcc
	s_xor_b64 s[28:29], exec, s[28:29]
	s_cbranch_execz .LBB279_25
; %bb.24:                               ;   in Loop: Header=BB279_22 Depth=2
	v_mov_b32_e32 v129, v121
	v_lshl_add_u64 v[36:37], v[128:129], 1, s[16:17]
	global_load_dwordx4 v[36:39], v[36:37], off
.LBB279_25:                             ;   in Loop: Header=BB279_22 Depth=2
	s_andn2_saveexec_b64 s[28:29], s[28:29]
	s_cbranch_execz .LBB279_27
; %bb.26:                               ;   in Loop: Header=BB279_22 Depth=2
	s_waitcnt vmcnt(0)
	ds_read_b128 v[36:39], v117
.LBB279_27:                             ;   in Loop: Header=BB279_22 Depth=2
	s_or_b64 exec, exec, s[28:29]
	v_add_u32_e32 v120, s49, v141
	v_cmp_lt_u32_e32 vcc, s10, v120
                                        ; implicit-def: $vgpr40_vgpr41
	s_and_saveexec_b64 s[28:29], vcc
	s_xor_b64 s[28:29], exec, s[28:29]
	s_cbranch_execz .LBB279_29
; %bb.28:                               ;   in Loop: Header=BB279_22 Depth=2
	v_lshl_add_u64 v[40:41], v[120:121], 1, s[16:17]
	global_load_dwordx4 v[40:43], v[40:41], off
.LBB279_29:                             ;   in Loop: Header=BB279_22 Depth=2
	s_andn2_saveexec_b64 s[28:29], s[28:29]
	s_cbranch_execz .LBB279_31
; %bb.30:                               ;   in Loop: Header=BB279_22 Depth=2
	s_waitcnt vmcnt(0)
	v_add_u32_e32 v40, s41, v117
	ds_read_b128 v[40:43], v40
.LBB279_31:                             ;   in Loop: Header=BB279_22 Depth=2
	s_or_b64 exec, exec, s[28:29]
	v_add_u32_e32 v132, s49, v140
	v_cmp_lt_u32_e32 vcc, s10, v132
                                        ; implicit-def: $vgpr44_vgpr45
	s_and_saveexec_b64 s[28:29], vcc
	s_xor_b64 s[28:29], exec, s[28:29]
	s_cbranch_execz .LBB279_33
; %bb.32:                               ;   in Loop: Header=BB279_22 Depth=2
	v_mov_b32_e32 v133, v121
	v_lshl_add_u64 v[44:45], v[132:133], 1, s[16:17]
	global_load_dwordx4 v[44:47], v[44:45], off
.LBB279_33:                             ;   in Loop: Header=BB279_22 Depth=2
	s_andn2_saveexec_b64 s[28:29], s[28:29]
	s_cbranch_execz .LBB279_35
; %bb.34:                               ;   in Loop: Header=BB279_22 Depth=2
	s_waitcnt vmcnt(0)
	v_add_u32_e32 v46, s19, v117
	ds_read2_b32 v[44:45], v46 offset1:1
	ds_read2_b32 v[46:47], v46 offset0:2 offset1:3
.LBB279_35:                             ;   in Loop: Header=BB279_22 Depth=2
	s_or_b64 exec, exec, s[28:29]
	v_add_u32_e32 v130, s49, v122
	v_cmp_lt_u32_e32 vcc, s10, v130
                                        ; implicit-def: $vgpr48_vgpr49
	s_and_saveexec_b64 s[28:29], vcc
	s_xor_b64 s[28:29], exec, s[28:29]
	s_cbranch_execz .LBB279_37
; %bb.36:                               ;   in Loop: Header=BB279_22 Depth=2
	v_mov_b32_e32 v131, v121
	v_lshl_add_u64 v[48:49], v[130:131], 1, s[16:17]
	global_load_dwordx4 v[48:51], v[48:49], off
.LBB279_37:                             ;   in Loop: Header=BB279_22 Depth=2
	s_andn2_saveexec_b64 s[28:29], s[28:29]
	s_cbranch_execz .LBB279_39
; %bb.38:                               ;   in Loop: Header=BB279_22 Depth=2
	s_waitcnt vmcnt(0)
	v_add_u32_e32 v48, s47, v117
	ds_read_b128 v[48:51], v48
.LBB279_39:                             ;   in Loop: Header=BB279_22 Depth=2
	s_or_b64 exec, exec, s[28:29]
	v_add_u32_e32 v128, s49, v123
	v_cmp_lt_u32_e32 vcc, s10, v128
                                        ; implicit-def: $vgpr52_vgpr53
	s_and_saveexec_b64 s[28:29], vcc
	s_xor_b64 s[28:29], exec, s[28:29]
	s_cbranch_execz .LBB279_41
; %bb.40:                               ;   in Loop: Header=BB279_22 Depth=2
	v_mov_b32_e32 v129, v121
	v_lshl_add_u64 v[52:53], v[128:129], 1, s[16:17]
	global_load_dwordx4 v[52:55], v[52:53], off
.LBB279_41:                             ;   in Loop: Header=BB279_22 Depth=2
	s_andn2_saveexec_b64 s[28:29], s[28:29]
	s_cbranch_execz .LBB279_43
; %bb.42:                               ;   in Loop: Header=BB279_22 Depth=2
	s_waitcnt vmcnt(0)
	v_add_u32_e32 v52, s46, v117
	ds_read2_b64 v[52:55], v52 offset1:1
.LBB279_43:                             ;   in Loop: Header=BB279_22 Depth=2
	s_or_b64 exec, exec, s[28:29]
	s_mov_b32 s27, s26
	v_cmp_gt_u32_e32 vcc, s8, v136
	v_mov_b32_e32 v105, 0
	v_mov_b64_e32 v[56:57], s[26:27]
	v_mov_b32_e32 v104, 0
	v_mov_b32_e32 v107, 0
	;; [unrolled: 1-line block ×3, first 2 shown]
	v_mov_b64_e32 v[58:59], s[26:27]
	v_mov_b64_e32 v[76:77], s[26:27]
	;; [unrolled: 1-line block ×27, first 2 shown]
	s_and_saveexec_b64 s[28:29], vcc
	s_cbranch_execz .LBB279_20
; %bb.44:                               ;   in Loop: Header=BB279_22 Depth=2
	v_cmp_lt_u32_e32 vcc, s10, v136
                                        ; implicit-def: $vgpr56_vgpr57
	s_and_saveexec_b64 s[30:31], vcc
	s_xor_b64 s[30:31], exec, s[30:31]
	s_cbranch_execz .LBB279_46
; %bb.45:                               ;   in Loop: Header=BB279_22 Depth=2
	v_mov_b32_e32 v137, v121
	v_lshl_add_u64 v[56:57], v[136:137], 1, s[16:17]
	global_load_dwordx4 v[56:59], v[56:57], off
.LBB279_46:                             ;   in Loop: Header=BB279_22 Depth=2
	s_andn2_saveexec_b64 s[30:31], s[30:31]
	s_cbranch_execz .LBB279_48
; %bb.47:                               ;   in Loop: Header=BB279_22 Depth=2
	s_waitcnt vmcnt(0)
	ds_read_b128 v[56:59], v117 offset:512
.LBB279_48:                             ;   in Loop: Header=BB279_22 Depth=2
	s_or_b64 exec, exec, s[30:31]
	v_add_u32_e32 v62, 0x100, v120
	v_cmp_lt_u32_e32 vcc, s10, v62
                                        ; implicit-def: $vgpr60_vgpr61
	s_and_saveexec_b64 s[30:31], vcc
	s_xor_b64 s[30:31], exec, s[30:31]
	s_cbranch_execz .LBB279_50
; %bb.49:                               ;   in Loop: Header=BB279_22 Depth=2
	v_mov_b32_e32 v63, v121
	v_lshl_add_u64 v[60:61], v[62:63], 1, s[16:17]
	global_load_dwordx4 v[60:63], v[60:61], off
.LBB279_50:                             ;   in Loop: Header=BB279_22 Depth=2
	s_andn2_saveexec_b64 s[30:31], s[30:31]
	s_cbranch_execz .LBB279_52
; %bb.51:                               ;   in Loop: Header=BB279_22 Depth=2
	s_waitcnt vmcnt(0)
	v_add_u32_e32 v60, s41, v117
	ds_read_b128 v[60:63], v60 offset:512
.LBB279_52:                             ;   in Loop: Header=BB279_22 Depth=2
	s_or_b64 exec, exec, s[30:31]
	v_add_u32_e32 v66, 0x100, v132
	v_cmp_lt_u32_e32 vcc, s10, v66
                                        ; implicit-def: $vgpr64_vgpr65
	s_and_saveexec_b64 s[30:31], vcc
	s_xor_b64 s[30:31], exec, s[30:31]
	s_cbranch_execz .LBB279_54
; %bb.53:                               ;   in Loop: Header=BB279_22 Depth=2
	v_mov_b32_e32 v67, v121
	v_lshl_add_u64 v[64:65], v[66:67], 1, s[16:17]
	global_load_dwordx4 v[64:67], v[64:65], off
.LBB279_54:                             ;   in Loop: Header=BB279_22 Depth=2
	s_andn2_saveexec_b64 s[30:31], s[30:31]
	s_cbranch_execz .LBB279_56
; %bb.55:                               ;   in Loop: Header=BB279_22 Depth=2
	s_waitcnt vmcnt(0)
	v_add_u32_e32 v66, s19, v117
	ds_read2_b32 v[64:65], v66 offset0:128 offset1:129
	ds_read2_b32 v[66:67], v66 offset0:130 offset1:131
.LBB279_56:                             ;   in Loop: Header=BB279_22 Depth=2
	s_or_b64 exec, exec, s[30:31]
	v_add_u32_e32 v70, 0x100, v130
	v_cmp_lt_u32_e32 vcc, s10, v70
                                        ; implicit-def: $vgpr68_vgpr69
	s_and_saveexec_b64 s[30:31], vcc
	s_xor_b64 s[30:31], exec, s[30:31]
	s_cbranch_execz .LBB279_58
; %bb.57:                               ;   in Loop: Header=BB279_22 Depth=2
	v_mov_b32_e32 v71, v121
	v_lshl_add_u64 v[68:69], v[70:71], 1, s[16:17]
	global_load_dwordx4 v[68:71], v[68:69], off
.LBB279_58:                             ;   in Loop: Header=BB279_22 Depth=2
	s_andn2_saveexec_b64 s[30:31], s[30:31]
	s_cbranch_execz .LBB279_60
; %bb.59:                               ;   in Loop: Header=BB279_22 Depth=2
	s_waitcnt vmcnt(0)
	v_add_u32_e32 v68, s47, v117
	ds_read_b128 v[68:71], v68 offset:512
.LBB279_60:                             ;   in Loop: Header=BB279_22 Depth=2
	s_or_b64 exec, exec, s[30:31]
	v_add_u32_e32 v74, 0x100, v128
	v_cmp_lt_u32_e32 vcc, s10, v74
                                        ; implicit-def: $vgpr72_vgpr73
	s_and_saveexec_b64 s[30:31], vcc
	s_xor_b64 s[30:31], exec, s[30:31]
	s_cbranch_execz .LBB279_62
; %bb.61:                               ;   in Loop: Header=BB279_22 Depth=2
	v_mov_b32_e32 v75, v121
	v_lshl_add_u64 v[72:73], v[74:75], 1, s[16:17]
	global_load_dwordx4 v[72:75], v[72:73], off
.LBB279_62:                             ;   in Loop: Header=BB279_22 Depth=2
	s_andn2_saveexec_b64 s[30:31], s[30:31]
	s_cbranch_execz .LBB279_64
; %bb.63:                               ;   in Loop: Header=BB279_22 Depth=2
	s_waitcnt vmcnt(0)
	v_add_u32_e32 v72, s46, v117
	ds_read2_b64 v[72:75], v72 offset0:64 offset1:65
.LBB279_64:                             ;   in Loop: Header=BB279_22 Depth=2
	s_or_b64 exec, exec, s[30:31]
	s_mov_b32 s27, s26
	v_cmp_gt_u32_e32 vcc, s8, v134
	v_mov_b32_e32 v105, 0
	v_mov_b64_e32 v[76:77], s[26:27]
	v_mov_b32_e32 v104, 0
	v_mov_b32_e32 v107, 0
	;; [unrolled: 1-line block ×3, first 2 shown]
	v_mov_b64_e32 v[78:79], s[26:27]
	v_mov_b64_e32 v[92:93], s[26:27]
	;; [unrolled: 1-line block ×17, first 2 shown]
	s_and_saveexec_b64 s[30:31], vcc
	s_cbranch_execz .LBB279_19
; %bb.65:                               ;   in Loop: Header=BB279_22 Depth=2
	v_cmp_lt_u32_e32 vcc, s10, v134
                                        ; implicit-def: $vgpr76_vgpr77
	s_and_saveexec_b64 s[34:35], vcc
	s_xor_b64 s[34:35], exec, s[34:35]
	s_cbranch_execz .LBB279_67
; %bb.66:                               ;   in Loop: Header=BB279_22 Depth=2
	v_mov_b32_e32 v135, v121
	v_lshl_add_u64 v[76:77], v[134:135], 1, s[16:17]
	global_load_dwordx4 v[76:79], v[76:77], off
.LBB279_67:                             ;   in Loop: Header=BB279_22 Depth=2
	s_andn2_saveexec_b64 s[34:35], s[34:35]
	s_cbranch_execz .LBB279_69
; %bb.68:                               ;   in Loop: Header=BB279_22 Depth=2
	s_waitcnt vmcnt(0)
	ds_read_b128 v[76:79], v117 offset:1024
.LBB279_69:                             ;   in Loop: Header=BB279_22 Depth=2
	s_or_b64 exec, exec, s[34:35]
	v_add_u32_e32 v82, 0x200, v120
	v_cmp_lt_u32_e32 vcc, s10, v82
                                        ; implicit-def: $vgpr80_vgpr81
	s_and_saveexec_b64 s[34:35], vcc
	s_xor_b64 s[34:35], exec, s[34:35]
	s_cbranch_execz .LBB279_71
; %bb.70:                               ;   in Loop: Header=BB279_22 Depth=2
	v_mov_b32_e32 v83, v121
	v_lshl_add_u64 v[80:81], v[82:83], 1, s[16:17]
	global_load_dwordx4 v[80:83], v[80:81], off
.LBB279_71:                             ;   in Loop: Header=BB279_22 Depth=2
	s_andn2_saveexec_b64 s[34:35], s[34:35]
	s_cbranch_execz .LBB279_73
; %bb.72:                               ;   in Loop: Header=BB279_22 Depth=2
	s_waitcnt vmcnt(0)
	v_add_u32_e32 v80, s41, v117
	ds_read_b128 v[80:83], v80 offset:1024
.LBB279_73:                             ;   in Loop: Header=BB279_22 Depth=2
	s_or_b64 exec, exec, s[34:35]
	v_add_u32_e32 v86, 0x200, v132
	v_cmp_lt_u32_e32 vcc, s10, v86
                                        ; implicit-def: $vgpr84_vgpr85
	s_and_saveexec_b64 s[34:35], vcc
	s_xor_b64 s[34:35], exec, s[34:35]
	s_cbranch_execz .LBB279_75
; %bb.74:                               ;   in Loop: Header=BB279_22 Depth=2
	v_mov_b32_e32 v87, v121
	v_lshl_add_u64 v[84:85], v[86:87], 1, s[16:17]
	global_load_dwordx4 v[84:87], v[84:85], off
.LBB279_75:                             ;   in Loop: Header=BB279_22 Depth=2
	s_andn2_saveexec_b64 s[34:35], s[34:35]
	s_cbranch_execz .LBB279_77
; %bb.76:                               ;   in Loop: Header=BB279_22 Depth=2
	s_waitcnt vmcnt(0)
	v_add_u32_e32 v84, s19, v117
	v_add_u32_e32 v85, 0x400, v84
	;; [unrolled: 1-line block ×3, first 2 shown]
	ds_read2_b32 v[84:85], v85 offset1:1
	ds_read2_b32 v[86:87], v86 offset1:1
.LBB279_77:                             ;   in Loop: Header=BB279_22 Depth=2
	s_or_b64 exec, exec, s[34:35]
	v_add_u32_e32 v90, 0x200, v130
	v_cmp_lt_u32_e32 vcc, s10, v90
                                        ; implicit-def: $vgpr88_vgpr89
	s_and_saveexec_b64 s[34:35], vcc
	s_xor_b64 s[34:35], exec, s[34:35]
	s_cbranch_execz .LBB279_79
; %bb.78:                               ;   in Loop: Header=BB279_22 Depth=2
	v_mov_b32_e32 v91, v121
	v_lshl_add_u64 v[88:89], v[90:91], 1, s[16:17]
	global_load_dwordx4 v[88:91], v[88:89], off
.LBB279_79:                             ;   in Loop: Header=BB279_22 Depth=2
	s_andn2_saveexec_b64 s[34:35], s[34:35]
	s_cbranch_execz .LBB279_81
; %bb.80:                               ;   in Loop: Header=BB279_22 Depth=2
	s_waitcnt vmcnt(0)
	v_add_u32_e32 v88, s47, v117
	ds_read_b128 v[88:91], v88 offset:1024
.LBB279_81:                             ;   in Loop: Header=BB279_22 Depth=2
	s_or_b64 exec, exec, s[34:35]
	v_add_u32_e32 v92, 0x200, v128
	v_cmp_lt_u32_e32 vcc, s10, v92
                                        ; implicit-def: $vgpr96_vgpr97
	s_and_saveexec_b64 s[34:35], vcc
	s_xor_b64 s[34:35], exec, s[34:35]
	s_cbranch_execz .LBB279_83
; %bb.82:                               ;   in Loop: Header=BB279_22 Depth=2
	v_mov_b32_e32 v93, v121
	v_lshl_add_u64 v[92:93], v[92:93], 1, s[16:17]
	global_load_dwordx4 v[96:99], v[92:93], off
.LBB279_83:                             ;   in Loop: Header=BB279_22 Depth=2
	s_andn2_saveexec_b64 s[34:35], s[34:35]
	s_cbranch_execz .LBB279_85
; %bb.84:                               ;   in Loop: Header=BB279_22 Depth=2
	v_add_u32_e32 v92, s46, v117
	s_waitcnt vmcnt(0)
	ds_read2_b64 v[96:99], v92 offset0:128 offset1:129
.LBB279_85:                             ;   in Loop: Header=BB279_22 Depth=2
	s_or_b64 exec, exec, s[34:35]
	s_mov_b32 s27, s26
	v_cmp_gt_u32_e32 vcc, s8, v126
	v_mov_b32_e32 v105, 0
	v_mov_b64_e32 v[92:93], s[26:27]
	v_mov_b32_e32 v104, 0
	v_mov_b32_e32 v107, 0
	;; [unrolled: 1-line block ×3, first 2 shown]
	v_mov_b64_e32 v[94:95], s[26:27]
	v_mov_b64_e32 v[100:101], s[26:27]
	;; [unrolled: 1-line block ×7, first 2 shown]
	s_and_saveexec_b64 s[34:35], vcc
	s_cbranch_execz .LBB279_18
; %bb.86:                               ;   in Loop: Header=BB279_22 Depth=2
	v_cmp_lt_u32_e32 vcc, s10, v126
                                        ; implicit-def: $vgpr92_vgpr93
	s_and_saveexec_b64 s[36:37], vcc
	s_xor_b64 s[36:37], exec, s[36:37]
	s_cbranch_execz .LBB279_88
; %bb.87:                               ;   in Loop: Header=BB279_22 Depth=2
	v_mov_b32_e32 v127, v121
	v_lshl_add_u64 v[92:93], v[126:127], 1, s[16:17]
	global_load_dwordx4 v[92:95], v[92:93], off
.LBB279_88:                             ;   in Loop: Header=BB279_22 Depth=2
	s_andn2_saveexec_b64 s[36:37], s[36:37]
	s_cbranch_execz .LBB279_90
; %bb.89:                               ;   in Loop: Header=BB279_22 Depth=2
	s_waitcnt vmcnt(0)
	ds_read_b128 v[92:95], v117 offset:1536
.LBB279_90:                             ;   in Loop: Header=BB279_22 Depth=2
	s_or_b64 exec, exec, s[36:37]
	v_add_u32_e32 v120, 0x300, v120
	v_cmp_lt_u32_e32 vcc, s10, v120
                                        ; implicit-def: $vgpr100_vgpr101
	s_and_saveexec_b64 s[36:37], vcc
	s_xor_b64 s[36:37], exec, s[36:37]
	s_cbranch_execz .LBB279_92
; %bb.91:                               ;   in Loop: Header=BB279_22 Depth=2
	v_lshl_add_u64 v[100:101], v[120:121], 1, s[16:17]
	global_load_dwordx4 v[100:103], v[100:101], off
.LBB279_92:                             ;   in Loop: Header=BB279_22 Depth=2
	s_andn2_saveexec_b64 s[36:37], s[36:37]
	s_cbranch_execz .LBB279_94
; %bb.93:                               ;   in Loop: Header=BB279_22 Depth=2
	s_waitcnt vmcnt(0)
	v_add_u32_e32 v100, s41, v117
	ds_read_b128 v[100:103], v100 offset:1536
.LBB279_94:                             ;   in Loop: Header=BB279_22 Depth=2
	s_or_b64 exec, exec, s[36:37]
	v_add_u32_e32 v120, 0x300, v132
	v_cmp_lt_u32_e32 vcc, s10, v120
                                        ; implicit-def: $vgpr108_vgpr109
	s_and_saveexec_b64 s[36:37], vcc
	s_xor_b64 s[36:37], exec, s[36:37]
	s_cbranch_execz .LBB279_96
; %bb.95:                               ;   in Loop: Header=BB279_22 Depth=2
	v_lshl_add_u64 v[104:105], v[120:121], 1, s[16:17]
	global_load_dwordx4 v[108:111], v[104:105], off
.LBB279_96:                             ;   in Loop: Header=BB279_22 Depth=2
	s_andn2_saveexec_b64 s[36:37], s[36:37]
	s_cbranch_execz .LBB279_98
; %bb.97:                               ;   in Loop: Header=BB279_22 Depth=2
	v_add_u32_e32 v104, s19, v117
	v_add_u32_e32 v105, 0x600, v104
	;; [unrolled: 1-line block ×3, first 2 shown]
	s_waitcnt vmcnt(0)
	ds_read2_b32 v[108:109], v105 offset1:1
	ds_read2_b32 v[110:111], v104 offset1:1
.LBB279_98:                             ;   in Loop: Header=BB279_22 Depth=2
	s_or_b64 exec, exec, s[36:37]
	v_add_u32_e32 v120, 0x300, v130
	v_cmp_lt_u32_e32 vcc, s10, v120
                                        ; implicit-def: $vgpr112_vgpr113
	s_and_saveexec_b64 s[36:37], vcc
	s_xor_b64 s[36:37], exec, s[36:37]
	s_cbranch_execz .LBB279_100
; %bb.99:                               ;   in Loop: Header=BB279_22 Depth=2
	v_lshl_add_u64 v[104:105], v[120:121], 1, s[16:17]
	global_load_dwordx4 v[112:115], v[104:105], off
.LBB279_100:                            ;   in Loop: Header=BB279_22 Depth=2
	s_andn2_saveexec_b64 s[36:37], s[36:37]
	s_cbranch_execz .LBB279_102
; %bb.101:                              ;   in Loop: Header=BB279_22 Depth=2
	v_add_u32_e32 v104, s47, v117
	s_waitcnt vmcnt(0)
	ds_read_b128 v[112:115], v104 offset:1536
.LBB279_102:                            ;   in Loop: Header=BB279_22 Depth=2
	s_or_b64 exec, exec, s[36:37]
	v_add_u32_e32 v120, 0x300, v128
	v_cmp_lt_u32_e32 vcc, s10, v120
                                        ; implicit-def: $vgpr105
	s_and_saveexec_b64 s[36:37], vcc
	s_xor_b64 s[36:37], exec, s[36:37]
	s_cbranch_execz .LBB279_104
; %bb.103:                              ;   in Loop: Header=BB279_22 Depth=2
	v_lshl_add_u64 v[104:105], v[120:121], 1, s[16:17]
	global_load_dwordx4 v[104:107], v[104:105], off
.LBB279_104:                            ;   in Loop: Header=BB279_22 Depth=2
	s_andn2_saveexec_b64 s[36:37], s[36:37]
	s_cbranch_execz .LBB279_17
; %bb.105:                              ;   in Loop: Header=BB279_22 Depth=2
	s_waitcnt vmcnt(0)
	v_add_u32_e32 v104, s46, v117
	ds_read2_b64 v[104:107], v104 offset0:192 offset1:193
	s_branch .LBB279_17
.LBB279_106:                            ;   in Loop: Header=BB279_15 Depth=1
	s_nop 1
	v_cvt_i32_f32_e32 v9, v9
	v_cvt_i32_f32_e32 v10, v10
	;; [unrolled: 1-line block ×6, first 2 shown]
	v_cvt_f32_i32_dpp v9, v9 row_shl:1 row_mask:0xf bank_mask:0xf bound_ctrl:1
	v_cvt_f32_i32_dpp v10, v10 row_shl:2 row_mask:0xf bank_mask:0xf bound_ctrl:1
	v_cvt_i32_f32_e32 v17, v17
	v_cvt_f32_i32_dpp v13, v13 row_shl:1 row_mask:0xf bank_mask:0xf bound_ctrl:1
	v_cvt_f32_i32_dpp v11, v11 row_shl:3 row_mask:0xf bank_mask:0xf bound_ctrl:1
	v_cvt_i32_f32_e32 v18, v18
	v_cvt_f32_i32_dpp v14, v14 row_shl:2 row_mask:0xf bank_mask:0xf bound_ctrl:1
	v_cvt_f32_i32_dpp v15, v15 row_shl:3 row_mask:0xf bank_mask:0xf bound_ctrl:1
	v_add_f32_e32 v8, v8, v9
	v_add_f32_e32 v8, v8, v10
	v_cvt_f32_i32_dpp v17, v17 row_shl:1 row_mask:0xf bank_mask:0xf bound_ctrl:1
	v_add_f32_e32 v12, v12, v13
	v_add_f32_e32 v8, v8, v11
	v_cvt_f32_i32_dpp v18, v18 row_shl:2 row_mask:0xf bank_mask:0xf bound_ctrl:1
	v_add_f32_e32 v12, v12, v14
	v_cvt_i32_f32_e32 v11, v8
	v_cvt_i32_f32_e32 v5, v5
	v_add_f32_e32 v12, v12, v15
	v_cvt_i32_f32_e32 v13, v12
	v_add_f32_e32 v16, v16, v17
	;; [unrolled: 2-line block ×3, first 2 shown]
	v_cvt_i32_f32_e32 v18, v6
	v_cvt_f32_i32_dpp v11, v11 row_shl:4 row_mask:0xf bank_mask:0xf bound_ctrl:1
	v_cvt_i32_f32_e32 v2, v2
	v_cvt_i32_f32_e32 v19, v19
	v_cvt_f32_i32_dpp v5, v5 row_shl:1 row_mask:0xf bank_mask:0xf bound_ctrl:1
	v_cvt_i32_f32_e32 v7, v7
	v_cvt_i32_f32_e32 v3, v3
	v_cvt_f32_i32_dpp v13, v13 row_shl:4 row_mask:0xf bank_mask:0xf bound_ctrl:1
	v_cvt_f32_i32_dpp v1, v1 row_shl:1 row_mask:0xf bank_mask:0xf bound_ctrl:1
	v_add_f32_e32 v8, v8, v11
	v_cvt_f32_i32_dpp v11, v18 row_shl:2 row_mask:0xf bank_mask:0xf bound_ctrl:1
	v_cvt_f32_i32_dpp v2, v2 row_shl:2 row_mask:0xf bank_mask:0xf bound_ctrl:1
	;; [unrolled: 1-line block ×3, first 2 shown]
	v_add_f32_e32 v4, v4, v5
	v_cvt_f32_i32_dpp v5, v7 row_shl:3 row_mask:0xf bank_mask:0xf bound_ctrl:1
	v_cvt_f32_i32_dpp v3, v3 row_shl:3 row_mask:0xf bank_mask:0xf bound_ctrl:1
	v_add_f32_e32 v10, v12, v13
	v_cvt_i32_f32_e32 v12, v10
	v_add_f32_e32 v0, v0, v1
	v_add_f32_e32 v4, v4, v11
	;; [unrolled: 1-line block ×6, first 2 shown]
	v_cvt_i32_f32_e32 v17, v16
	v_cvt_i32_f32_e32 v5, v4
	;; [unrolled: 1-line block ×3, first 2 shown]
	v_cvt_f32_i32_dpp v12, v12 row_shl:8 row_mask:0xf bank_mask:0xf bound_ctrl:1
	v_cvt_f32_i32_dpp v17, v17 row_shl:4 row_mask:0xf bank_mask:0xf bound_ctrl:1
	;; [unrolled: 1-line block ×4, first 2 shown]
	v_add_f32_e32 v10, v10, v12
	v_cvt_i32_f32_e32 v12, v8
	v_add_f32_e32 v6, v16, v17
	v_add_f32_e32 v3, v4, v3
	;; [unrolled: 1-line block ×3, first 2 shown]
	v_cvt_i32_f32_e32 v16, v6
	v_cvt_f32_i32_dpp v2, v12 row_shl:8 row_mask:0xf bank_mask:0xf bound_ctrl:1
	v_cvt_i32_f32_e32 v4, v3
	v_cvt_i32_f32_e32 v1, v0
	;; [unrolled: 1-line block ×3, first 2 shown]
	v_cvt_f32_i32_dpp v16, v16 row_shl:8 row_mask:0xf bank_mask:0xf bound_ctrl:1
	v_add_f32_e32 v2, v8, v2
	v_cvt_f32_i32_dpp v4, v4 row_shl:8 row_mask:0xf bank_mask:0xf bound_ctrl:1
	v_cvt_f32_i32_dpp v1, v1 row_shl:8 row_mask:0xf bank_mask:0xf bound_ctrl:1
	v_cvt_f32_i32_dpp v5, v10 row_shr:15 row_mask:0xf bank_mask:0xf bound_ctrl:1
	v_cvt_i32_f32_e32 v2, v2
	v_add_f32_e32 v6, v6, v16
	v_add_f32_e32 v3, v3, v4
	;; [unrolled: 1-line block ×3, first 2 shown]
	v_cvt_i32_f32_e32 v6, v6
	v_cvt_i32_f32_e32 v7, v5
	v_cvt_f32_i32_dpp v2, v2 row_shr:15 row_mask:0xf bank_mask:0xf bound_ctrl:1
	v_cvt_i32_f32_e32 v3, v3
	v_cvt_i32_f32_e32 v0, v0
	v_cvt_f32_i32_dpp v6, v6 row_shr:15 row_mask:0xf bank_mask:0xf bound_ctrl:1
	v_cvt_f32_i32_dpp v1, v7 row_bcast:15 row_mask:0xf bank_mask:0xf bound_ctrl:1
	v_cvt_f32_i32_dpp v3, v3 row_shr:15 row_mask:0xf bank_mask:0xf bound_ctrl:1
	v_cvt_i32_f32_e32 v4, v2
	v_cvt_f32_i32_dpp v0, v0 row_shr:15 row_mask:0xf bank_mask:0xf bound_ctrl:1
	v_cvt_i32_f32_e32 v9, v6
	v_add_f32_e32 v10, v5, v1
	v_cvt_i32_f32_e32 v1, v3
	v_cvt_f32_i32_dpp v4, v4 row_bcast:15 row_mask:0xf bank_mask:0xf bound_ctrl:1
	v_cvt_i32_f32_e32 v7, v0
	v_cvt_f32_i32_dpp v9, v9 row_bcast:15 row_mask:0xf bank_mask:0xf bound_ctrl:1
	v_cvt_f32_i32_dpp v1, v1 row_bcast:15 row_mask:0xf bank_mask:0xf bound_ctrl:1
	v_add_f32_e32 v5, v2, v4
	v_cvt_f32_i32_dpp v4, v7 row_bcast:15 row_mask:0xf bank_mask:0xf bound_ctrl:1
	v_add_f32_e32 v6, v6, v9
	v_add_f32_e32 v2, v3, v1
	v_cvt_i32_f32_e32 v9, v6
	v_add_f32_e32 v0, v0, v4
	v_cvt_i32_f32_e32 v8, v10
	v_cvt_i32_f32_e32 v7, v5
	;; [unrolled: 1-line block ×4, first 2 shown]
	v_mov_b32_dpp v9, v9 row_bcast:31 row_mask:0xf bank_mask:0xf bound_ctrl:1
	v_mov_b32_dpp v11, v8 row_bcast:31 row_mask:0xf bank_mask:0xf bound_ctrl:1
	;; [unrolled: 1-line block ×5, first 2 shown]
	s_and_saveexec_b64 s[4:5], s[0:1]
	s_cbranch_execz .LBB279_14
; %bb.107:                              ;   in Loop: Header=BB279_15 Depth=1
	s_andn2_b64 vcc, exec, s[24:25]
	v_mov_b32_e32 v14, 0
	v_mov_b32_e32 v13, 0
	v_mov_b32_e32 v12, 0
	v_mov_b32_e32 v8, 0
	v_mov_b32_e32 v4, 0
	s_cbranch_vccnz .LBB279_109
; %bb.108:                              ;   in Loop: Header=BB279_15 Depth=1
	v_mul_hi_u32 v4, v116, v138
	v_mul_lo_u32 v4, v4, s18
	v_sub_u32_e32 v4, v116, v4
	v_subrev_u32_e32 v8, s18, v4
	v_cmp_le_u32_e32 vcc, s18, v4
	v_mov_b32_e32 v13, v121
	s_nop 0
	v_cndmask_b32_e32 v4, v4, v8, vcc
	v_subrev_u32_e32 v8, s18, v4
	v_cmp_le_u32_e32 vcc, s18, v4
	s_nop 1
	v_cndmask_b32_e32 v120, v4, v8, vcc
	v_add_u32_e32 v12, s42, v120
	v_lshl_add_u64 v[18:19], v[12:13], 1, s[12:13]
	v_add_u32_e32 v12, s43, v120
	v_lshl_add_u64 v[16:17], v[120:121], 1, s[12:13]
	v_lshl_add_u64 v[20:21], v[12:13], 1, s[12:13]
	v_add_u32_e32 v12, s44, v120
	v_add_u32_e32 v120, s45, v120
	v_lshl_add_u64 v[22:23], v[12:13], 1, s[12:13]
	v_lshl_add_u64 v[24:25], v[120:121], 1, s[12:13]
	global_load_ushort v14, v[16:17], off
	global_load_ushort v13, v[18:19], off
	;; [unrolled: 1-line block ×5, first 2 shown]
.LBB279_109:                            ;   in Loop: Header=BB279_15 Depth=1
	v_cmp_ne_u32_e32 vcc, 0, v119
	s_and_b64 exec, exec, vcc
	s_cbranch_execz .LBB279_14
; %bb.110:                              ;   in Loop: Header=BB279_15 Depth=1
	v_cvt_f32_i32_e32 v9, v9
	v_add_f32_e32 v6, v6, v9
	s_waitcnt vmcnt(4)
	v_lshlrev_b32_e32 v9, 16, v14
	v_add_f32_e32 v9, v6, v9
	v_and_b32_e32 v6, 0x7f800000, v9
	v_cmp_ne_u32_e32 vcc, s48, v6
                                        ; implicit-def: $vgpr6
	s_and_saveexec_b64 s[6:7], vcc
	s_xor_b64 s[6:7], exec, s[6:7]
; %bb.111:                              ;   in Loop: Header=BB279_15 Depth=1
	v_bfe_u32 v6, v9, 16, 1
	v_add3_u32 v6, v9, v6, s10
                                        ; implicit-def: $vgpr9
; %bb.112:                              ;   in Loop: Header=BB279_15 Depth=1
	s_andn2_saveexec_b64 s[6:7], s[6:7]
; %bb.113:                              ;   in Loop: Header=BB279_15 Depth=1
	v_or_b32_e32 v6, 0x10000, v9
	v_cmp_eq_u32_sdwa vcc, v9, v121 src0_sel:WORD_0 src1_sel:DWORD
	s_nop 1
	v_cndmask_b32_e32 v6, v6, v9, vcc
; %bb.114:                              ;   in Loop: Header=BB279_15 Depth=1
	s_or_b64 exec, exec, s[6:7]
	v_cvt_f32_i32_e32 v9, v11
	v_mov_b32_e32 v117, v121
	v_lshl_add_u64 v[14:15], v[116:117], 1, s[14:15]
	global_store_short_d16_hi v[14:15], v6, off
	v_add_f32_e32 v6, v10, v9
	s_waitcnt vmcnt(4)
	v_lshlrev_b32_e32 v9, 16, v13
	v_add_f32_e32 v9, v6, v9
	v_and_b32_e32 v6, 0x7f800000, v9
	v_cmp_ne_u32_e32 vcc, s48, v6
                                        ; implicit-def: $vgpr6
	s_and_saveexec_b64 s[6:7], vcc
	s_xor_b64 s[6:7], exec, s[6:7]
; %bb.115:                              ;   in Loop: Header=BB279_15 Depth=1
	v_bfe_u32 v6, v9, 16, 1
	v_add3_u32 v6, v9, v6, s10
                                        ; implicit-def: $vgpr9
; %bb.116:                              ;   in Loop: Header=BB279_15 Depth=1
	s_andn2_saveexec_b64 s[6:7], s[6:7]
; %bb.117:                              ;   in Loop: Header=BB279_15 Depth=1
	v_or_b32_e32 v6, 0x10000, v9
	v_cmp_eq_u32_sdwa vcc, v9, v121 src0_sel:WORD_0 src1_sel:DWORD
	s_nop 1
	v_cndmask_b32_e32 v6, v6, v9, vcc
; %bb.118:                              ;   in Loop: Header=BB279_15 Depth=1
	s_or_b64 exec, exec, s[6:7]
	v_cvt_f32_i32_e32 v7, v7
	v_add_u32_e32 v120, s11, v116
	v_lshl_add_u64 v[10:11], v[120:121], 1, s[14:15]
	global_store_short_d16_hi v[10:11], v6, off
	v_add_f32_e32 v5, v5, v7
	s_waitcnt vmcnt(4)
	v_lshlrev_b32_e32 v6, 16, v12
	v_add_f32_e32 v6, v5, v6
	v_and_b32_e32 v5, 0x7f800000, v6
	v_cmp_ne_u32_e32 vcc, s48, v5
                                        ; implicit-def: $vgpr5
	s_and_saveexec_b64 s[6:7], vcc
	s_xor_b64 s[6:7], exec, s[6:7]
; %bb.119:                              ;   in Loop: Header=BB279_15 Depth=1
	v_bfe_u32 v5, v6, 16, 1
	v_add3_u32 v5, v6, v5, s10
                                        ; implicit-def: $vgpr6
; %bb.120:                              ;   in Loop: Header=BB279_15 Depth=1
	s_andn2_saveexec_b64 s[6:7], s[6:7]
; %bb.121:                              ;   in Loop: Header=BB279_15 Depth=1
	v_or_b32_e32 v5, 0x10000, v6
	v_cmp_eq_u32_sdwa vcc, v6, v121 src0_sel:WORD_0 src1_sel:DWORD
	s_nop 1
	v_cndmask_b32_e32 v5, v5, v6, vcc
; %bb.122:                              ;   in Loop: Header=BB279_15 Depth=1
	s_or_b64 exec, exec, s[6:7]
	v_cvt_f32_i32_e32 v3, v3
	v_add_u32_e32 v120, s11, v120
	v_lshl_add_u64 v[6:7], v[120:121], 1, s[14:15]
	global_store_short_d16_hi v[6:7], v5, off
	v_add_f32_e32 v2, v2, v3
	s_waitcnt vmcnt(4)
	v_lshlrev_b32_e32 v3, 16, v8
	v_add_f32_e32 v3, v2, v3
	v_and_b32_e32 v2, 0x7f800000, v3
	v_cmp_ne_u32_e32 vcc, s48, v2
                                        ; implicit-def: $vgpr2
	s_and_saveexec_b64 s[6:7], vcc
	s_xor_b64 s[6:7], exec, s[6:7]
; %bb.123:                              ;   in Loop: Header=BB279_15 Depth=1
	v_bfe_u32 v2, v3, 16, 1
	v_add3_u32 v2, v3, v2, s10
                                        ; implicit-def: $vgpr3
; %bb.124:                              ;   in Loop: Header=BB279_15 Depth=1
	s_andn2_saveexec_b64 s[6:7], s[6:7]
; %bb.125:                              ;   in Loop: Header=BB279_15 Depth=1
	v_or_b32_e32 v2, 0x10000, v3
	v_cmp_eq_u32_sdwa vcc, v3, v121 src0_sel:WORD_0 src1_sel:DWORD
	s_nop 1
	v_cndmask_b32_e32 v2, v2, v3, vcc
; %bb.126:                              ;   in Loop: Header=BB279_15 Depth=1
	s_or_b64 exec, exec, s[6:7]
	v_cvt_f32_i32_e32 v1, v1
	v_add_u32_e32 v120, s11, v120
	v_lshl_add_u64 v[6:7], v[120:121], 1, s[14:15]
	global_store_short_d16_hi v[6:7], v2, off
	v_add_f32_e32 v0, v0, v1
	s_waitcnt vmcnt(4)
	v_lshlrev_b32_e32 v1, 16, v4
	v_add_f32_e32 v1, v0, v1
	v_and_b32_e32 v0, 0x7f800000, v1
	v_cmp_ne_u32_e32 vcc, s48, v0
                                        ; implicit-def: $vgpr0
	s_and_saveexec_b64 s[6:7], vcc
	s_xor_b64 s[6:7], exec, s[6:7]
; %bb.127:                              ;   in Loop: Header=BB279_15 Depth=1
	v_bfe_u32 v0, v1, 16, 1
	v_add3_u32 v0, v1, v0, s10
                                        ; implicit-def: $vgpr1
; %bb.128:                              ;   in Loop: Header=BB279_15 Depth=1
	s_andn2_saveexec_b64 s[6:7], s[6:7]
	s_cbranch_execz .LBB279_13
; %bb.129:                              ;   in Loop: Header=BB279_15 Depth=1
	v_or_b32_e32 v0, 0x10000, v1
	v_cmp_eq_u32_sdwa vcc, v1, v121 src0_sel:WORD_0 src1_sel:DWORD
	s_nop 1
	v_cndmask_b32_e32 v0, v0, v1, vcc
	s_branch .LBB279_13
.LBB279_130:
	s_endpgm
	.section	.rodata,"a",@progbits
	.p2align	6, 0x0
	.amdhsa_kernel _Z12wvSplitK_hf_I14__hip_bfloat16Li32ELi1ELi16ELi8ELi4ELi5EEviiiiiiPKT_S3_S3_PS1_ii
		.amdhsa_group_segment_fixed_size 65536
		.amdhsa_private_segment_fixed_size 0
		.amdhsa_kernarg_size 64
		.amdhsa_user_sgpr_count 2
		.amdhsa_user_sgpr_dispatch_ptr 0
		.amdhsa_user_sgpr_queue_ptr 0
		.amdhsa_user_sgpr_kernarg_segment_ptr 1
		.amdhsa_user_sgpr_dispatch_id 0
		.amdhsa_user_sgpr_kernarg_preload_length 0
		.amdhsa_user_sgpr_kernarg_preload_offset 0
		.amdhsa_user_sgpr_private_segment_size 0
		.amdhsa_uses_dynamic_stack 0
		.amdhsa_enable_private_segment 0
		.amdhsa_system_sgpr_workgroup_id_x 1
		.amdhsa_system_sgpr_workgroup_id_y 0
		.amdhsa_system_sgpr_workgroup_id_z 0
		.amdhsa_system_sgpr_workgroup_info 0
		.amdhsa_system_vgpr_workitem_id 1
		.amdhsa_next_free_vgpr 142
		.amdhsa_next_free_sgpr 50
		.amdhsa_accum_offset 144
		.amdhsa_reserve_vcc 1
		.amdhsa_float_round_mode_32 0
		.amdhsa_float_round_mode_16_64 0
		.amdhsa_float_denorm_mode_32 3
		.amdhsa_float_denorm_mode_16_64 3
		.amdhsa_dx10_clamp 1
		.amdhsa_ieee_mode 1
		.amdhsa_fp16_overflow 0
		.amdhsa_tg_split 0
		.amdhsa_exception_fp_ieee_invalid_op 0
		.amdhsa_exception_fp_denorm_src 0
		.amdhsa_exception_fp_ieee_div_zero 0
		.amdhsa_exception_fp_ieee_overflow 0
		.amdhsa_exception_fp_ieee_underflow 0
		.amdhsa_exception_fp_ieee_inexact 0
		.amdhsa_exception_int_div_zero 0
	.end_amdhsa_kernel
	.section	.text._Z12wvSplitK_hf_I14__hip_bfloat16Li32ELi1ELi16ELi8ELi4ELi5EEviiiiiiPKT_S3_S3_PS1_ii,"axG",@progbits,_Z12wvSplitK_hf_I14__hip_bfloat16Li32ELi1ELi16ELi8ELi4ELi5EEviiiiiiPKT_S3_S3_PS1_ii,comdat
.Lfunc_end279:
	.size	_Z12wvSplitK_hf_I14__hip_bfloat16Li32ELi1ELi16ELi8ELi4ELi5EEviiiiiiPKT_S3_S3_PS1_ii, .Lfunc_end279-_Z12wvSplitK_hf_I14__hip_bfloat16Li32ELi1ELi16ELi8ELi4ELi5EEviiiiiiPKT_S3_S3_PS1_ii
                                        ; -- End function
	.section	.AMDGPU.csdata,"",@progbits
; Kernel info:
; codeLenInByte = 5056
; NumSgprs: 56
; NumVgprs: 142
; NumAgprs: 0
; TotalNumVgprs: 142
; ScratchSize: 0
; MemoryBound: 1
; FloatMode: 240
; IeeeMode: 1
; LDSByteSize: 65536 bytes/workgroup (compile time only)
; SGPRBlocks: 6
; VGPRBlocks: 17
; NumSGPRsForWavesPerEU: 56
; NumVGPRsForWavesPerEU: 142
; AccumOffset: 144
; Occupancy: 2
; WaveLimiterHint : 0
; COMPUTE_PGM_RSRC2:SCRATCH_EN: 0
; COMPUTE_PGM_RSRC2:USER_SGPR: 2
; COMPUTE_PGM_RSRC2:TRAP_HANDLER: 0
; COMPUTE_PGM_RSRC2:TGID_X_EN: 1
; COMPUTE_PGM_RSRC2:TGID_Y_EN: 0
; COMPUTE_PGM_RSRC2:TGID_Z_EN: 0
; COMPUTE_PGM_RSRC2:TIDIG_COMP_CNT: 1
; COMPUTE_PGM_RSRC3_GFX90A:ACCUM_OFFSET: 35
; COMPUTE_PGM_RSRC3_GFX90A:TG_SPLIT: 0
	.section	.text._Z16wvSplitK_hf_big_I14__hip_bfloat16Li32ELi1ELi16ELi8ELi4ELi5EEviiiiiiPKT_S3_S3_PS1_ii,"axG",@progbits,_Z16wvSplitK_hf_big_I14__hip_bfloat16Li32ELi1ELi16ELi8ELi4ELi5EEviiiiiiPKT_S3_S3_PS1_ii,comdat
	.protected	_Z16wvSplitK_hf_big_I14__hip_bfloat16Li32ELi1ELi16ELi8ELi4ELi5EEviiiiiiPKT_S3_S3_PS1_ii ; -- Begin function _Z16wvSplitK_hf_big_I14__hip_bfloat16Li32ELi1ELi16ELi8ELi4ELi5EEviiiiiiPKT_S3_S3_PS1_ii
	.globl	_Z16wvSplitK_hf_big_I14__hip_bfloat16Li32ELi1ELi16ELi8ELi4ELi5EEviiiiiiPKT_S3_S3_PS1_ii
	.p2align	8
	.type	_Z16wvSplitK_hf_big_I14__hip_bfloat16Li32ELi1ELi16ELi8ELi4ELi5EEviiiiiiPKT_S3_S3_PS1_ii,@function
_Z16wvSplitK_hf_big_I14__hip_bfloat16Li32ELi1ELi16ELi8ELi4ELi5EEviiiiiiPKT_S3_S3_PS1_ii: ; @_Z16wvSplitK_hf_big_I14__hip_bfloat16Li32ELi1ELi16ELi8ELi4ELi5EEviiiiiiPKT_S3_S3_PS1_ii
; %bb.0:
	s_load_dwordx2 s[4:5], s[0:1], 0x38
	v_bfe_u32 v1, v0, 10, 10
	s_waitcnt lgkmcnt(0)
	v_cmp_gt_u32_e32 vcc, s4, v1
	s_and_saveexec_b64 s[6:7], vcc
	s_cbranch_execz .LBB280_58
; %bb.1:
	s_load_dwordx4 s[20:23], s[0:1], 0x0
	s_mul_i32 s2, s2, s4
	v_add_u32_e32 v116, s2, v1
	v_add_u32_e32 v2, 1, v116
	v_mov_b32_e32 v121, 1
	s_waitcnt lgkmcnt(0)
	v_cmp_gt_u32_e32 vcc, s23, v116
	v_cmp_le_u32_e64 s[2:3], s23, v2
	s_and_b64 s[6:7], vcc, s[2:3]
	s_and_saveexec_b64 s[2:3], s[6:7]
; %bb.2:
	v_subrev_u32_e32 v2, s23, v116
	v_cmp_eq_u32_e32 vcc, -1, v2
	s_add_i32 s6, s23, -1
	v_mov_b32_e32 v116, s6
	v_cndmask_b32_e64 v121, 0, 1, vcc
; %bb.3:
	s_or_b64 exec, exec, s[2:3]
	s_abs_i32 s2, s4
	v_cvt_f32_u32_e32 v2, s2
	s_sub_i32 s7, 0, s2
	s_abs_i32 s6, s23
	s_ashr_i32 s3, s23, 31
	v_rcp_iflag_f32_e32 v2, v2
	s_nop 0
	v_mul_f32_e32 v2, 0x4f7ffffe, v2
	v_cvt_u32_f32_e32 v2, v2
	s_nop 0
	v_readfirstlane_b32 s8, v2
	s_mul_i32 s7, s7, s8
	s_mul_hi_u32 s7, s8, s7
	s_add_i32 s8, s8, s7
	s_mul_hi_u32 s7, s6, s8
	s_mul_i32 s7, s7, s2
	s_sub_i32 s6, s6, s7
	s_sub_i32 s7, s6, s2
	s_cmp_ge_u32 s6, s2
	s_cselect_b32 s6, s7, s6
	s_sub_i32 s7, s6, s2
	s_cmp_ge_u32 s6, s2
	s_cselect_b32 s2, s7, s6
	s_xor_b32 s2, s2, s3
	s_sub_i32 s2, s2, s3
	s_add_i32 s3, s4, s23
	s_sub_i32 s3, s3, s2
	s_cmp_eq_u32 s2, 0
	s_cselect_b32 s33, s23, s3
	v_cmp_gt_u32_e32 vcc, s33, v116
	s_and_b64 exec, exec, vcc
	s_cbranch_execz .LBB280_58
; %bb.4:
	s_load_dwordx8 s[12:19], s[0:1], 0x10
	s_min_u32 s38, s22, 0x1800
	s_cmp_lg_u32 s20, 0
	s_cselect_b64 s[2:3], -1, 0
	s_cmp_lg_u32 s22, 0
	s_cselect_b64 s[6:7], -1, 0
	s_lshl_b32 s39, s4, 8
	s_add_i32 s40, s20, -8
	s_add_i32 s41, s23, -1
	s_waitcnt lgkmcnt(0)
	s_cmp_lg_u64 s[18:19], 0
	s_cselect_b64 s[26:27], -1, 0
	s_abs_i32 s8, s13
	v_cvt_f32_u32_e32 v2, s12
	v_cvt_f32_u32_e32 v3, s8
	s_mul_i32 s42, s5, s4
	s_sub_i32 s5, s42, s23
	v_rcp_iflag_f32_e32 v2, v2
	v_rcp_iflag_f32_e32 v3, v3
	s_add_i32 s13, s5, 2
	s_sub_i32 s5, 0, s12
	v_mul_f32_e32 v2, 0x4f7ffffe, v2
	v_mul_f32_e32 v3, 0x4f7ffffe, v3
	v_cvt_u32_f32_e32 v2, v2
	v_cvt_u32_f32_e32 v3, v3
	s_load_dwordx2 s[10:11], s[0:1], 0x30
	v_and_b32_e32 v0, 0x3ff, v0
	v_mul_lo_u32 v4, s5, v2
	s_sub_i32 s5, 0, s8
	v_readfirstlane_b32 s9, v3
	s_mul_i32 s5, s5, s9
	s_mul_hi_u32 s5, s9, s5
	s_add_i32 s9, s9, s5
	s_sub_i32 s5, 1, s8
	s_cmp_lt_u32 s8, 2
	s_cselect_b32 s5, s5, 1
	s_sub_i32 s28, s5, s8
	s_cmp_ge_u32 s5, s8
	s_cselect_b32 s43, s28, s5
	s_lshr_b32 s5, s9, 31
	s_mul_i32 s5, s5, s8
	s_sub_i32 s5, 2, s5
	s_sub_i32 s28, s5, s8
	s_cmp_ge_u32 s5, s8
	s_cselect_b32 s5, s28, s5
	s_sub_i32 s28, s5, s8
	s_cmp_ge_u32 s5, s8
	s_cselect_b32 s44, s28, s5
	s_mul_hi_u32 s5, s9, 3
	s_mul_i32 s5, s5, s8
	s_sub_i32 s5, 3, s5
	s_sub_i32 s28, s5, s8
	s_cmp_ge_u32 s5, s8
	s_cselect_b32 s5, s28, s5
	s_sub_i32 s28, s5, s8
	s_cmp_ge_u32 s5, s8
	s_cselect_b32 s45, s28, s5
	s_lshr_b32 s5, s9, 30
	s_mul_i32 s5, s5, s8
	s_sub_i32 s5, 4, s5
	s_sub_i32 s9, s5, s8
	s_cmp_ge_u32 s5, s8
	s_cselect_b32 s5, s9, s5
	v_lshlrev_b32_e32 v126, 3, v0
	v_cmp_eq_u32_e64 s[0:1], 31, v0
	s_sub_i32 s9, s5, s8
	v_lshlrev_b32_e32 v0, 4, v0
	s_cmp_ge_u32 s5, s8
	v_lshl_add_u32 v128, v1, 9, v0
	v_lshl_add_u32 v120, v1, 8, v126
	v_cndmask_b32_e64 v0, 0, 1, s[2:3]
	v_mul_hi_u32 v4, v2, v4
	s_cselect_b32 s46, s9, s5
	s_lshl_b32 s48, s4, 9
	v_mad_u64_u32 v[122:123], s[4:5], s22, 3, v[120:121]
	v_cmp_ne_u32_e64 s[2:3], 1, v0
	v_cndmask_b32_e64 v0, 0, 1, s[6:7]
	s_mov_b64 s[24:25], 0
	v_add_u32_e32 v127, v2, v4
	v_mov_b32_e32 v119, 0
	s_mul_i32 s43, s43, s12
	s_mul_i32 s44, s44, s12
	;; [unrolled: 1-line block ×4, first 2 shown]
	s_lshl_b32 s47, s38, 3
	s_mul_i32 s49, s38, 6
	s_lshl_b32 s50, s38, 2
	s_lshl_b32 s51, s38, 1
	v_lshl_add_u32 v129, s22, 1, v120
	v_lshl_add_u32 v123, s22, 2, v120
	v_add_u32_e32 v130, s22, v120
	v_cmp_ne_u32_e64 s[4:5], 1, v0
	s_mov_b32 s52, 0x7f800000
	s_movk_i32 s53, 0x7fff
	s_branch .LBB280_7
.LBB280_5:                              ;   in Loop: Header=BB280_7 Depth=1
	s_or_b64 exec, exec, s[6:7]
.LBB280_6:                              ;   in Loop: Header=BB280_7 Depth=1
	s_or_b64 exec, exec, s[8:9]
	v_cmp_le_u32_e32 vcc, s33, v20
	s_or_b64 s[24:25], vcc, s[24:25]
	v_mov_b32_e32 v116, v20
	s_andn2_b64 exec, exec, s[24:25]
	s_cbranch_execz .LBB280_58
.LBB280_7:                              ; =>This Loop Header: Depth=1
                                        ;     Child Loop BB280_14 Depth 2
                                        ;       Child Loop BB280_19 Depth 3
	s_and_b64 vcc, exec, s[2:3]
	v_mov_b32_e32 v3, v119
	v_mov_b32_e32 v2, v119
	;; [unrolled: 1-line block ×7, first 2 shown]
	s_waitcnt vmcnt(0)
	v_mov_b32_e32 v4, v119
	v_mov_b32_e32 v11, v119
	;; [unrolled: 1-line block ×13, first 2 shown]
	s_cbranch_vccnz .LBB280_28
; %bb.8:                                ;   in Loop: Header=BB280_7 Depth=1
	v_min_u32_e32 v0, s41, v116
	v_mul_lo_u32 v118, v0, s21
	v_mov_b32_e32 v16, 0
	v_cmp_gt_u32_e64 s[6:7], s23, v116
	v_lshl_add_u64 v[124:125], v[118:119], 1, s[14:15]
	s_mov_b32 s54, 0
	s_mov_b32 s55, 0
	v_mov_b32_e32 v17, v16
	v_mov_b32_e32 v18, v16
	;; [unrolled: 1-line block ×19, first 2 shown]
	s_branch .LBB280_14
.LBB280_9:                              ;   in Loop: Header=BB280_14 Depth=2
	s_or_b64 exec, exec, s[36:37]
.LBB280_10:                             ;   in Loop: Header=BB280_14 Depth=2
	s_or_b64 exec, exec, s[34:35]
.LBB280_11:                             ;   in Loop: Header=BB280_14 Depth=2
	s_or_b64 exec, exec, s[30:31]
.LBB280_12:                             ;   in Loop: Header=BB280_14 Depth=2
	s_or_b64 exec, exec, s[28:29]
	s_waitcnt vmcnt(3) lgkmcnt(0)
	v_mfma_f32_4x4x4_16b_bf16 v[16:19], v[100:101], v[32:33], v[16:19]
	v_mfma_f32_4x4x4_16b_bf16 v[12:15], v[68:69], v[32:33], v[12:15]
	v_mfma_f32_4x4x4_16b_bf16 v[8:11], v[44:45], v[32:33], v[8:11]
	v_mfma_f32_4x4x4_16b_bf16 v[4:7], v[40:41], v[32:33], v[4:7]
	v_mfma_f32_4x4x4_16b_bf16 v[0:3], v[36:37], v[32:33], v[0:3]
	v_mfma_f32_4x4x4_16b_bf16 v[16:19], v[102:103], v[34:35], v[16:19]
	v_mfma_f32_4x4x4_16b_bf16 v[12:15], v[70:71], v[34:35], v[12:15]
	v_mfma_f32_4x4x4_16b_bf16 v[8:11], v[46:47], v[34:35], v[8:11]
	v_mfma_f32_4x4x4_16b_bf16 v[4:7], v[42:43], v[34:35], v[4:7]
	v_mfma_f32_4x4x4_16b_bf16 v[0:3], v[38:39], v[34:35], v[0:3]
	s_waitcnt vmcnt(2)
	v_mfma_f32_4x4x4_16b_bf16 v[16:19], v[84:85], v[28:29], v[16:19]
	v_mfma_f32_4x4x4_16b_bf16 v[12:15], v[72:73], v[28:29], v[12:15]
	v_mfma_f32_4x4x4_16b_bf16 v[8:11], v[60:61], v[28:29], v[8:11]
	v_mfma_f32_4x4x4_16b_bf16 v[4:7], v[52:53], v[28:29], v[4:7]
	v_mfma_f32_4x4x4_16b_bf16 v[0:3], v[48:49], v[28:29], v[0:3]
	v_mfma_f32_4x4x4_16b_bf16 v[16:19], v[86:87], v[30:31], v[16:19]
	v_mfma_f32_4x4x4_16b_bf16 v[12:15], v[74:75], v[30:31], v[12:15]
	v_mfma_f32_4x4x4_16b_bf16 v[8:11], v[62:63], v[30:31], v[8:11]
	v_mfma_f32_4x4x4_16b_bf16 v[4:7], v[54:55], v[30:31], v[4:7]
	v_mfma_f32_4x4x4_16b_bf16 v[0:3], v[50:51], v[30:31], v[0:3]
	s_waitcnt vmcnt(1)
	;; [unrolled: 11-line block ×3, first 2 shown]
	v_mfma_f32_4x4x4_16b_bf16 v[16:19], v[56:57], v[20:21], v[16:19]
	v_mfma_f32_4x4x4_16b_bf16 v[12:15], v[88:89], v[20:21], v[12:15]
	;; [unrolled: 1-line block ×10, first 2 shown]
.LBB280_13:                             ;   in Loop: Header=BB280_14 Depth=2
	s_or_b64 exec, exec, s[8:9]
	s_addk_i32 s55, 0x400
	s_cmp_ge_u32 s55, s20
	s_cbranch_scc1 .LBB280_28
.LBB280_14:                             ;   Parent Loop BB280_7 Depth=1
                                        ; =>  This Loop Header: Depth=2
                                        ;       Child Loop BB280_19 Depth 3
	s_cmp_eq_u32 s55, 0
	s_cselect_b64 s[8:9], -1, 0
	s_add_i32 s28, s54, s38
	s_cmp_eq_u32 s55, s28
	s_cselect_b64 s[30:31], -1, 0
	s_or_b64 s[30:31], s[8:9], s[30:31]
	s_andn2_b64 vcc, exec, s[30:31]
	s_cbranch_vccz .LBB280_16
; %bb.15:                               ;   in Loop: Header=BB280_14 Depth=2
	s_and_saveexec_b64 s[8:9], s[6:7]
	s_cbranch_execz .LBB280_13
	s_branch .LBB280_23
.LBB280_16:                             ;   in Loop: Header=BB280_14 Depth=2
	s_and_b64 s[8:9], s[8:9], exec
	s_cselect_b32 s54, s54, s28
	s_and_b64 vcc, exec, s[4:5]
	s_waitcnt lgkmcnt(0)
	s_barrier
	s_cbranch_vccnz .LBB280_22
; %bb.17:                               ;   in Loop: Header=BB280_14 Depth=2
	v_add_u32_e32 v20, s54, v129
	v_add_u32_e32 v21, s54, v122
	;; [unrolled: 1-line block ×5, first 2 shown]
	s_mov_b32 s34, 0
	s_mov_b64 s[28:29], 0
	v_mov_b32_e32 v25, v128
                                        ; implicit-def: $sgpr30_sgpr31
	s_branch .LBB280_19
.LBB280_18:                             ;   in Loop: Header=BB280_19 Depth=3
	s_or_b64 exec, exec, s[8:9]
	s_and_b64 s[8:9], exec, s[30:31]
	s_or_b64 s[28:29], s[8:9], s[28:29]
	s_andn2_b64 exec, exec, s[28:29]
	s_cbranch_execz .LBB280_21
.LBB280_19:                             ;   Parent Loop BB280_7 Depth=1
                                        ;     Parent Loop BB280_14 Depth=2
                                        ; =>    This Inner Loop Header: Depth=3
	v_add_u32_e32 v26, s34, v120
	v_add_u32_e32 v118, s34, v24
	v_cmp_gt_u32_e32 vcc, s22, v118
	v_cmp_gt_u32_e64 s[8:9], s38, v26
	s_and_b64 s[36:37], s[8:9], vcc
	s_or_b64 s[30:31], s[30:31], exec
	s_and_saveexec_b64 s[8:9], s[36:37]
	s_cbranch_execz .LBB280_18
; %bb.20:                               ;   in Loop: Header=BB280_19 Depth=3
	v_lshl_add_u64 v[26:27], v[118:119], 1, s[16:17]
	v_add_u32_e32 v118, s34, v23
	v_lshl_add_u64 v[30:31], v[118:119], 1, s[16:17]
	v_add_u32_e32 v118, s34, v20
	;; [unrolled: 2-line block ×3, first 2 shown]
	v_lshl_add_u64 v[38:39], v[118:119], 1, s[16:17]
	global_load_dwordx4 v[26:29], v[26:27], off
	s_nop 0
	global_load_dwordx4 v[30:33], v[30:31], off
	s_nop 0
	;; [unrolled: 2-line block ×3, first 2 shown]
	global_load_dwordx4 v[38:41], v[38:39], off
	v_add_u32_e32 v118, s34, v22
	v_lshl_add_u64 v[42:43], v[118:119], 1, s[16:17]
	global_load_dwordx4 v[42:45], v[42:43], off
	s_add_i32 s34, s34, s39
	s_cmp_ge_u32 s34, s38
	s_cselect_b64 s[36:37], -1, 0
	s_andn2_b64 s[30:31], s[30:31], exec
	s_and_b64 s[36:37], s[36:37], exec
	v_add_u32_e32 v46, s51, v25
	v_add_u32_e32 v47, s50, v25
	;; [unrolled: 1-line block ×4, first 2 shown]
	s_or_b64 s[30:31], s[30:31], s[36:37]
	s_waitcnt vmcnt(4)
	ds_write_b128 v25, v[26:29]
	v_add_u32_e32 v25, s48, v25
	s_waitcnt vmcnt(3)
	ds_write2_b64 v46, v[30:31], v[32:33] offset1:1
	s_waitcnt vmcnt(2)
	ds_write2_b32 v47, v34, v35 offset1:1
	ds_write2_b32 v47, v36, v37 offset0:2 offset1:3
	s_waitcnt vmcnt(1)
	ds_write2_b64 v48, v[38:39], v[40:41] offset1:1
	s_waitcnt vmcnt(0)
	ds_write2_b64 v49, v[42:43], v[44:45] offset1:1
	s_branch .LBB280_18
.LBB280_21:                             ;   in Loop: Header=BB280_14 Depth=2
	s_or_b64 exec, exec, s[28:29]
.LBB280_22:                             ;   in Loop: Header=BB280_14 Depth=2
	s_waitcnt lgkmcnt(0)
	s_barrier
	s_and_saveexec_b64 s[8:9], s[6:7]
	s_cbranch_execz .LBB280_13
.LBB280_23:                             ;   in Loop: Header=BB280_14 Depth=2
	v_add_u32_e32 v132, s55, v126
	v_min_u32_e32 v118, s40, v132
	v_add_u32_e32 v136, 0x100, v132
	v_lshl_add_u64 v[20:21], v[118:119], 1, v[124:125]
	v_min_u32_e32 v118, s40, v136
	v_add_u32_e32 v131, 0x200, v132
	v_lshl_add_u64 v[22:23], v[118:119], 1, v[124:125]
	;; [unrolled: 3-line block ×3, first 2 shown]
	v_min_u32_e32 v118, s40, v117
	global_load_dwordx4 v[32:35], v[20:21], off nt
	global_load_dwordx4 v[28:31], v[22:23], off nt
	v_lshl_add_u64 v[38:39], v[118:119], 1, v[124:125]
	global_load_dwordx4 v[24:27], v[36:37], off nt
	global_load_dwordx4 v[20:23], v[38:39], off nt
	v_cmp_gt_u32_e32 vcc, s20, v132
	v_mov_b32_e32 v114, 0
	v_mov_b32_e32 v115, 0
	;; [unrolled: 1-line block ×80, first 2 shown]
	s_and_saveexec_b64 s[28:29], vcc
	s_cbranch_execz .LBB280_12
; %bb.24:                               ;   in Loop: Header=BB280_14 Depth=2
	v_subrev_u32_e32 v36, s54, v132
	v_lshlrev_b32_e32 v135, 1, v36
	v_add_u32_e32 v134, s51, v135
	v_add_u32_e32 v133, s51, v134
	;; [unrolled: 1-line block ×4, first 2 shown]
	ds_read_b128 v[100:103], v135
	ds_read_b128 v[68:71], v134
	;; [unrolled: 1-line block ×5, first 2 shown]
	v_cmp_gt_u32_e32 vcc, s20, v136
	v_mov_b32_e32 v85, 0
	v_mov_b32_e32 v84, 0
	;; [unrolled: 1-line block ×60, first 2 shown]
	s_and_saveexec_b64 s[30:31], vcc
	s_cbranch_execz .LBB280_11
; %bb.25:                               ;   in Loop: Header=BB280_14 Depth=2
	ds_read_b128 v[84:87], v135 offset:512
	ds_read_b128 v[72:75], v134 offset:512
	;; [unrolled: 1-line block ×4, first 2 shown]
	ds_read2_b64 v[48:51], v118 offset0:64 offset1:65
	v_cmp_gt_u32_e32 vcc, s20, v131
	v_mov_b32_e32 v65, 0
	v_mov_b32_e32 v64, 0
	;; [unrolled: 1-line block ×40, first 2 shown]
	s_and_saveexec_b64 s[34:35], vcc
	s_cbranch_execz .LBB280_10
; %bb.26:                               ;   in Loop: Header=BB280_14 Depth=2
	ds_read_b128 v[64:67], v135 offset:1024
	ds_read_b128 v[76:79], v134 offset:1024
	;; [unrolled: 1-line block ×4, first 2 shown]
	ds_read2_b64 v[96:99], v118 offset0:128 offset1:129
	v_cmp_gt_u32_e32 vcc, s20, v117
	v_mov_b32_e32 v57, 0
	v_mov_b32_e32 v56, 0
	;; [unrolled: 1-line block ×20, first 2 shown]
	s_and_saveexec_b64 s[36:37], vcc
	s_cbranch_execz .LBB280_9
; %bb.27:                               ;   in Loop: Header=BB280_14 Depth=2
	ds_read_b128 v[56:59], v135 offset:1536
	ds_read_b128 v[88:91], v134 offset:1536
	;; [unrolled: 1-line block ×4, first 2 shown]
	ds_read2_b64 v[112:115], v118 offset0:192 offset1:193
	s_branch .LBB280_9
.LBB280_28:                             ;   in Loop: Header=BB280_7 Depth=1
	v_cmp_le_u32_e32 vcc, s23, v116
                                        ; implicit-def: $vgpr20
	s_and_saveexec_b64 s[6:7], vcc
	s_xor_b64 s[6:7], exec, s[6:7]
; %bb.29:                               ;   in Loop: Header=BB280_7 Depth=1
	v_add_u32_e32 v20, s42, v116
                                        ; implicit-def: $vgpr116
                                        ; implicit-def: $vgpr3
                                        ; implicit-def: $vgpr7
                                        ; implicit-def: $vgpr11
                                        ; implicit-def: $vgpr15
                                        ; implicit-def: $vgpr19
; %bb.30:                               ;   in Loop: Header=BB280_7 Depth=1
	s_andn2_saveexec_b64 s[8:9], s[6:7]
	s_cbranch_execz .LBB280_6
; %bb.31:                               ;   in Loop: Header=BB280_7 Depth=1
	v_cvt_i32_f32_e32 v9, v9
	v_cvt_i32_f32_e32 v10, v10
	;; [unrolled: 1-line block ×6, first 2 shown]
	v_cvt_f32_i32_dpp v9, v9 row_shl:1 row_mask:0xf bank_mask:0xf bound_ctrl:1
	v_cvt_f32_i32_dpp v10, v10 row_shl:2 row_mask:0xf bank_mask:0xf bound_ctrl:1
	v_cvt_i32_f32_e32 v17, v17
	v_cvt_f32_i32_dpp v13, v13 row_shl:1 row_mask:0xf bank_mask:0xf bound_ctrl:1
	v_cvt_f32_i32_dpp v11, v11 row_shl:3 row_mask:0xf bank_mask:0xf bound_ctrl:1
	v_cvt_i32_f32_e32 v18, v18
	v_cvt_f32_i32_dpp v14, v14 row_shl:2 row_mask:0xf bank_mask:0xf bound_ctrl:1
	v_cvt_f32_i32_dpp v15, v15 row_shl:3 row_mask:0xf bank_mask:0xf bound_ctrl:1
	v_add_f32_e32 v8, v8, v9
	v_add_f32_e32 v8, v8, v10
	v_cvt_f32_i32_dpp v17, v17 row_shl:1 row_mask:0xf bank_mask:0xf bound_ctrl:1
	v_add_f32_e32 v12, v12, v13
	v_add_f32_e32 v8, v8, v11
	v_cvt_f32_i32_dpp v18, v18 row_shl:2 row_mask:0xf bank_mask:0xf bound_ctrl:1
	v_add_f32_e32 v12, v12, v14
	v_cvt_i32_f32_e32 v11, v8
	v_cvt_i32_f32_e32 v5, v5
	v_add_f32_e32 v12, v12, v15
	v_cvt_i32_f32_e32 v13, v12
	v_add_f32_e32 v16, v16, v17
	;; [unrolled: 2-line block ×3, first 2 shown]
	v_cvt_i32_f32_e32 v18, v6
	v_cvt_f32_i32_dpp v11, v11 row_shl:4 row_mask:0xf bank_mask:0xf bound_ctrl:1
	v_cvt_i32_f32_e32 v2, v2
	v_cvt_i32_f32_e32 v19, v19
	v_cvt_f32_i32_dpp v5, v5 row_shl:1 row_mask:0xf bank_mask:0xf bound_ctrl:1
	v_cvt_i32_f32_e32 v7, v7
	v_cvt_i32_f32_e32 v3, v3
	v_cvt_f32_i32_dpp v13, v13 row_shl:4 row_mask:0xf bank_mask:0xf bound_ctrl:1
	v_cvt_f32_i32_dpp v1, v1 row_shl:1 row_mask:0xf bank_mask:0xf bound_ctrl:1
	v_add_f32_e32 v8, v8, v11
	v_cvt_f32_i32_dpp v11, v18 row_shl:2 row_mask:0xf bank_mask:0xf bound_ctrl:1
	v_cvt_f32_i32_dpp v2, v2 row_shl:2 row_mask:0xf bank_mask:0xf bound_ctrl:1
	v_cvt_f32_i32_dpp v19, v19 row_shl:3 row_mask:0xf bank_mask:0xf bound_ctrl:1
	v_add_f32_e32 v4, v4, v5
	v_cvt_f32_i32_dpp v5, v7 row_shl:3 row_mask:0xf bank_mask:0xf bound_ctrl:1
	v_cvt_f32_i32_dpp v3, v3 row_shl:3 row_mask:0xf bank_mask:0xf bound_ctrl:1
	v_add_f32_e32 v10, v12, v13
	v_cvt_i32_f32_e32 v12, v10
	v_add_f32_e32 v0, v0, v1
	v_add_f32_e32 v4, v4, v11
	;; [unrolled: 1-line block ×6, first 2 shown]
	v_cvt_i32_f32_e32 v17, v16
	v_cvt_i32_f32_e32 v5, v4
	;; [unrolled: 1-line block ×3, first 2 shown]
	v_cvt_f32_i32_dpp v12, v12 row_shl:8 row_mask:0xf bank_mask:0xf bound_ctrl:1
	v_cvt_f32_i32_dpp v17, v17 row_shl:4 row_mask:0xf bank_mask:0xf bound_ctrl:1
	;; [unrolled: 1-line block ×4, first 2 shown]
	v_add_f32_e32 v10, v10, v12
	v_cvt_i32_f32_e32 v12, v8
	v_add_f32_e32 v6, v16, v17
	v_add_f32_e32 v3, v4, v3
	;; [unrolled: 1-line block ×3, first 2 shown]
	v_cvt_i32_f32_e32 v16, v6
	v_cvt_f32_i32_dpp v2, v12 row_shl:8 row_mask:0xf bank_mask:0xf bound_ctrl:1
	v_cvt_i32_f32_e32 v4, v3
	v_cvt_i32_f32_e32 v1, v0
	;; [unrolled: 1-line block ×3, first 2 shown]
	v_cvt_f32_i32_dpp v16, v16 row_shl:8 row_mask:0xf bank_mask:0xf bound_ctrl:1
	v_add_f32_e32 v2, v8, v2
	v_cvt_f32_i32_dpp v4, v4 row_shl:8 row_mask:0xf bank_mask:0xf bound_ctrl:1
	v_cvt_f32_i32_dpp v1, v1 row_shl:8 row_mask:0xf bank_mask:0xf bound_ctrl:1
	v_cvt_f32_i32_dpp v5, v10 row_shr:15 row_mask:0xf bank_mask:0xf bound_ctrl:1
	v_cvt_i32_f32_e32 v2, v2
	v_add_f32_e32 v6, v6, v16
	v_add_f32_e32 v3, v3, v4
	v_add_f32_e32 v0, v0, v1
	v_cvt_i32_f32_e32 v6, v6
	v_cvt_i32_f32_e32 v7, v5
	v_cvt_f32_i32_dpp v2, v2 row_shr:15 row_mask:0xf bank_mask:0xf bound_ctrl:1
	v_cvt_i32_f32_e32 v3, v3
	v_cvt_i32_f32_e32 v0, v0
	v_cvt_f32_i32_dpp v6, v6 row_shr:15 row_mask:0xf bank_mask:0xf bound_ctrl:1
	v_cvt_f32_i32_dpp v1, v7 row_bcast:15 row_mask:0xf bank_mask:0xf bound_ctrl:1
	v_cvt_f32_i32_dpp v3, v3 row_shr:15 row_mask:0xf bank_mask:0xf bound_ctrl:1
	v_cvt_i32_f32_e32 v4, v2
	v_cvt_f32_i32_dpp v0, v0 row_shr:15 row_mask:0xf bank_mask:0xf bound_ctrl:1
	v_cvt_i32_f32_e32 v9, v6
	v_add_f32_e32 v10, v5, v1
	v_cvt_i32_f32_e32 v1, v3
	v_cvt_f32_i32_dpp v4, v4 row_bcast:15 row_mask:0xf bank_mask:0xf bound_ctrl:1
	v_cvt_i32_f32_e32 v7, v0
	v_cvt_f32_i32_dpp v9, v9 row_bcast:15 row_mask:0xf bank_mask:0xf bound_ctrl:1
	v_cvt_f32_i32_dpp v1, v1 row_bcast:15 row_mask:0xf bank_mask:0xf bound_ctrl:1
	v_add_f32_e32 v5, v2, v4
	v_cvt_f32_i32_dpp v4, v7 row_bcast:15 row_mask:0xf bank_mask:0xf bound_ctrl:1
	v_add_f32_e32 v6, v6, v9
	v_add_f32_e32 v2, v3, v1
	v_cvt_i32_f32_e32 v9, v6
	v_add_f32_e32 v0, v0, v4
	v_cvt_i32_f32_e32 v8, v10
	v_cvt_i32_f32_e32 v7, v5
	;; [unrolled: 1-line block ×4, first 2 shown]
	v_mov_b32_dpp v9, v9 row_bcast:31 row_mask:0xf bank_mask:0xf bound_ctrl:1
	v_mov_b32_dpp v11, v8 row_bcast:31 row_mask:0xf bank_mask:0xf bound_ctrl:1
	;; [unrolled: 1-line block ×5, first 2 shown]
	s_and_saveexec_b64 s[6:7], s[0:1]
	s_cbranch_execz .LBB280_56
; %bb.32:                               ;   in Loop: Header=BB280_7 Depth=1
	s_andn2_b64 vcc, exec, s[26:27]
	v_mov_b32_e32 v14, 0
	v_mov_b32_e32 v13, 0
	;; [unrolled: 1-line block ×5, first 2 shown]
	s_cbranch_vccnz .LBB280_34
; %bb.33:                               ;   in Loop: Header=BB280_7 Depth=1
	v_mul_hi_u32 v4, v116, v127
	v_mul_lo_u32 v4, v4, s12
	v_sub_u32_e32 v4, v116, v4
	v_subrev_u32_e32 v8, s12, v4
	v_cmp_le_u32_e32 vcc, s12, v4
	v_mov_b32_e32 v13, v119
	s_nop 0
	v_cndmask_b32_e32 v4, v4, v8, vcc
	v_subrev_u32_e32 v8, s12, v4
	v_cmp_le_u32_e32 vcc, s12, v4
	s_nop 1
	v_cndmask_b32_e32 v118, v4, v8, vcc
	v_add_u32_e32 v12, s43, v118
	v_lshl_add_u64 v[18:19], v[12:13], 1, s[18:19]
	v_add_u32_e32 v12, s44, v118
	v_lshl_add_u64 v[16:17], v[118:119], 1, s[18:19]
	v_lshl_add_u64 v[20:21], v[12:13], 1, s[18:19]
	v_add_u32_e32 v12, s45, v118
	v_add_u32_e32 v118, s46, v118
	v_lshl_add_u64 v[22:23], v[12:13], 1, s[18:19]
	v_lshl_add_u64 v[24:25], v[118:119], 1, s[18:19]
	global_load_ushort v14, v[16:17], off
	global_load_ushort v13, v[18:19], off
	;; [unrolled: 1-line block ×5, first 2 shown]
.LBB280_34:                             ;   in Loop: Header=BB280_7 Depth=1
	v_cmp_ne_u32_e32 vcc, 0, v121
	s_and_b64 exec, exec, vcc
	s_cbranch_execz .LBB280_56
; %bb.35:                               ;   in Loop: Header=BB280_7 Depth=1
	v_cvt_f32_i32_e32 v9, v9
	v_add_f32_e32 v6, v6, v9
	s_waitcnt vmcnt(4)
	v_lshlrev_b32_e32 v9, 16, v14
	v_add_f32_e32 v9, v6, v9
	v_and_b32_e32 v6, 0x7f800000, v9
	v_cmp_ne_u32_e32 vcc, s52, v6
                                        ; implicit-def: $vgpr6
	s_and_saveexec_b64 s[28:29], vcc
	s_xor_b64 s[28:29], exec, s[28:29]
; %bb.36:                               ;   in Loop: Header=BB280_7 Depth=1
	v_bfe_u32 v6, v9, 16, 1
	v_add3_u32 v6, v9, v6, s53
                                        ; implicit-def: $vgpr9
; %bb.37:                               ;   in Loop: Header=BB280_7 Depth=1
	s_andn2_saveexec_b64 s[28:29], s[28:29]
; %bb.38:                               ;   in Loop: Header=BB280_7 Depth=1
	v_or_b32_e32 v6, 0x10000, v9
	v_cmp_eq_u32_sdwa vcc, v9, v119 src0_sel:WORD_0 src1_sel:DWORD
	s_nop 1
	v_cndmask_b32_e32 v6, v6, v9, vcc
; %bb.39:                               ;   in Loop: Header=BB280_7 Depth=1
	s_or_b64 exec, exec, s[28:29]
	v_cvt_f32_i32_e32 v9, v11
	v_mov_b32_e32 v117, v119
	s_waitcnt lgkmcnt(0)
	v_lshl_add_u64 v[14:15], v[116:117], 1, s[10:11]
	global_store_short_d16_hi v[14:15], v6, off
	v_add_f32_e32 v6, v10, v9
	s_waitcnt vmcnt(4)
	v_lshlrev_b32_e32 v9, 16, v13
	v_add_f32_e32 v9, v6, v9
	v_and_b32_e32 v6, 0x7f800000, v9
	v_cmp_ne_u32_e32 vcc, s52, v6
                                        ; implicit-def: $vgpr6
	s_and_saveexec_b64 s[28:29], vcc
	s_xor_b64 s[28:29], exec, s[28:29]
; %bb.40:                               ;   in Loop: Header=BB280_7 Depth=1
	v_bfe_u32 v6, v9, 16, 1
	v_add3_u32 v6, v9, v6, s53
                                        ; implicit-def: $vgpr9
; %bb.41:                               ;   in Loop: Header=BB280_7 Depth=1
	s_andn2_saveexec_b64 s[28:29], s[28:29]
; %bb.42:                               ;   in Loop: Header=BB280_7 Depth=1
	v_or_b32_e32 v6, 0x10000, v9
	v_cmp_eq_u32_sdwa vcc, v9, v119 src0_sel:WORD_0 src1_sel:DWORD
	s_nop 1
	v_cndmask_b32_e32 v6, v6, v9, vcc
; %bb.43:                               ;   in Loop: Header=BB280_7 Depth=1
	s_or_b64 exec, exec, s[28:29]
	v_cvt_f32_i32_e32 v7, v7
	v_add_u32_e32 v118, s23, v116
	v_lshl_add_u64 v[10:11], v[118:119], 1, s[10:11]
	global_store_short_d16_hi v[10:11], v6, off
	v_add_f32_e32 v5, v5, v7
	s_waitcnt vmcnt(4)
	v_lshlrev_b32_e32 v6, 16, v12
	v_add_f32_e32 v6, v5, v6
	v_and_b32_e32 v5, 0x7f800000, v6
	v_cmp_ne_u32_e32 vcc, s52, v5
                                        ; implicit-def: $vgpr5
	s_and_saveexec_b64 s[28:29], vcc
	s_xor_b64 s[28:29], exec, s[28:29]
; %bb.44:                               ;   in Loop: Header=BB280_7 Depth=1
	v_bfe_u32 v5, v6, 16, 1
	v_add3_u32 v5, v6, v5, s53
                                        ; implicit-def: $vgpr6
; %bb.45:                               ;   in Loop: Header=BB280_7 Depth=1
	s_andn2_saveexec_b64 s[28:29], s[28:29]
; %bb.46:                               ;   in Loop: Header=BB280_7 Depth=1
	v_or_b32_e32 v5, 0x10000, v6
	v_cmp_eq_u32_sdwa vcc, v6, v119 src0_sel:WORD_0 src1_sel:DWORD
	s_nop 1
	v_cndmask_b32_e32 v5, v5, v6, vcc
; %bb.47:                               ;   in Loop: Header=BB280_7 Depth=1
	s_or_b64 exec, exec, s[28:29]
	v_cvt_f32_i32_e32 v3, v3
	v_add_u32_e32 v118, s23, v118
	v_lshl_add_u64 v[6:7], v[118:119], 1, s[10:11]
	global_store_short_d16_hi v[6:7], v5, off
	v_add_f32_e32 v2, v2, v3
	s_waitcnt vmcnt(4)
	v_lshlrev_b32_e32 v3, 16, v8
	v_add_f32_e32 v3, v2, v3
	v_and_b32_e32 v2, 0x7f800000, v3
	v_cmp_ne_u32_e32 vcc, s52, v2
                                        ; implicit-def: $vgpr2
	s_and_saveexec_b64 s[28:29], vcc
	s_xor_b64 s[28:29], exec, s[28:29]
; %bb.48:                               ;   in Loop: Header=BB280_7 Depth=1
	v_bfe_u32 v2, v3, 16, 1
	v_add3_u32 v2, v3, v2, s53
                                        ; implicit-def: $vgpr3
; %bb.49:                               ;   in Loop: Header=BB280_7 Depth=1
	s_andn2_saveexec_b64 s[28:29], s[28:29]
; %bb.50:                               ;   in Loop: Header=BB280_7 Depth=1
	v_or_b32_e32 v2, 0x10000, v3
	v_cmp_eq_u32_sdwa vcc, v3, v119 src0_sel:WORD_0 src1_sel:DWORD
	s_nop 1
	v_cndmask_b32_e32 v2, v2, v3, vcc
; %bb.51:                               ;   in Loop: Header=BB280_7 Depth=1
	s_or_b64 exec, exec, s[28:29]
	v_cvt_f32_i32_e32 v1, v1
	v_add_u32_e32 v118, s23, v118
	v_lshl_add_u64 v[6:7], v[118:119], 1, s[10:11]
	global_store_short_d16_hi v[6:7], v2, off
	v_add_f32_e32 v0, v0, v1
	s_waitcnt vmcnt(4)
	v_lshlrev_b32_e32 v1, 16, v4
	v_add_f32_e32 v1, v0, v1
	v_and_b32_e32 v0, 0x7f800000, v1
	v_cmp_ne_u32_e32 vcc, s52, v0
                                        ; implicit-def: $vgpr0
	s_and_saveexec_b64 s[28:29], vcc
	s_xor_b64 s[28:29], exec, s[28:29]
; %bb.52:                               ;   in Loop: Header=BB280_7 Depth=1
	v_bfe_u32 v0, v1, 16, 1
	v_add3_u32 v0, v1, v0, s53
                                        ; implicit-def: $vgpr1
; %bb.53:                               ;   in Loop: Header=BB280_7 Depth=1
	s_andn2_saveexec_b64 s[28:29], s[28:29]
; %bb.54:                               ;   in Loop: Header=BB280_7 Depth=1
	v_or_b32_e32 v0, 0x10000, v1
	v_cmp_eq_u32_sdwa vcc, v1, v119 src0_sel:WORD_0 src1_sel:DWORD
	s_nop 1
	v_cndmask_b32_e32 v0, v0, v1, vcc
; %bb.55:                               ;   in Loop: Header=BB280_7 Depth=1
	s_or_b64 exec, exec, s[28:29]
	v_add_u32_e32 v118, s23, v118
	v_lshl_add_u64 v[2:3], v[118:119], 1, s[10:11]
	global_store_short_d16_hi v[2:3], v0, off
.LBB280_56:                             ;   in Loop: Header=BB280_7 Depth=1
	s_or_b64 exec, exec, s[6:7]
	v_add_u32_e32 v20, s42, v116
	v_add_u32_e32 v0, 1, v20
	v_cmp_gt_u32_e32 vcc, s23, v20
	v_cmp_le_u32_e64 s[6:7], s23, v0
	s_and_b64 s[28:29], vcc, s[6:7]
	s_and_saveexec_b64 s[6:7], s[28:29]
	s_cbranch_execz .LBB280_5
; %bb.57:                               ;   in Loop: Header=BB280_7 Depth=1
	v_add_u32_e32 v0, s13, v116
	v_cmp_eq_u32_e32 vcc, 1, v0
	v_mov_b32_e32 v20, s41
	s_nop 0
	v_cndmask_b32_e32 v121, 0, v121, vcc
	s_branch .LBB280_5
.LBB280_58:
	s_endpgm
	.section	.rodata,"a",@progbits
	.p2align	6, 0x0
	.amdhsa_kernel _Z16wvSplitK_hf_big_I14__hip_bfloat16Li32ELi1ELi16ELi8ELi4ELi5EEviiiiiiPKT_S3_S3_PS1_ii
		.amdhsa_group_segment_fixed_size 65536
		.amdhsa_private_segment_fixed_size 0
		.amdhsa_kernarg_size 64
		.amdhsa_user_sgpr_count 2
		.amdhsa_user_sgpr_dispatch_ptr 0
		.amdhsa_user_sgpr_queue_ptr 0
		.amdhsa_user_sgpr_kernarg_segment_ptr 1
		.amdhsa_user_sgpr_dispatch_id 0
		.amdhsa_user_sgpr_kernarg_preload_length 0
		.amdhsa_user_sgpr_kernarg_preload_offset 0
		.amdhsa_user_sgpr_private_segment_size 0
		.amdhsa_uses_dynamic_stack 0
		.amdhsa_enable_private_segment 0
		.amdhsa_system_sgpr_workgroup_id_x 1
		.amdhsa_system_sgpr_workgroup_id_y 0
		.amdhsa_system_sgpr_workgroup_id_z 0
		.amdhsa_system_sgpr_workgroup_info 0
		.amdhsa_system_vgpr_workitem_id 1
		.amdhsa_next_free_vgpr 137
		.amdhsa_next_free_sgpr 56
		.amdhsa_accum_offset 140
		.amdhsa_reserve_vcc 1
		.amdhsa_float_round_mode_32 0
		.amdhsa_float_round_mode_16_64 0
		.amdhsa_float_denorm_mode_32 3
		.amdhsa_float_denorm_mode_16_64 3
		.amdhsa_dx10_clamp 1
		.amdhsa_ieee_mode 1
		.amdhsa_fp16_overflow 0
		.amdhsa_tg_split 0
		.amdhsa_exception_fp_ieee_invalid_op 0
		.amdhsa_exception_fp_denorm_src 0
		.amdhsa_exception_fp_ieee_div_zero 0
		.amdhsa_exception_fp_ieee_overflow 0
		.amdhsa_exception_fp_ieee_underflow 0
		.amdhsa_exception_fp_ieee_inexact 0
		.amdhsa_exception_int_div_zero 0
	.end_amdhsa_kernel
	.section	.text._Z16wvSplitK_hf_big_I14__hip_bfloat16Li32ELi1ELi16ELi8ELi4ELi5EEviiiiiiPKT_S3_S3_PS1_ii,"axG",@progbits,_Z16wvSplitK_hf_big_I14__hip_bfloat16Li32ELi1ELi16ELi8ELi4ELi5EEviiiiiiPKT_S3_S3_PS1_ii,comdat
.Lfunc_end280:
	.size	_Z16wvSplitK_hf_big_I14__hip_bfloat16Li32ELi1ELi16ELi8ELi4ELi5EEviiiiiiPKT_S3_S3_PS1_ii, .Lfunc_end280-_Z16wvSplitK_hf_big_I14__hip_bfloat16Li32ELi1ELi16ELi8ELi4ELi5EEviiiiiiPKT_S3_S3_PS1_ii
                                        ; -- End function
	.section	.AMDGPU.csdata,"",@progbits
; Kernel info:
; codeLenInByte = 4284
; NumSgprs: 62
; NumVgprs: 137
; NumAgprs: 0
; TotalNumVgprs: 137
; ScratchSize: 0
; MemoryBound: 0
; FloatMode: 240
; IeeeMode: 1
; LDSByteSize: 65536 bytes/workgroup (compile time only)
; SGPRBlocks: 7
; VGPRBlocks: 17
; NumSGPRsForWavesPerEU: 62
; NumVGPRsForWavesPerEU: 137
; AccumOffset: 140
; Occupancy: 2
; WaveLimiterHint : 0
; COMPUTE_PGM_RSRC2:SCRATCH_EN: 0
; COMPUTE_PGM_RSRC2:USER_SGPR: 2
; COMPUTE_PGM_RSRC2:TRAP_HANDLER: 0
; COMPUTE_PGM_RSRC2:TGID_X_EN: 1
; COMPUTE_PGM_RSRC2:TGID_Y_EN: 0
; COMPUTE_PGM_RSRC2:TGID_Z_EN: 0
; COMPUTE_PGM_RSRC2:TIDIG_COMP_CNT: 1
; COMPUTE_PGM_RSRC3_GFX90A:ACCUM_OFFSET: 34
; COMPUTE_PGM_RSRC3_GFX90A:TG_SPLIT: 0
	.section	.text._Z16wvSplitK_hf_sml_I14__hip_bfloat16Li32ELi2ELi16ELi8ELi2ELi5EEviiiiiiPKT_S3_S3_PS1_ii,"axG",@progbits,_Z16wvSplitK_hf_sml_I14__hip_bfloat16Li32ELi2ELi16ELi8ELi2ELi5EEviiiiiiPKT_S3_S3_PS1_ii,comdat
	.protected	_Z16wvSplitK_hf_sml_I14__hip_bfloat16Li32ELi2ELi16ELi8ELi2ELi5EEviiiiiiPKT_S3_S3_PS1_ii ; -- Begin function _Z16wvSplitK_hf_sml_I14__hip_bfloat16Li32ELi2ELi16ELi8ELi2ELi5EEviiiiiiPKT_S3_S3_PS1_ii
	.globl	_Z16wvSplitK_hf_sml_I14__hip_bfloat16Li32ELi2ELi16ELi8ELi2ELi5EEviiiiiiPKT_S3_S3_PS1_ii
	.p2align	8
	.type	_Z16wvSplitK_hf_sml_I14__hip_bfloat16Li32ELi2ELi16ELi8ELi2ELi5EEviiiiiiPKT_S3_S3_PS1_ii,@function
_Z16wvSplitK_hf_sml_I14__hip_bfloat16Li32ELi2ELi16ELi8ELi2ELi5EEviiiiiiPKT_S3_S3_PS1_ii: ; @_Z16wvSplitK_hf_sml_I14__hip_bfloat16Li32ELi2ELi16ELi8ELi2ELi5EEviiiiiiPKT_S3_S3_PS1_ii
; %bb.0:
	s_load_dwordx4 s[4:7], s[0:1], 0x0
	v_and_b32_e32 v4, 0x3ff, v0
	v_bfe_u32 v5, v0, 10, 10
	v_lshlrev_b32_e32 v104, 3, v4
	v_lshl_add_u32 v6, v5, 8, v104
	s_waitcnt lgkmcnt(0)
	s_mul_i32 s3, s6, 5
	s_min_u32 s3, s3, 0x8000
	v_cmp_gt_u32_e32 vcc, s3, v6
	s_and_saveexec_b64 s[8:9], vcc
	s_cbranch_execz .LBB281_9
; %bb.1:
	s_load_dwordx2 s[10:11], s[0:1], 0x20
	v_lshlrev_b32_e32 v0, 1, v6
	v_add_u32_e32 v1, 0x1000, v6
	v_cmp_gt_u32_e32 vcc, s3, v1
	s_waitcnt lgkmcnt(0)
	global_load_dwordx4 v[8:11], v0, s[10:11]
	s_waitcnt vmcnt(0)
	ds_write_b128 v0, v[8:11]
	s_and_saveexec_b64 s[12:13], vcc
	s_xor_b64 s[12:13], exec, s[12:13]
	s_cbranch_execz .LBB281_9
; %bb.2:
	v_mov_b32_e32 v1, 0
	v_lshl_add_u64 v[2:3], s[10:11], 0, v[0:1]
	v_add_co_u32_e32 v8, vcc, 0x2000, v2
	v_add_u32_e32 v1, 0x2000, v6
	s_nop 0
	v_addc_co_u32_e32 v9, vcc, 0, v3, vcc
	global_load_dwordx4 v[8:11], v[8:9], off
	v_cmp_gt_u32_e32 vcc, s3, v1
	s_waitcnt vmcnt(0)
	ds_write_b128 v0, v[8:11] offset:8192
	s_and_saveexec_b64 s[10:11], vcc
	s_xor_b64 s[10:11], exec, s[10:11]
	s_cbranch_execz .LBB281_9
; %bb.3:
	v_add_co_u32_e32 v8, vcc, 0x4000, v2
	v_add_u32_e32 v1, 0x3000, v6
	s_nop 0
	v_addc_co_u32_e32 v9, vcc, 0, v3, vcc
	global_load_dwordx4 v[8:11], v[8:9], off
	v_cmp_gt_u32_e32 vcc, s3, v1
	s_waitcnt vmcnt(0)
	ds_write_b128 v0, v[8:11] offset:16384
	s_and_saveexec_b64 s[10:11], vcc
	s_xor_b64 s[10:11], exec, s[10:11]
	s_cbranch_execz .LBB281_9
; %bb.4:
	;; [unrolled: 12-line block ×6, first 2 shown]
	v_add_co_u32_e32 v2, vcc, 0xe000, v2
	s_nop 1
	v_addc_co_u32_e32 v3, vcc, 0, v3, vcc
	global_load_dwordx4 v[6:9], v[2:3], off
	s_waitcnt vmcnt(0)
	ds_write_b128 v0, v[6:9] offset:57344
.LBB281_9:
	s_or_b64 exec, exec, s[8:9]
	s_load_dwordx2 s[16:17], s[0:1], 0x38
	s_waitcnt lgkmcnt(0)
	s_barrier
	v_cmp_gt_u32_e32 vcc, s16, v5
	s_and_saveexec_b64 s[8:9], vcc
	s_cbranch_execz .LBB281_64
; %bb.10:
	s_load_dwordx2 s[12:13], s[0:1], 0x10
	s_mul_i32 s2, s2, s16
	v_add_lshl_u32 v88, s2, v5, 1
	v_cmp_gt_u32_e32 vcc, s7, v88
	s_and_b64 exec, exec, vcc
	s_cbranch_execz .LBB281_64
; %bb.11:
	s_load_dwordx4 s[8:11], s[0:1], 0x28
	s_load_dwordx2 s[14:15], s[0:1], 0x18
	s_cmp_lg_u32 s4, 0
	s_cselect_b64 s[2:3], -1, 0
	s_add_i32 s24, s4, -8
	s_add_i32 s25, s7, -1
	s_waitcnt lgkmcnt(0)
	s_cmp_lg_u64 s[8:9], 0
	s_cselect_b64 s[18:19], -1, 0
	s_abs_i32 s21, s13
	v_cvt_f32_u32_e32 v0, s12
	v_cvt_f32_u32_e32 v1, s21
	s_mul_i32 s20, s16, s17
	s_lshl_b32 s13, s20, 1
	v_rcp_iflag_f32_e32 v0, v0
	v_rcp_iflag_f32_e32 v1, v1
	s_sub_i32 s20, 0, s12
	v_cmp_eq_u32_e64 s[0:1], 31, v4
	v_mul_f32_e32 v0, 0x4f7ffffe, v0
	v_mul_f32_e32 v1, 0x4f7ffffe, v1
	v_cvt_u32_f32_e32 v0, v0
	v_cvt_u32_f32_e32 v1, v1
	s_mov_b64 s[16:17], 0
	v_mov_b32_e32 v91, 0
	v_mul_lo_u32 v2, s20, v0
	s_sub_i32 s20, 0, s21
	v_readfirstlane_b32 s22, v1
	s_mul_i32 s20, s20, s22
	s_mul_hi_u32 s20, s22, s20
	s_add_i32 s22, s22, s20
	s_sub_i32 s20, 1, s21
	s_cmp_lt_u32 s21, 2
	s_cselect_b32 s20, s20, 1
	s_sub_i32 s23, s20, s21
	s_cmp_ge_u32 s20, s21
	s_cselect_b32 s26, s23, s20
	s_lshr_b32 s20, s22, 31
	s_mul_i32 s20, s20, s21
	s_sub_i32 s20, 2, s20
	s_sub_i32 s23, s20, s21
	s_cmp_ge_u32 s20, s21
	s_cselect_b32 s20, s23, s20
	s_sub_i32 s23, s20, s21
	s_cmp_ge_u32 s20, s21
	s_cselect_b32 s27, s23, s20
	s_mul_hi_u32 s20, s22, 3
	s_mul_i32 s20, s20, s21
	s_sub_i32 s20, 3, s20
	s_sub_i32 s23, s20, s21
	s_cmp_ge_u32 s20, s21
	s_cselect_b32 s20, s23, s20
	s_sub_i32 s23, s20, s21
	s_cmp_ge_u32 s20, s21
	s_cselect_b32 s28, s23, s20
	s_lshr_b32 s20, s22, 30
	s_mul_i32 s20, s20, s21
	s_sub_i32 s20, 4, s20
	s_sub_i32 s22, s20, s21
	s_cmp_ge_u32 s20, s21
	s_cselect_b32 s20, s22, s20
	s_sub_i32 s22, s20, s21
	v_mul_hi_u32 v2, v0, v2
	s_cmp_ge_u32 s20, s21
	v_add_u32_e32 v105, v0, v2
	s_cselect_b32 s29, s22, s20
	v_cndmask_b32_e64 v0, 0, 1, s[2:3]
	s_mul_i32 s26, s26, s12
	s_mul_i32 s27, s27, s12
	;; [unrolled: 1-line block ×4, first 2 shown]
	s_lshl_b32 s30, s6, 3
	v_lshlrev_b32_e32 v106, 4, v4
	s_mul_i32 s31, s6, 6
	s_lshl_b32 s33, s6, 2
	s_lshl_b32 s6, s6, 1
	v_cmp_ne_u32_e64 s[2:3], 1, v0
	s_mov_b32 s34, 0x7f800000
	s_movk_i32 s35, 0x7fff
	s_branch .LBB281_14
.LBB281_12:                             ;   in Loop: Header=BB281_14 Depth=1
	s_or_b64 exec, exec, s[22:23]
	global_store_short_d16_hi v[0:1], v3, off offset:2
.LBB281_13:                             ;   in Loop: Header=BB281_14 Depth=1
	s_or_b64 exec, exec, s[20:21]
	v_add_u32_e32 v88, s13, v88
	v_cmp_le_u32_e32 vcc, s7, v88
	s_or_b64 s[16:17], vcc, s[16:17]
	s_andn2_b64 exec, exec, s[16:17]
	s_cbranch_execz .LBB281_64
.LBB281_14:                             ; =>This Loop Header: Depth=1
                                        ;     Child Loop BB281_18 Depth 2
	s_and_b64 vcc, exec, s[2:3]
	v_mov_b32_e32 v7, v91
	v_mov_b32_e32 v6, v91
	;; [unrolled: 1-line block ×40, first 2 shown]
	s_cbranch_vccnz .LBB281_21
; %bb.15:                               ;   in Loop: Header=BB281_14 Depth=1
	v_min_u32_e32 v0, s25, v88
	v_mul_lo_u32 v90, v0, s5
	v_or_b32_e32 v0, 1, v88
	v_min_u32_e32 v0, s25, v0
	v_mul_lo_u32 v0, v0, s5
	v_mov_b32_e32 v1, v91
	v_mov_b32_e32 v16, 0
	s_mov_b32 s36, 0
	v_lshlrev_b64 v[92:93], 1, v[90:91]
	v_lshlrev_b64 v[94:95], 1, v[0:1]
	v_mov_b32_e32 v89, v106
	v_mov_b32_e32 v17, v16
	;; [unrolled: 1-line block ×40, first 2 shown]
	s_branch .LBB281_18
.LBB281_16:                             ;   in Loop: Header=BB281_18 Depth=2
	s_or_b64 exec, exec, s[22:23]
.LBB281_17:                             ;   in Loop: Header=BB281_18 Depth=2
	s_or_b64 exec, exec, s[20:21]
	s_waitcnt vmcnt(3) lgkmcnt(1)
	v_mfma_f32_4x4x4_16b_bf16 v[36:39], v[84:85], v[56:57], v[36:39]
	s_addk_i32 s36, 0x200
	s_waitcnt vmcnt(2)
	v_mfma_f32_4x4x4_16b_bf16 v[32:35], v[84:85], v[52:53], v[32:35]
	v_add_u32_e32 v89, 0x400, v89
	v_mfma_f32_4x4x4_16b_bf16 v[28:31], v[80:81], v[56:57], v[28:31]
	s_cmp_ge_u32 s36, s4
	v_mfma_f32_4x4x4_16b_bf16 v[24:27], v[80:81], v[52:53], v[24:27]
	v_mfma_f32_4x4x4_16b_bf16 v[20:23], v[102:103], v[56:57], v[20:23]
	;; [unrolled: 1-line block ×5, first 2 shown]
	s_waitcnt lgkmcnt(0)
	v_mfma_f32_4x4x4_16b_bf16 v[0:3], v[60:61], v[56:57], v[0:3]
	v_mfma_f32_4x4x4_16b_bf16 v[4:7], v[60:61], v[52:53], v[4:7]
	;; [unrolled: 1-line block ×12, first 2 shown]
	s_waitcnt vmcnt(1)
	v_mfma_f32_4x4x4_16b_bf16 v[36:39], v[76:77], v[44:45], v[36:39]
	s_waitcnt vmcnt(0)
	v_mfma_f32_4x4x4_16b_bf16 v[32:35], v[76:77], v[40:41], v[32:35]
	v_mfma_f32_4x4x4_16b_bf16 v[28:31], v[72:73], v[44:45], v[28:31]
	;; [unrolled: 1-line block ×19, first 2 shown]
	s_cbranch_scc1 .LBB281_21
.LBB281_18:                             ;   Parent Loop BB281_14 Depth=1
                                        ; =>  This Inner Loop Header: Depth=2
	v_add_u32_e32 v60, s36, v104
	v_min_u32_e32 v90, s24, v60
	v_lshl_add_u64 v[40:41], v[90:91], 1, s[14:15]
	v_add_u32_e32 v107, 0x100, v60
	v_lshl_add_u64 v[42:43], v[40:41], 0, v[92:93]
	v_lshl_add_u64 v[40:41], v[40:41], 0, v[94:95]
	v_min_u32_e32 v90, s24, v107
	global_load_dwordx4 v[56:59], v[42:43], off nt
	global_load_dwordx4 v[52:55], v[40:41], off nt
	v_lshl_add_u64 v[40:41], v[90:91], 1, s[14:15]
	v_lshl_add_u64 v[48:49], v[40:41], 0, v[92:93]
	;; [unrolled: 1-line block ×3, first 2 shown]
	global_load_dwordx4 v[44:47], v[48:49], off nt
	global_load_dwordx4 v[40:43], v[50:51], off nt
	v_cmp_gt_u32_e32 vcc, s4, v60
	v_mov_b32_e32 v50, 0
	v_mov_b32_e32 v51, 0
	;; [unrolled: 1-line block ×40, first 2 shown]
	s_and_saveexec_b64 s[20:21], vcc
	s_cbranch_execz .LBB281_17
; %bb.19:                               ;   in Loop: Header=BB281_18 Depth=2
	v_add_u32_e32 v110, s6, v89
	v_add_u32_e32 v90, s33, v89
	ds_read_b128 v[80:83], v110
	ds_read2_b32 v[102:103], v90 offset1:1
	v_add_u32_e32 v109, s31, v89
	ds_read2_b32 v[100:101], v90 offset0:2 offset1:3
	ds_read_b128 v[68:71], v109
	v_add_u32_e32 v108, s30, v89
	ds_read_b128 v[84:87], v89
	ds_read2_b64 v[60:63], v108 offset1:1
	v_cmp_gt_u32_e32 vcc, s4, v107
	v_mov_b32_e32 v77, 0
	v_mov_b32_e32 v76, 0
	v_mov_b32_e32 v79, 0
	v_mov_b32_e32 v78, 0
	v_mov_b32_e32 v73, 0
	v_mov_b32_e32 v72, 0
	v_mov_b32_e32 v75, 0
	v_mov_b32_e32 v74, 0
	v_mov_b32_e32 v99, 0
	v_mov_b32_e32 v98, 0
	v_mov_b32_e32 v97, 0
	v_mov_b32_e32 v96, 0
	v_mov_b32_e32 v65, 0
	v_mov_b32_e32 v64, 0
	v_mov_b32_e32 v67, 0
	v_mov_b32_e32 v66, 0
	v_mov_b32_e32 v49, 0
	v_mov_b32_e32 v48, 0
	v_mov_b32_e32 v51, 0
	v_mov_b32_e32 v50, 0
	s_and_saveexec_b64 s[22:23], vcc
	s_cbranch_execz .LBB281_16
; %bb.20:                               ;   in Loop: Header=BB281_18 Depth=2
	ds_read_b128 v[72:75], v110 offset:512
	ds_read2_b32 v[98:99], v90 offset0:128 offset1:129
	ds_read2_b32 v[96:97], v90 offset0:130 offset1:131
	ds_read_b128 v[64:67], v109 offset:512
	ds_read_b128 v[76:79], v89 offset:512
	ds_read2_b64 v[48:51], v108 offset0:64 offset1:65
	s_branch .LBB281_16
.LBB281_21:                             ;   in Loop: Header=BB281_14 Depth=1
	; sched_barrier mask(0x00000000)
	v_cvt_i32_f32_e32 v37, v37
	v_cvt_i32_f32_e32 v38, v38
	;; [unrolled: 1-line block ×4, first 2 shown]
	v_cvt_f32_i32_dpp v37, v37 row_shl:1 row_mask:0xf bank_mask:0xf bound_ctrl:1
	v_cvt_f32_i32_dpp v38, v38 row_shl:2 row_mask:0xf bank_mask:0xf bound_ctrl:1
	;; [unrolled: 1-line block ×3, first 2 shown]
	v_cvt_i32_f32_e32 v34, v34
	v_add_f32_e32 v36, v36, v37
	v_add_f32_e32 v36, v36, v38
	;; [unrolled: 1-line block ×3, first 2 shown]
	v_cvt_i32_f32_e32 v37, v36
	v_cvt_i32_f32_e32 v35, v35
	v_cvt_f32_i32_dpp v33, v33 row_shl:1 row_mask:0xf bank_mask:0xf bound_ctrl:1
	v_cvt_f32_i32_dpp v34, v34 row_shl:2 row_mask:0xf bank_mask:0xf bound_ctrl:1
	;; [unrolled: 1-line block ×4, first 2 shown]
	v_add_f32_e32 v32, v32, v33
	v_add_f32_e32 v32, v32, v34
	v_cvt_i32_f32_e32 v29, v29
	v_add_f32_e32 v33, v36, v37
	v_add_f32_e32 v32, v32, v35
	v_cvt_i32_f32_e32 v36, v33
	v_cvt_i32_f32_e32 v34, v32
	;; [unrolled: 1-line block ×4, first 2 shown]
	v_cvt_f32_i32_dpp v29, v29 row_shl:1 row_mask:0xf bank_mask:0xf bound_ctrl:1
	v_cvt_f32_i32_dpp v35, v36 row_shl:8 row_mask:0xf bank_mask:0xf bound_ctrl:1
	;; [unrolled: 1-line block ×5, first 2 shown]
	v_add_f32_e32 v28, v28, v29
	v_add_f32_e32 v33, v33, v35
	;; [unrolled: 1-line block ×4, first 2 shown]
	v_cvt_i32_f32_e32 v33, v33
	v_cvt_i32_f32_e32 v34, v32
	v_add_f32_e32 v28, v28, v31
	v_cvt_i32_f32_e32 v29, v28
	v_cvt_f32_i32_dpp v33, v33 row_shr:15 row_mask:0xf bank_mask:0xf bound_ctrl:1
	v_cvt_f32_i32_dpp v34, v34 row_shl:8 row_mask:0xf bank_mask:0xf bound_ctrl:1
	v_cvt_i32_f32_e32 v25, v25
	v_cvt_f32_i32_dpp v29, v29 row_shl:4 row_mask:0xf bank_mask:0xf bound_ctrl:1
	v_cvt_i32_f32_e32 v30, v33
	v_add_f32_e32 v31, v32, v34
	v_cvt_i32_f32_e32 v26, v26
	v_cvt_i32_f32_e32 v31, v31
	v_add_f32_e32 v32, v28, v29
	v_cvt_i32_f32_e32 v27, v27
	v_cvt_i32_f32_e32 v29, v32
	v_cvt_f32_i32_dpp v25, v25 row_shl:1 row_mask:0xf bank_mask:0xf bound_ctrl:1
	v_cvt_f32_i32_dpp v30, v30 row_bcast:15 row_mask:0xf bank_mask:0xf bound_ctrl:1
	v_cvt_f32_i32_dpp v26, v26 row_shl:2 row_mask:0xf bank_mask:0xf bound_ctrl:1
	v_cvt_f32_i32_dpp v31, v31 row_shr:15 row_mask:0xf bank_mask:0xf bound_ctrl:1
	v_cvt_f32_i32_dpp v27, v27 row_shl:3 row_mask:0xf bank_mask:0xf bound_ctrl:1
	v_cvt_f32_i32_dpp v34, v29 row_shl:8 row_mask:0xf bank_mask:0xf bound_ctrl:1
	v_add_f32_e32 v24, v24, v25
	v_cvt_i32_f32_e32 v21, v21
	v_add_f32_e32 v28, v33, v30
	v_add_f32_e32 v24, v24, v26
	v_cvt_i32_f32_e32 v22, v22
	v_cvt_i32_f32_e32 v30, v28
	;; [unrolled: 1-line block ×3, first 2 shown]
	v_add_f32_e32 v25, v24, v27
	v_cvt_i32_f32_e32 v23, v23
	v_add_f32_e32 v32, v32, v34
	v_cvt_i32_f32_e32 v26, v25
	v_cvt_i32_f32_e32 v32, v32
	v_cvt_f32_i32_dpp v21, v21 row_shl:1 row_mask:0xf bank_mask:0xf bound_ctrl:1
	v_cvt_f32_i32_dpp v22, v22 row_shl:2 row_mask:0xf bank_mask:0xf bound_ctrl:1
	v_mov_b32_dpp v29, v30 row_bcast:31 row_mask:0xf bank_mask:0xf bound_ctrl:1
	v_cvt_f32_i32_dpp v30, v33 row_bcast:15 row_mask:0xf bank_mask:0xf bound_ctrl:1
	v_cvt_f32_i32_dpp v23, v23 row_shl:3 row_mask:0xf bank_mask:0xf bound_ctrl:1
	v_cvt_f32_i32_dpp v26, v26 row_shl:4 row_mask:0xf bank_mask:0xf bound_ctrl:1
	v_cvt_f32_i32_dpp v32, v32 row_shr:15 row_mask:0xf bank_mask:0xf bound_ctrl:1
	v_add_f32_e32 v20, v20, v21
	v_add_f32_e32 v20, v20, v22
	;; [unrolled: 1-line block ×4, first 2 shown]
	v_cvt_i32_f32_e32 v27, v24
	v_add_f32_e32 v25, v25, v26
	v_cvt_i32_f32_e32 v20, v22
	v_cvt_i32_f32_e32 v30, v32
	;; [unrolled: 1-line block ×3, first 2 shown]
	v_mov_b32_dpp v21, v27 row_bcast:31 row_mask:0xf bank_mask:0xf bound_ctrl:1
	v_cvt_f32_i32_dpp v27, v20 row_shl:4 row_mask:0xf bank_mask:0xf bound_ctrl:1
	v_cvt_f32_i32_dpp v23, v30 row_bcast:15 row_mask:0xf bank_mask:0xf bound_ctrl:1
	v_cvt_f32_i32_dpp v26, v26 row_shl:8 row_mask:0xf bank_mask:0xf bound_ctrl:1
	v_cvt_i32_f32_e32 v17, v17
	v_add_f32_e32 v22, v22, v27
	v_cvt_i32_f32_e32 v18, v18
	v_add_f32_e32 v20, v32, v23
	v_add_f32_e32 v23, v25, v26
	v_cvt_i32_f32_e32 v19, v19
	v_cvt_i32_f32_e32 v25, v22
	v_cvt_f32_i32_dpp v17, v17 row_shl:1 row_mask:0xf bank_mask:0xf bound_ctrl:1
	v_cvt_f32_i32_dpp v18, v18 row_shl:2 row_mask:0xf bank_mask:0xf bound_ctrl:1
	;; [unrolled: 1-line block ×4, first 2 shown]
	v_add_f32_e32 v16, v16, v17
	v_add_f32_e32 v16, v16, v18
	;; [unrolled: 1-line block ×4, first 2 shown]
	v_cvt_i32_f32_e32 v17, v16
	v_cvt_i32_f32_e32 v19, v19
	;; [unrolled: 1-line block ×7, first 2 shown]
	v_cvt_f32_i32_dpp v17, v17 row_shl:4 row_mask:0xf bank_mask:0xf bound_ctrl:1
	v_cvt_i32_f32_e32 v22, v20
	v_cvt_f32_i32_dpp v19, v19 row_shr:15 row_mask:0xf bank_mask:0xf bound_ctrl:1
	v_cvt_f32_i32_dpp v1, v1 row_shl:1 row_mask:0xf bank_mask:0xf bound_ctrl:1
	v_cvt_f32_i32_dpp v13, v13 row_shl:1 row_mask:0xf bank_mask:0xf bound_ctrl:1
	v_cvt_i32_f32_e32 v9, v9
	v_cvt_f32_i32_dpp v2, v2 row_shl:2 row_mask:0xf bank_mask:0xf bound_ctrl:1
	v_cvt_i32_f32_e32 v3, v3
	;; [unrolled: 2-line block ×4, first 2 shown]
	v_add_f32_e32 v25, v16, v17
	v_mov_b32_dpp v17, v22 row_bcast:31 row_mask:0xf bank_mask:0xf bound_ctrl:1
	v_cvt_i32_f32_e32 v22, v19
	v_add_f32_e32 v0, v0, v1
	v_add_f32_e32 v12, v12, v13
	v_cvt_f32_i32_dpp v9, v9 row_shl:1 row_mask:0xf bank_mask:0xf bound_ctrl:1
	v_add_f32_e32 v0, v0, v2
	v_cvt_f32_i32_dpp v1, v3 row_shl:3 row_mask:0xf bank_mask:0xf bound_ctrl:1
	v_cvt_i32_f32_e32 v2, v5
	v_add_f32_e32 v12, v12, v14
	v_cvt_f32_i32_dpp v10, v10 row_shl:2 row_mask:0xf bank_mask:0xf bound_ctrl:1
	v_cvt_i32_f32_e32 v3, v6
	;; [unrolled: 3-line block ×3, first 2 shown]
	v_cvt_f32_i32_dpp v22, v22 row_bcast:15 row_mask:0xf bank_mask:0xf bound_ctrl:1
	v_cvt_i32_f32_e32 v12, v14
	v_add_f32_e32 v8, v8, v9
	v_add_f32_e32 v0, v0, v1
	v_cvt_f32_i32_dpp v1, v2 row_shl:1 row_mask:0xf bank_mask:0xf bound_ctrl:1
	v_add_f32_e32 v8, v8, v10
	v_cvt_f32_i32_dpp v2, v3 row_shl:2 row_mask:0xf bank_mask:0xf bound_ctrl:1
	;; [unrolled: 2-line block ×4, first 2 shown]
	v_cvt_i32_f32_e32 v10, v9
	v_add_f32_e32 v1, v4, v1
	v_add_f32_e32 v1, v1, v2
	;; [unrolled: 1-line block ×4, first 2 shown]
	v_cvt_f32_i32_dpp v10, v10 row_shl:4 row_mask:0xf bank_mask:0xf bound_ctrl:1
	v_cvt_i32_f32_e32 v5, v0
	v_cvt_i32_f32_e32 v2, v1
	;; [unrolled: 1-line block ×4, first 2 shown]
	v_add_f32_e32 v9, v9, v10
	v_cvt_f32_i32_dpp v4, v5 row_shl:4 row_mask:0xf bank_mask:0xf bound_ctrl:1
	v_cvt_f32_i32_dpp v2, v2 row_shl:4 row_mask:0xf bank_mask:0xf bound_ctrl:1
	v_cvt_f32_i32_dpp v18, v23 row_shr:15 row_mask:0xf bank_mask:0xf bound_ctrl:1
	v_cvt_f32_i32_dpp v19, v19 row_shl:8 row_mask:0xf bank_mask:0xf bound_ctrl:1
	v_cvt_i32_f32_e32 v10, v9
	v_add_f32_e32 v0, v0, v4
	v_add_f32_e32 v1, v1, v2
	v_cvt_i32_f32_e32 v23, v18
	v_cvt_i32_f32_e32 v16, v25
	v_add_f32_e32 v14, v14, v19
	v_cvt_f32_i32_dpp v3, v10 row_shl:8 row_mask:0xf bank_mask:0xf bound_ctrl:1
	v_cvt_i32_f32_e32 v4, v0
	v_cvt_i32_f32_e32 v2, v1
	;; [unrolled: 1-line block ×3, first 2 shown]
	v_cvt_f32_i32_dpp v23, v23 row_bcast:15 row_mask:0xf bank_mask:0xf bound_ctrl:1
	v_cvt_f32_i32_dpp v26, v16 row_shl:8 row_mask:0xf bank_mask:0xf bound_ctrl:1
	v_add_f32_e32 v3, v9, v3
	v_cvt_f32_i32_dpp v4, v4 row_shl:8 row_mask:0xf bank_mask:0xf bound_ctrl:1
	v_cvt_f32_i32_dpp v2, v2 row_shl:8 row_mask:0xf bank_mask:0xf bound_ctrl:1
	v_cvt_f32_i32_dpp v5, v14 row_shr:15 row_mask:0xf bank_mask:0xf bound_ctrl:1
	v_cvt_i32_f32_e32 v3, v3
	v_add_f32_e32 v16, v18, v23
	v_add_f32_e32 v23, v25, v26
	;; [unrolled: 1-line block ×4, first 2 shown]
	v_cvt_i32_f32_e32 v23, v23
	v_cvt_i32_f32_e32 v6, v5
	v_cvt_f32_i32_dpp v3, v3 row_shr:15 row_mask:0xf bank_mask:0xf bound_ctrl:1
	v_cvt_i32_f32_e32 v0, v0
	v_cvt_i32_f32_e32 v1, v1
	v_cvt_f32_i32_dpp v23, v23 row_shr:15 row_mask:0xf bank_mask:0xf bound_ctrl:1
	v_cvt_f32_i32_dpp v2, v6 row_bcast:15 row_mask:0xf bank_mask:0xf bound_ctrl:1
	v_cvt_f32_i32_dpp v0, v0 row_shr:15 row_mask:0xf bank_mask:0xf bound_ctrl:1
	v_cvt_i32_f32_e32 v4, v3
	v_cvt_f32_i32_dpp v1, v1 row_shr:15 row_mask:0xf bank_mask:0xf bound_ctrl:1
	v_cvt_i32_f32_e32 v18, v16
	v_cvt_i32_f32_e32 v25, v23
	v_add_f32_e32 v10, v5, v2
	v_cvt_i32_f32_e32 v2, v0
	v_cvt_f32_i32_dpp v4, v4 row_bcast:15 row_mask:0xf bank_mask:0xf bound_ctrl:1
	v_cvt_i32_f32_e32 v5, v1
	v_mov_b32_dpp v15, v18 row_bcast:31 row_mask:0xf bank_mask:0xf bound_ctrl:1
	v_cvt_f32_i32_dpp v18, v25 row_bcast:15 row_mask:0xf bank_mask:0xf bound_ctrl:1
	v_cvt_f32_i32_dpp v2, v2 row_bcast:15 row_mask:0xf bank_mask:0xf bound_ctrl:1
	v_add_f32_e32 v6, v3, v4
	v_cvt_f32_i32_dpp v3, v5 row_bcast:15 row_mask:0xf bank_mask:0xf bound_ctrl:1
	v_add_f32_e32 v12, v23, v18
	v_add_f32_e32 v4, v0, v2
	v_cvt_i32_f32_e32 v22, v13
	v_add_f32_e32 v2, v1, v3
	v_cvt_i32_f32_e32 v18, v12
	v_cvt_i32_f32_e32 v7, v10
	v_cvt_i32_f32_e32 v5, v6
	v_cvt_i32_f32_e32 v0, v4
	v_cvt_i32_f32_e32 v1, v2
	v_mov_b32_dpp v11, v22 row_bcast:31 row_mask:0xf bank_mask:0xf bound_ctrl:1
	v_mov_b32_dpp v8, v18 row_bcast:31 row_mask:0xf bank_mask:0xf bound_ctrl:1
	;; [unrolled: 1-line block ×6, first 2 shown]
	s_and_saveexec_b64 s[20:21], s[0:1]
	s_cbranch_execz .LBB281_13
; %bb.22:                               ;   in Loop: Header=BB281_14 Depth=1
	s_andn2_b64 vcc, exec, s[18:19]
	v_mov_b32_e32 v0, 0
	v_mov_b32_e32 v30, 0
	;; [unrolled: 1-line block ×10, first 2 shown]
	s_cbranch_vccnz .LBB281_24
; %bb.23:                               ;   in Loop: Header=BB281_14 Depth=1
	v_mul_hi_u32 v0, v88, v105
	v_mul_lo_u32 v0, v0, s12
	v_sub_u32_e32 v0, v88, v0
	v_subrev_u32_e32 v1, s12, v0
	v_cmp_le_u32_e32 vcc, s12, v0
	v_mov_b32_e32 v19, v91
	s_nop 0
	v_cndmask_b32_e32 v0, v0, v1, vcc
	v_subrev_u32_e32 v1, s12, v0
	v_cmp_le_u32_e32 vcc, s12, v0
	s_nop 1
	v_cndmask_b32_e32 v90, v0, v1, vcc
	v_or_b32_e32 v0, 1, v88
	v_mul_hi_u32 v1, v0, v105
	v_mul_lo_u32 v1, v1, s12
	v_sub_u32_e32 v0, v0, v1
	v_subrev_u32_e32 v1, s12, v0
	v_cmp_le_u32_e32 vcc, s12, v0
	v_lshl_add_u64 v[32:33], v[90:91], 1, s[8:9]
	s_nop 0
	v_cndmask_b32_e32 v0, v0, v1, vcc
	v_subrev_u32_e32 v1, s12, v0
	v_cmp_le_u32_e32 vcc, s12, v0
	s_nop 1
	v_cndmask_b32_e32 v18, v0, v1, vcc
	v_add_u32_e32 v0, s26, v90
	v_mov_b32_e32 v1, v91
	v_lshl_add_u64 v[36:37], v[0:1], 1, s[8:9]
	v_add_u32_e32 v0, s26, v18
	v_lshl_add_u64 v[38:39], v[0:1], 1, s[8:9]
	v_add_u32_e32 v0, s27, v90
	;; [unrolled: 2-line block ×5, first 2 shown]
	v_lshl_add_u64 v[34:35], v[18:19], 1, s[8:9]
	v_lshl_add_u64 v[46:47], v[0:1], 1, s[8:9]
	global_load_ushort v0, v[32:33], off
	global_load_ushort v30, v[34:35], off
	;; [unrolled: 1-line block ×8, first 2 shown]
	v_add_u32_e32 v90, s29, v90
	v_lshl_add_u64 v[32:33], v[90:91], 1, s[8:9]
	v_add_u32_e32 v90, s29, v18
	v_lshl_add_u64 v[34:35], v[90:91], 1, s[8:9]
	global_load_ushort v18, v[32:33], off
	global_load_ushort v9, v[34:35], off
.LBB281_24:                             ;   in Loop: Header=BB281_14 Depth=1
	v_cvt_f32_i32_e32 v1, v29
	s_waitcnt vmcnt(9)
	v_lshlrev_b32_e32 v0, 16, v0
	v_add_f32_e32 v1, v28, v1
	v_add_f32_e32 v0, v1, v0
	v_and_b32_e32 v1, 0x7f800000, v0
	v_cmp_ne_u32_e32 vcc, s34, v1
                                        ; implicit-def: $vgpr28
	s_and_saveexec_b64 s[22:23], vcc
	s_xor_b64 s[22:23], exec, s[22:23]
; %bb.25:                               ;   in Loop: Header=BB281_14 Depth=1
	v_bfe_u32 v1, v0, 16, 1
	v_add3_u32 v28, v0, v1, s35
                                        ; implicit-def: $vgpr0
; %bb.26:                               ;   in Loop: Header=BB281_14 Depth=1
	s_andn2_saveexec_b64 s[22:23], s[22:23]
; %bb.27:                               ;   in Loop: Header=BB281_14 Depth=1
	v_or_b32_e32 v1, 0x10000, v0
	v_cmp_eq_u32_sdwa vcc, v0, v91 src0_sel:WORD_0 src1_sel:DWORD
	s_nop 1
	v_cndmask_b32_e32 v28, v1, v0, vcc
; %bb.28:                               ;   in Loop: Header=BB281_14 Depth=1
	s_or_b64 exec, exec, s[22:23]
	v_cvt_f32_i32_e32 v21, v21
	v_mov_b32_e32 v89, v91
	v_lshl_add_u64 v[0:1], v[88:89], 1, s[10:11]
	global_store_short_d16_hi v[0:1], v28, off
	v_add_f32_e32 v21, v24, v21
	s_waitcnt vmcnt(9)
	v_lshlrev_b32_e32 v24, 16, v30
	v_add_f32_e32 v21, v21, v24
	v_and_b32_e32 v24, 0x7f800000, v21
	v_cmp_ne_u32_e32 vcc, s34, v24
                                        ; implicit-def: $vgpr24
	s_and_saveexec_b64 s[22:23], vcc
	s_xor_b64 s[22:23], exec, s[22:23]
; %bb.29:                               ;   in Loop: Header=BB281_14 Depth=1
	v_bfe_u32 v24, v21, 16, 1
	v_add3_u32 v24, v21, v24, s35
                                        ; implicit-def: $vgpr21
; %bb.30:                               ;   in Loop: Header=BB281_14 Depth=1
	s_andn2_saveexec_b64 s[22:23], s[22:23]
; %bb.31:                               ;   in Loop: Header=BB281_14 Depth=1
	v_or_b32_e32 v24, 0x10000, v21
	v_cmp_eq_u32_sdwa vcc, v21, v91 src0_sel:WORD_0 src1_sel:DWORD
	s_nop 1
	v_cndmask_b32_e32 v24, v24, v21, vcc
; %bb.32:                               ;   in Loop: Header=BB281_14 Depth=1
	s_or_b64 exec, exec, s[22:23]
	v_cvt_f32_i32_e32 v17, v17
	global_store_short_d16_hi v[0:1], v24, off offset:2
	s_waitcnt vmcnt(9)
	v_lshlrev_b32_e32 v1, 16, v27
	v_add_f32_e32 v0, v20, v17
	v_add_f32_e32 v1, v0, v1
	v_and_b32_e32 v0, 0x7f800000, v1
	v_cmp_ne_u32_e32 vcc, s34, v0
                                        ; implicit-def: $vgpr0
	s_and_saveexec_b64 s[22:23], vcc
	s_xor_b64 s[22:23], exec, s[22:23]
; %bb.33:                               ;   in Loop: Header=BB281_14 Depth=1
	v_bfe_u32 v0, v1, 16, 1
	v_add3_u32 v0, v1, v0, s35
                                        ; implicit-def: $vgpr1
; %bb.34:                               ;   in Loop: Header=BB281_14 Depth=1
	s_andn2_saveexec_b64 s[22:23], s[22:23]
; %bb.35:                               ;   in Loop: Header=BB281_14 Depth=1
	v_or_b32_e32 v0, 0x10000, v1
	v_cmp_eq_u32_sdwa vcc, v1, v91 src0_sel:WORD_0 src1_sel:DWORD
	s_nop 1
	v_cndmask_b32_e32 v0, v0, v1, vcc
; %bb.36:                               ;   in Loop: Header=BB281_14 Depth=1
	s_or_b64 exec, exec, s[22:23]
	v_cvt_f32_i32_e32 v1, v15
	v_add_u32_e32 v90, s7, v88
	v_lshl_add_u64 v[20:21], v[90:91], 1, s[10:11]
	global_store_short_d16_hi v[20:21], v0, off
	v_add_f32_e32 v0, v16, v1
	s_waitcnt vmcnt(9)
	v_lshlrev_b32_e32 v1, 16, v26
	v_add_f32_e32 v1, v0, v1
	v_and_b32_e32 v0, 0x7f800000, v1
	v_cmp_ne_u32_e32 vcc, s34, v0
                                        ; implicit-def: $vgpr0
	s_and_saveexec_b64 s[22:23], vcc
	s_xor_b64 s[22:23], exec, s[22:23]
; %bb.37:                               ;   in Loop: Header=BB281_14 Depth=1
	v_bfe_u32 v0, v1, 16, 1
	v_add3_u32 v0, v1, v0, s35
                                        ; implicit-def: $vgpr1
; %bb.38:                               ;   in Loop: Header=BB281_14 Depth=1
	s_andn2_saveexec_b64 s[22:23], s[22:23]
; %bb.39:                               ;   in Loop: Header=BB281_14 Depth=1
	v_or_b32_e32 v0, 0x10000, v1
	v_cmp_eq_u32_sdwa vcc, v1, v91 src0_sel:WORD_0 src1_sel:DWORD
	s_nop 1
	v_cndmask_b32_e32 v0, v0, v1, vcc
; %bb.40:                               ;   in Loop: Header=BB281_14 Depth=1
	s_or_b64 exec, exec, s[22:23]
	v_cvt_f32_i32_e32 v1, v11
	v_add_u32_e32 v16, 1, v90
	v_mov_b32_e32 v17, v91
	v_lshl_add_u64 v[16:17], v[16:17], 1, s[10:11]
	v_add_f32_e32 v1, v13, v1
	global_store_short_d16_hi v[16:17], v0, off
	s_waitcnt vmcnt(9)
	v_lshlrev_b32_e32 v0, 16, v25
	v_add_f32_e32 v0, v1, v0
	v_and_b32_e32 v1, 0x7f800000, v0
	v_cmp_ne_u32_e32 vcc, s34, v1
                                        ; implicit-def: $vgpr11
	s_and_saveexec_b64 s[22:23], vcc
	s_xor_b64 s[22:23], exec, s[22:23]
; %bb.41:                               ;   in Loop: Header=BB281_14 Depth=1
	v_bfe_u32 v1, v0, 16, 1
	v_add3_u32 v11, v0, v1, s35
                                        ; implicit-def: $vgpr0
; %bb.42:                               ;   in Loop: Header=BB281_14 Depth=1
	s_andn2_saveexec_b64 s[22:23], s[22:23]
; %bb.43:                               ;   in Loop: Header=BB281_14 Depth=1
	v_or_b32_e32 v1, 0x10000, v0
	v_cmp_eq_u32_sdwa vcc, v0, v91 src0_sel:WORD_0 src1_sel:DWORD
	s_nop 1
	v_cndmask_b32_e32 v11, v1, v0, vcc
; %bb.44:                               ;   in Loop: Header=BB281_14 Depth=1
	s_or_b64 exec, exec, s[22:23]
	v_cvt_f32_i32_e32 v8, v8
	v_add_u32_e32 v90, s7, v90
	v_lshl_add_u64 v[0:1], v[90:91], 1, s[10:11]
	global_store_short_d16_hi v[0:1], v11, off
	v_add_f32_e32 v8, v12, v8
	s_waitcnt vmcnt(9)
	v_lshlrev_b32_e32 v11, 16, v23
	v_add_f32_e32 v8, v8, v11
	v_and_b32_e32 v11, 0x7f800000, v8
	v_cmp_ne_u32_e32 vcc, s34, v11
                                        ; implicit-def: $vgpr11
	s_and_saveexec_b64 s[22:23], vcc
	s_xor_b64 s[22:23], exec, s[22:23]
; %bb.45:                               ;   in Loop: Header=BB281_14 Depth=1
	v_bfe_u32 v11, v8, 16, 1
	v_add3_u32 v11, v8, v11, s35
                                        ; implicit-def: $vgpr8
; %bb.46:                               ;   in Loop: Header=BB281_14 Depth=1
	s_andn2_saveexec_b64 s[22:23], s[22:23]
; %bb.47:                               ;   in Loop: Header=BB281_14 Depth=1
	v_or_b32_e32 v11, 0x10000, v8
	v_cmp_eq_u32_sdwa vcc, v8, v91 src0_sel:WORD_0 src1_sel:DWORD
	s_nop 1
	v_cndmask_b32_e32 v11, v11, v8, vcc
; %bb.48:                               ;   in Loop: Header=BB281_14 Depth=1
	s_or_b64 exec, exec, s[22:23]
	v_cvt_f32_i32_e32 v8, v14
	global_store_short_d16_hi v[0:1], v11, off offset:2
	s_waitcnt vmcnt(9)
	v_lshlrev_b32_e32 v1, 16, v22
	v_add_f32_e32 v0, v10, v8
	v_add_f32_e32 v1, v0, v1
	v_and_b32_e32 v0, 0x7f800000, v1
	v_cmp_ne_u32_e32 vcc, s34, v0
                                        ; implicit-def: $vgpr0
	s_and_saveexec_b64 s[22:23], vcc
	s_xor_b64 s[22:23], exec, s[22:23]
; %bb.49:                               ;   in Loop: Header=BB281_14 Depth=1
	v_bfe_u32 v0, v1, 16, 1
	v_add3_u32 v0, v1, v0, s35
                                        ; implicit-def: $vgpr1
; %bb.50:                               ;   in Loop: Header=BB281_14 Depth=1
	s_andn2_saveexec_b64 s[22:23], s[22:23]
; %bb.51:                               ;   in Loop: Header=BB281_14 Depth=1
	v_or_b32_e32 v0, 0x10000, v1
	v_cmp_eq_u32_sdwa vcc, v1, v91 src0_sel:WORD_0 src1_sel:DWORD
	s_nop 1
	v_cndmask_b32_e32 v0, v0, v1, vcc
; %bb.52:                               ;   in Loop: Header=BB281_14 Depth=1
	s_or_b64 exec, exec, s[22:23]
	v_cvt_f32_i32_e32 v1, v7
	v_add_u32_e32 v90, s7, v90
	v_lshl_add_u64 v[10:11], v[90:91], 1, s[10:11]
	global_store_short_d16_hi v[10:11], v0, off
	v_add_f32_e32 v0, v6, v1
	s_waitcnt vmcnt(9)
	v_lshlrev_b32_e32 v1, 16, v19
	v_add_f32_e32 v1, v0, v1
	v_and_b32_e32 v0, 0x7f800000, v1
	v_cmp_ne_u32_e32 vcc, s34, v0
                                        ; implicit-def: $vgpr0
	s_and_saveexec_b64 s[22:23], vcc
	s_xor_b64 s[22:23], exec, s[22:23]
; %bb.53:                               ;   in Loop: Header=BB281_14 Depth=1
	v_bfe_u32 v0, v1, 16, 1
	v_add3_u32 v0, v1, v0, s35
                                        ; implicit-def: $vgpr1
; %bb.54:                               ;   in Loop: Header=BB281_14 Depth=1
	s_andn2_saveexec_b64 s[22:23], s[22:23]
; %bb.55:                               ;   in Loop: Header=BB281_14 Depth=1
	v_or_b32_e32 v0, 0x10000, v1
	v_cmp_eq_u32_sdwa vcc, v1, v91 src0_sel:WORD_0 src1_sel:DWORD
	s_nop 1
	v_cndmask_b32_e32 v0, v0, v1, vcc
; %bb.56:                               ;   in Loop: Header=BB281_14 Depth=1
	s_or_b64 exec, exec, s[22:23]
	v_cvt_f32_i32_e32 v1, v5
	v_add_u32_e32 v6, 1, v90
	v_mov_b32_e32 v7, v91
	v_lshl_add_u64 v[6:7], v[6:7], 1, s[10:11]
	v_add_f32_e32 v1, v4, v1
	global_store_short_d16_hi v[6:7], v0, off
	s_waitcnt vmcnt(9)
	v_lshlrev_b32_e32 v0, 16, v18
	v_add_f32_e32 v0, v1, v0
	v_and_b32_e32 v1, 0x7f800000, v0
	v_cmp_ne_u32_e32 vcc, s34, v1
                                        ; implicit-def: $vgpr4
	s_and_saveexec_b64 s[22:23], vcc
	s_xor_b64 s[22:23], exec, s[22:23]
; %bb.57:                               ;   in Loop: Header=BB281_14 Depth=1
	v_bfe_u32 v1, v0, 16, 1
	v_add3_u32 v4, v0, v1, s35
                                        ; implicit-def: $vgpr0
; %bb.58:                               ;   in Loop: Header=BB281_14 Depth=1
	s_andn2_saveexec_b64 s[22:23], s[22:23]
; %bb.59:                               ;   in Loop: Header=BB281_14 Depth=1
	v_or_b32_e32 v1, 0x10000, v0
	v_cmp_eq_u32_sdwa vcc, v0, v91 src0_sel:WORD_0 src1_sel:DWORD
	s_nop 1
	v_cndmask_b32_e32 v4, v1, v0, vcc
; %bb.60:                               ;   in Loop: Header=BB281_14 Depth=1
	s_or_b64 exec, exec, s[22:23]
	v_cvt_f32_i32_e32 v3, v3
	v_add_u32_e32 v90, s7, v90
	v_lshl_add_u64 v[0:1], v[90:91], 1, s[10:11]
	global_store_short_d16_hi v[0:1], v4, off
	v_add_f32_e32 v2, v2, v3
	s_waitcnt vmcnt(9)
	v_lshlrev_b32_e32 v3, 16, v9
	v_add_f32_e32 v2, v2, v3
	v_and_b32_e32 v3, 0x7f800000, v2
	v_cmp_ne_u32_e32 vcc, s34, v3
                                        ; implicit-def: $vgpr3
	s_and_saveexec_b64 s[22:23], vcc
	s_xor_b64 s[22:23], exec, s[22:23]
; %bb.61:                               ;   in Loop: Header=BB281_14 Depth=1
	v_bfe_u32 v3, v2, 16, 1
	v_add3_u32 v3, v2, v3, s35
                                        ; implicit-def: $vgpr2
; %bb.62:                               ;   in Loop: Header=BB281_14 Depth=1
	s_andn2_saveexec_b64 s[22:23], s[22:23]
	s_cbranch_execz .LBB281_12
; %bb.63:                               ;   in Loop: Header=BB281_14 Depth=1
	v_or_b32_e32 v3, 0x10000, v2
	v_cmp_eq_u32_sdwa vcc, v2, v91 src0_sel:WORD_0 src1_sel:DWORD
	s_nop 1
	v_cndmask_b32_e32 v3, v3, v2, vcc
	s_branch .LBB281_12
.LBB281_64:
	s_endpgm
	.section	.rodata,"a",@progbits
	.p2align	6, 0x0
	.amdhsa_kernel _Z16wvSplitK_hf_sml_I14__hip_bfloat16Li32ELi2ELi16ELi8ELi2ELi5EEviiiiiiPKT_S3_S3_PS1_ii
		.amdhsa_group_segment_fixed_size 65536
		.amdhsa_private_segment_fixed_size 0
		.amdhsa_kernarg_size 64
		.amdhsa_user_sgpr_count 2
		.amdhsa_user_sgpr_dispatch_ptr 0
		.amdhsa_user_sgpr_queue_ptr 0
		.amdhsa_user_sgpr_kernarg_segment_ptr 1
		.amdhsa_user_sgpr_dispatch_id 0
		.amdhsa_user_sgpr_kernarg_preload_length 0
		.amdhsa_user_sgpr_kernarg_preload_offset 0
		.amdhsa_user_sgpr_private_segment_size 0
		.amdhsa_uses_dynamic_stack 0
		.amdhsa_enable_private_segment 0
		.amdhsa_system_sgpr_workgroup_id_x 1
		.amdhsa_system_sgpr_workgroup_id_y 0
		.amdhsa_system_sgpr_workgroup_id_z 0
		.amdhsa_system_sgpr_workgroup_info 0
		.amdhsa_system_vgpr_workitem_id 1
		.amdhsa_next_free_vgpr 111
		.amdhsa_next_free_sgpr 37
		.amdhsa_accum_offset 112
		.amdhsa_reserve_vcc 1
		.amdhsa_float_round_mode_32 0
		.amdhsa_float_round_mode_16_64 0
		.amdhsa_float_denorm_mode_32 3
		.amdhsa_float_denorm_mode_16_64 3
		.amdhsa_dx10_clamp 1
		.amdhsa_ieee_mode 1
		.amdhsa_fp16_overflow 0
		.amdhsa_tg_split 0
		.amdhsa_exception_fp_ieee_invalid_op 0
		.amdhsa_exception_fp_denorm_src 0
		.amdhsa_exception_fp_ieee_div_zero 0
		.amdhsa_exception_fp_ieee_overflow 0
		.amdhsa_exception_fp_ieee_underflow 0
		.amdhsa_exception_fp_ieee_inexact 0
		.amdhsa_exception_int_div_zero 0
	.end_amdhsa_kernel
	.section	.text._Z16wvSplitK_hf_sml_I14__hip_bfloat16Li32ELi2ELi16ELi8ELi2ELi5EEviiiiiiPKT_S3_S3_PS1_ii,"axG",@progbits,_Z16wvSplitK_hf_sml_I14__hip_bfloat16Li32ELi2ELi16ELi8ELi2ELi5EEviiiiiiPKT_S3_S3_PS1_ii,comdat
.Lfunc_end281:
	.size	_Z16wvSplitK_hf_sml_I14__hip_bfloat16Li32ELi2ELi16ELi8ELi2ELi5EEviiiiiiPKT_S3_S3_PS1_ii, .Lfunc_end281-_Z16wvSplitK_hf_sml_I14__hip_bfloat16Li32ELi2ELi16ELi8ELi2ELi5EEviiiiiiPKT_S3_S3_PS1_ii
                                        ; -- End function
	.section	.AMDGPU.csdata,"",@progbits
; Kernel info:
; codeLenInByte = 4840
; NumSgprs: 43
; NumVgprs: 111
; NumAgprs: 0
; TotalNumVgprs: 111
; ScratchSize: 0
; MemoryBound: 0
; FloatMode: 240
; IeeeMode: 1
; LDSByteSize: 65536 bytes/workgroup (compile time only)
; SGPRBlocks: 5
; VGPRBlocks: 13
; NumSGPRsForWavesPerEU: 43
; NumVGPRsForWavesPerEU: 111
; AccumOffset: 112
; Occupancy: 2
; WaveLimiterHint : 0
; COMPUTE_PGM_RSRC2:SCRATCH_EN: 0
; COMPUTE_PGM_RSRC2:USER_SGPR: 2
; COMPUTE_PGM_RSRC2:TRAP_HANDLER: 0
; COMPUTE_PGM_RSRC2:TGID_X_EN: 1
; COMPUTE_PGM_RSRC2:TGID_Y_EN: 0
; COMPUTE_PGM_RSRC2:TGID_Z_EN: 0
; COMPUTE_PGM_RSRC2:TIDIG_COMP_CNT: 1
; COMPUTE_PGM_RSRC3_GFX90A:ACCUM_OFFSET: 27
; COMPUTE_PGM_RSRC3_GFX90A:TG_SPLIT: 0
	.section	.text._Z12wvSplitK_hf_I14__hip_bfloat16Li32ELi2ELi16ELi8ELi2ELi5EEviiiiiiPKT_S3_S3_PS1_ii,"axG",@progbits,_Z12wvSplitK_hf_I14__hip_bfloat16Li32ELi2ELi16ELi8ELi2ELi5EEviiiiiiPKT_S3_S3_PS1_ii,comdat
	.protected	_Z12wvSplitK_hf_I14__hip_bfloat16Li32ELi2ELi16ELi8ELi2ELi5EEviiiiiiPKT_S3_S3_PS1_ii ; -- Begin function _Z12wvSplitK_hf_I14__hip_bfloat16Li32ELi2ELi16ELi8ELi2ELi5EEviiiiiiPKT_S3_S3_PS1_ii
	.globl	_Z12wvSplitK_hf_I14__hip_bfloat16Li32ELi2ELi16ELi8ELi2ELi5EEviiiiiiPKT_S3_S3_PS1_ii
	.p2align	8
	.type	_Z12wvSplitK_hf_I14__hip_bfloat16Li32ELi2ELi16ELi8ELi2ELi5EEviiiiiiPKT_S3_S3_PS1_ii,@function
_Z12wvSplitK_hf_I14__hip_bfloat16Li32ELi2ELi16ELi8ELi2ELi5EEviiiiiiPKT_S3_S3_PS1_ii: ; @_Z12wvSplitK_hf_I14__hip_bfloat16Li32ELi2ELi16ELi8ELi2ELi5EEviiiiiiPKT_S3_S3_PS1_ii
; %bb.0:
	s_load_dwordx2 s[4:5], s[0:1], 0x38
	s_load_dwordx2 s[16:17], s[0:1], 0x20
	s_load_dwordx4 s[8:11], s[0:1], 0x0
	s_load_dwordx2 s[18:19], s[0:1], 0x10
	v_bfe_u32 v5, v0, 10, 10
	s_waitcnt lgkmcnt(0)
	s_mul_i32 s2, s2, s4
	v_add_lshl_u32 v98, s2, v5, 1
	s_mov_b32 s6, 1
	v_add_u32_e32 v1, 2, v98
	v_cmp_gt_u32_e32 vcc, s11, v98
	v_cmp_le_u32_e64 s[2:3], s11, v1
	s_mov_b32 s7, s6
	s_and_b64 s[12:13], vcc, s[2:3]
	v_mov_b64_e32 v[96:97], s[6:7]
	s_and_saveexec_b64 s[2:3], s[12:13]
	s_cbranch_execz .LBB282_6
; %bb.1:
	s_add_i32 s22, s11, -2
	v_cmp_ne_u32_e32 vcc, s22, v98
	v_mov_b64_e32 v[96:97], s[6:7]
	s_and_saveexec_b64 s[6:7], vcc
	s_cbranch_execz .LBB282_5
; %bb.2:
	v_subrev_u32_e32 v1, s22, v98
	s_mov_b32 s12, 1
	v_cmp_lt_u32_e32 vcc, 1, v1
	s_mov_b64 s[14:15], 0
	s_mov_b64 s[20:21], 0
	v_cndmask_b32_e32 v2, 1, v1, vcc
	s_mov_b32 s13, s12
.LBB282_3:                              ; =>This Inner Loop Header: Depth=1
	s_cmp_lg_u32 s20, 1
	s_cselect_b32 s13, s13, 0
	s_cmp_lg_u32 s20, 0
	s_cselect_b32 s12, s12, 0
	s_add_u32 s20, s20, 1
	s_addc_u32 s21, s21, 0
	v_cmp_eq_u32_e32 vcc, s20, v2
	s_or_b64 s[14:15], vcc, s[14:15]
	v_mov_b64_e32 v[96:97], s[12:13]
	s_andn2_b64 exec, exec, s[14:15]
	s_cbranch_execnz .LBB282_3
; %bb.4:
	s_or_b64 exec, exec, s[14:15]
	v_mov_b32_e32 v98, s22
.LBB282_5:
	s_or_b64 exec, exec, s[6:7]
.LBB282_6:
	s_or_b64 exec, exec, s[2:3]
	v_and_b32_e32 v4, 0x3ff, v0
	v_lshlrev_b32_e32 v100, 3, v4
	s_mul_i32 s2, s10, 5
	v_lshl_add_u32 v6, v5, 8, v100
	s_min_u32 s6, s2, 0x8000
	v_cmp_gt_u32_e32 vcc, s6, v6
	s_and_saveexec_b64 s[2:3], vcc
	s_cbranch_execz .LBB282_15
; %bb.7:
	v_lshlrev_b32_e32 v0, 1, v6
	global_load_dwordx4 v[8:11], v0, s[16:17]
	v_add_u32_e32 v1, 0x1000, v6
	v_cmp_gt_u32_e32 vcc, s6, v1
	s_waitcnt vmcnt(0)
	ds_write_b128 v0, v[8:11]
	s_and_saveexec_b64 s[12:13], vcc
	s_xor_b64 s[12:13], exec, s[12:13]
	s_cbranch_execz .LBB282_15
; %bb.8:
	v_mov_b32_e32 v1, 0
	v_lshl_add_u64 v[2:3], s[16:17], 0, v[0:1]
	v_add_co_u32_e32 v8, vcc, 0x2000, v2
	v_add_u32_e32 v1, 0x2000, v6
	s_nop 0
	v_addc_co_u32_e32 v9, vcc, 0, v3, vcc
	global_load_dwordx4 v[8:11], v[8:9], off
	v_cmp_gt_u32_e32 vcc, s6, v1
	s_waitcnt vmcnt(0)
	ds_write_b128 v0, v[8:11] offset:8192
	s_and_saveexec_b64 s[12:13], vcc
	s_xor_b64 s[12:13], exec, s[12:13]
	s_cbranch_execz .LBB282_15
; %bb.9:
	v_add_co_u32_e32 v8, vcc, 0x4000, v2
	v_add_u32_e32 v1, 0x3000, v6
	s_nop 0
	v_addc_co_u32_e32 v9, vcc, 0, v3, vcc
	global_load_dwordx4 v[8:11], v[8:9], off
	v_cmp_gt_u32_e32 vcc, s6, v1
	s_waitcnt vmcnt(0)
	ds_write_b128 v0, v[8:11] offset:16384
	s_and_saveexec_b64 s[12:13], vcc
	s_xor_b64 s[12:13], exec, s[12:13]
	s_cbranch_execz .LBB282_15
; %bb.10:
	;; [unrolled: 12-line block ×6, first 2 shown]
	v_add_co_u32_e32 v2, vcc, 0xe000, v2
	s_nop 1
	v_addc_co_u32_e32 v3, vcc, 0, v3, vcc
	global_load_dwordx4 v[6:9], v[2:3], off
	s_waitcnt vmcnt(0)
	ds_write_b128 v0, v[6:9] offset:57344
.LBB282_15:
	s_or_b64 exec, exec, s[2:3]
	v_cmp_gt_u32_e32 vcc, s4, v5
	v_cmp_gt_u32_e64 s[2:3], s11, v98
	s_and_b64 s[2:3], vcc, s[2:3]
	s_waitcnt lgkmcnt(0)
	s_barrier
	s_and_saveexec_b64 s[6:7], s[2:3]
	s_cbranch_execz .LBB282_134
; %bb.16:
	s_load_dwordx4 s[12:15], s[0:1], 0x28
	s_load_dwordx2 s[20:21], s[0:1], 0x18
	s_cmp_lg_u32 s8, 0
	s_cselect_b64 s[2:3], -1, 0
	s_add_i32 s33, s8, -8
	s_add_i32 s36, s11, -1
	s_mul_i32 s4, s4, s5
	s_waitcnt lgkmcnt(0)
	s_cmp_lg_u64 s[12:13], 0
	s_cselect_b64 s[24:25], -1, 0
	s_lshl_b32 s37, s4, 1
	s_abs_i32 s4, s19
	v_cvt_f32_u32_e32 v0, s18
	v_cvt_f32_u32_e32 v1, s4
	s_sub_i32 s5, 0, s18
	s_add_i32 s38, s11, -2
	v_rcp_iflag_f32_e32 v0, v0
	v_rcp_iflag_f32_e32 v1, v1
	s_lshl_b32 s19, s10, 1
	v_cmp_eq_u32_e64 s[0:1], 31, v4
	v_mul_f32_e32 v0, 0x4f7ffffe, v0
	v_mul_f32_e32 v1, 0x4f7ffffe, v1
	v_cvt_u32_f32_e32 v0, v0
	v_cvt_u32_f32_e32 v1, v1
	s_mov_b64 s[22:23], 0
	v_mov_b32_e32 v103, 0
	v_mul_lo_u32 v2, s5, v0
	s_sub_i32 s5, 0, s4
	v_readfirstlane_b32 s6, v1
	s_mul_i32 s5, s5, s6
	s_mul_hi_u32 s5, s6, s5
	s_add_i32 s6, s6, s5
	s_sub_i32 s5, 1, s4
	s_cmp_lt_u32 s4, 2
	s_cselect_b32 s5, s5, 1
	s_sub_i32 s7, s5, s4
	s_cmp_ge_u32 s5, s4
	s_cselect_b32 s39, s7, s5
	s_lshr_b32 s5, s6, 31
	s_mul_i32 s5, s5, s4
	s_sub_i32 s5, 2, s5
	s_sub_i32 s7, s5, s4
	s_cmp_ge_u32 s5, s4
	s_cselect_b32 s5, s7, s5
	s_sub_i32 s7, s5, s4
	s_cmp_ge_u32 s5, s4
	s_cselect_b32 s40, s7, s5
	s_mul_hi_u32 s5, s6, 3
	s_mul_i32 s5, s5, s4
	s_sub_i32 s5, 3, s5
	s_sub_i32 s7, s5, s4
	s_cmp_ge_u32 s5, s4
	s_cselect_b32 s5, s7, s5
	s_sub_i32 s7, s5, s4
	s_cmp_ge_u32 s5, s4
	s_cselect_b32 s41, s7, s5
	s_lshr_b32 s5, s6, 30
	s_mul_i32 s5, s5, s4
	s_sub_i32 s5, 4, s5
	s_sub_i32 s6, s5, s4
	s_cmp_ge_u32 s5, s4
	s_cselect_b32 s5, s6, s5
	v_mul_hi_u32 v2, v0, v2
	s_sub_i32 s6, s5, s4
	v_add_u32_e32 v101, v0, v2
	s_cmp_ge_u32 s5, s4
	s_cselect_b32 s42, s6, s5
	s_lshl_b32 s43, s10, 2
	v_mad_u64_u32 v[104:105], s[4:5], s10, 3, v[100:101]
	v_cndmask_b32_e64 v0, 0, 1, s[2:3]
	s_mul_i32 s39, s39, s18
	s_mul_i32 s40, s40, s18
	;; [unrolled: 1-line block ×4, first 2 shown]
	v_lshlrev_b32_e32 v120, 4, v4
	v_add_u32_e32 v121, s19, v100
	s_mul_i32 s44, s10, 6
	s_lshl_b32 s45, s10, 3
	v_add_u32_e32 v105, s43, v100
	v_add_u32_e32 v122, s10, v100
	v_cmp_ne_u32_e64 s[2:3], 1, v0
	s_movk_i32 s10, 0x7fff
	s_mov_b32 s46, 0x7f800000
	s_mov_b32 s26, 0
	s_branch .LBB282_19
.LBB282_17:                             ;   in Loop: Header=BB282_19 Depth=1
	s_or_b64 exec, exec, s[28:29]
	v_mov_b32_e32 v98, s38
.LBB282_18:                             ;   in Loop: Header=BB282_19 Depth=1
	s_or_b64 exec, exec, s[6:7]
	v_cmp_le_u32_e32 vcc, s11, v98
	s_or_b64 s[22:23], vcc, s[22:23]
	s_andn2_b64 exec, exec, s[22:23]
	s_cbranch_execz .LBB282_134
.LBB282_19:                             ; =>This Loop Header: Depth=1
                                        ;     Child Loop BB282_24 Depth 2
                                        ;     Child Loop BB282_132 Depth 2
	s_and_b64 vcc, exec, s[2:3]
	v_add_u32_e32 v106, 1, v98
	v_mov_b32_e32 v7, v103
	v_mov_b32_e32 v6, v103
	s_waitcnt vmcnt(0)
	v_mov_b32_e32 v5, v103
	v_mov_b32_e32 v4, v103
	;; [unrolled: 1-line block ×38, first 2 shown]
	s_cbranch_vccnz .LBB282_66
; %bb.20:                               ;   in Loop: Header=BB282_19 Depth=1
	v_min_u32_e32 v0, s36, v98
	v_mul_lo_u32 v102, v0, s9
	v_min_u32_e32 v0, s36, v106
	v_mul_lo_u32 v0, v0, s9
	v_mov_b32_e32 v1, v103
	v_mov_b32_e32 v16, 0
	s_mov_b32 s4, 0
	v_lshlrev_b64 v[108:109], 1, v[102:103]
	v_lshlrev_b64 v[110:111], 1, v[0:1]
	v_mov_b32_e32 v99, v120
	s_mov_b32 s34, 0
	v_mov_b32_e32 v17, v16
	v_mov_b32_e32 v18, v16
	;; [unrolled: 1-line block ×39, first 2 shown]
	s_branch .LBB282_24
.LBB282_21:                             ;   in Loop: Header=BB282_24 Depth=2
	s_or_b64 exec, exec, s[30:31]
.LBB282_22:                             ;   in Loop: Header=BB282_24 Depth=2
	s_or_b64 exec, exec, s[28:29]
.LBB282_23:                             ;   in Loop: Header=BB282_24 Depth=2
	s_or_b64 exec, exec, s[6:7]
	s_waitcnt vmcnt(0) lgkmcnt(0)
	v_mfma_f32_4x4x4_16b_bf16 v[36:39], v[56:57], v[48:49], v[36:39]
	s_addk_i32 s34, 0x200
	v_mfma_f32_4x4x4_16b_bf16 v[32:35], v[56:57], v[44:45], v[32:35]
	v_add_u32_e32 v99, 0x400, v99
	v_mfma_f32_4x4x4_16b_bf16 v[28:31], v[60:61], v[48:49], v[28:31]
	s_cmp_ge_u32 s34, s8
	v_mfma_f32_4x4x4_16b_bf16 v[24:27], v[60:61], v[44:45], v[24:27]
	v_mfma_f32_4x4x4_16b_bf16 v[20:23], v[64:65], v[48:49], v[20:23]
	;; [unrolled: 1-line block ×37, first 2 shown]
	s_cbranch_scc1 .LBB282_66
.LBB282_24:                             ;   Parent Loop BB282_19 Depth=1
                                        ; =>  This Inner Loop Header: Depth=2
	v_add_u32_e32 v114, s34, v100
	v_min_u32_e32 v102, s33, v114
	v_lshl_add_u64 v[40:41], v[102:103], 1, s[20:21]
	v_add_u32_e32 v112, 0x100, v114
	v_lshl_add_u64 v[42:43], v[40:41], 0, v[108:109]
	v_lshl_add_u64 v[40:41], v[40:41], 0, v[110:111]
	v_min_u32_e32 v102, s33, v112
	global_load_dwordx4 v[48:51], v[42:43], off nt
	global_load_dwordx4 v[44:47], v[40:41], off nt
	v_lshl_add_u64 v[40:41], v[102:103], 1, s[20:21]
	v_lshl_add_u64 v[56:57], v[40:41], 0, v[108:109]
	v_lshl_add_u64 v[58:59], v[40:41], 0, v[110:111]
	global_load_dwordx4 v[52:55], v[56:57], off nt
	global_load_dwordx4 v[40:43], v[58:59], off nt
	s_mov_b32 s5, s4
	v_cmp_gt_u32_e32 vcc, s8, v114
	v_mov_b64_e32 v[56:57], s[4:5]
	v_mov_b32_e32 v89, 0
	v_mov_b32_e32 v88, 0
	;; [unrolled: 1-line block ×4, first 2 shown]
	v_mov_b64_e32 v[58:59], s[4:5]
	v_mov_b64_e32 v[76:77], s[4:5]
	;; [unrolled: 1-line block ×17, first 2 shown]
	s_and_saveexec_b64 s[6:7], vcc
	s_cbranch_execz .LBB282_23
; %bb.25:                               ;   in Loop: Header=BB282_24 Depth=2
	v_cmp_lt_u32_e32 vcc, s10, v114
                                        ; implicit-def: $vgpr56_vgpr57
	s_and_saveexec_b64 s[28:29], vcc
	s_xor_b64 s[28:29], exec, s[28:29]
	s_cbranch_execz .LBB282_27
; %bb.26:                               ;   in Loop: Header=BB282_24 Depth=2
	v_mov_b32_e32 v115, v103
	v_lshl_add_u64 v[56:57], v[114:115], 1, s[16:17]
	global_load_dwordx4 v[56:59], v[56:57], off
.LBB282_27:                             ;   in Loop: Header=BB282_24 Depth=2
	s_andn2_saveexec_b64 s[28:29], s[28:29]
	s_cbranch_execz .LBB282_29
; %bb.28:                               ;   in Loop: Header=BB282_24 Depth=2
	s_waitcnt vmcnt(0)
	ds_read_b128 v[56:59], v99
.LBB282_29:                             ;   in Loop: Header=BB282_24 Depth=2
	s_or_b64 exec, exec, s[28:29]
	v_add_u32_e32 v102, s34, v122
	v_cmp_lt_u32_e32 vcc, s10, v102
                                        ; implicit-def: $vgpr60_vgpr61
	s_and_saveexec_b64 s[28:29], vcc
	s_xor_b64 s[28:29], exec, s[28:29]
	s_cbranch_execz .LBB282_31
; %bb.30:                               ;   in Loop: Header=BB282_24 Depth=2
	v_lshl_add_u64 v[60:61], v[102:103], 1, s[16:17]
	global_load_dwordx4 v[60:63], v[60:61], off
.LBB282_31:                             ;   in Loop: Header=BB282_24 Depth=2
	s_andn2_saveexec_b64 s[28:29], s[28:29]
	s_cbranch_execz .LBB282_33
; %bb.32:                               ;   in Loop: Header=BB282_24 Depth=2
	s_waitcnt vmcnt(0)
	v_add_u32_e32 v60, s19, v99
	ds_read_b128 v[60:63], v60
.LBB282_33:                             ;   in Loop: Header=BB282_24 Depth=2
	s_or_b64 exec, exec, s[28:29]
	v_add_u32_e32 v118, s34, v121
	v_cmp_lt_u32_e32 vcc, s10, v118
                                        ; implicit-def: $vgpr64_vgpr65
	s_and_saveexec_b64 s[28:29], vcc
	s_xor_b64 s[28:29], exec, s[28:29]
	s_cbranch_execz .LBB282_35
; %bb.34:                               ;   in Loop: Header=BB282_24 Depth=2
	v_mov_b32_e32 v119, v103
	v_lshl_add_u64 v[64:65], v[118:119], 1, s[16:17]
	global_load_dwordx4 v[64:67], v[64:65], off
.LBB282_35:                             ;   in Loop: Header=BB282_24 Depth=2
	s_andn2_saveexec_b64 s[28:29], s[28:29]
	s_cbranch_execz .LBB282_37
; %bb.36:                               ;   in Loop: Header=BB282_24 Depth=2
	s_waitcnt vmcnt(0)
	v_add_u32_e32 v66, s43, v99
	ds_read2_b32 v[64:65], v66 offset1:1
	ds_read2_b32 v[66:67], v66 offset0:2 offset1:3
.LBB282_37:                             ;   in Loop: Header=BB282_24 Depth=2
	s_or_b64 exec, exec, s[28:29]
	v_add_u32_e32 v116, s34, v104
	v_cmp_lt_u32_e32 vcc, s10, v116
                                        ; implicit-def: $vgpr68_vgpr69
	s_and_saveexec_b64 s[28:29], vcc
	s_xor_b64 s[28:29], exec, s[28:29]
	s_cbranch_execz .LBB282_39
; %bb.38:                               ;   in Loop: Header=BB282_24 Depth=2
	v_mov_b32_e32 v117, v103
	v_lshl_add_u64 v[68:69], v[116:117], 1, s[16:17]
	global_load_dwordx4 v[68:71], v[68:69], off
.LBB282_39:                             ;   in Loop: Header=BB282_24 Depth=2
	s_andn2_saveexec_b64 s[28:29], s[28:29]
	s_cbranch_execz .LBB282_41
; %bb.40:                               ;   in Loop: Header=BB282_24 Depth=2
	s_waitcnt vmcnt(0)
	v_add_u32_e32 v68, s44, v99
	ds_read_b128 v[68:71], v68
.LBB282_41:                             ;   in Loop: Header=BB282_24 Depth=2
	s_or_b64 exec, exec, s[28:29]
	v_add_u32_e32 v114, s34, v105
	v_cmp_lt_u32_e32 vcc, s10, v114
                                        ; implicit-def: $vgpr72_vgpr73
	s_and_saveexec_b64 s[28:29], vcc
	s_xor_b64 s[28:29], exec, s[28:29]
	s_cbranch_execz .LBB282_43
; %bb.42:                               ;   in Loop: Header=BB282_24 Depth=2
	v_mov_b32_e32 v115, v103
	v_lshl_add_u64 v[72:73], v[114:115], 1, s[16:17]
	global_load_dwordx4 v[72:75], v[72:73], off
.LBB282_43:                             ;   in Loop: Header=BB282_24 Depth=2
	s_andn2_saveexec_b64 s[28:29], s[28:29]
	s_cbranch_execz .LBB282_45
; %bb.44:                               ;   in Loop: Header=BB282_24 Depth=2
	s_waitcnt vmcnt(0)
	v_add_u32_e32 v72, s45, v99
	ds_read2_b64 v[72:75], v72 offset1:1
.LBB282_45:                             ;   in Loop: Header=BB282_24 Depth=2
	s_or_b64 exec, exec, s[28:29]
	s_mov_b32 s27, s26
	v_cmp_gt_u32_e32 vcc, s8, v112
	v_mov_b32_e32 v89, 0
	v_mov_b64_e32 v[76:77], s[26:27]
	v_mov_b32_e32 v88, 0
	v_mov_b32_e32 v91, 0
	;; [unrolled: 1-line block ×3, first 2 shown]
	v_mov_b64_e32 v[78:79], s[26:27]
	v_mov_b64_e32 v[80:81], s[26:27]
	;; [unrolled: 1-line block ×7, first 2 shown]
	s_and_saveexec_b64 s[28:29], vcc
	s_cbranch_execz .LBB282_22
; %bb.46:                               ;   in Loop: Header=BB282_24 Depth=2
	v_cmp_lt_u32_e32 vcc, s10, v112
                                        ; implicit-def: $vgpr76_vgpr77
	s_and_saveexec_b64 s[30:31], vcc
	s_xor_b64 s[30:31], exec, s[30:31]
	s_cbranch_execz .LBB282_48
; %bb.47:                               ;   in Loop: Header=BB282_24 Depth=2
	v_mov_b32_e32 v113, v103
	v_lshl_add_u64 v[76:77], v[112:113], 1, s[16:17]
	global_load_dwordx4 v[76:79], v[76:77], off
.LBB282_48:                             ;   in Loop: Header=BB282_24 Depth=2
	s_andn2_saveexec_b64 s[30:31], s[30:31]
	s_cbranch_execz .LBB282_50
; %bb.49:                               ;   in Loop: Header=BB282_24 Depth=2
	s_waitcnt vmcnt(0)
	ds_read_b128 v[76:79], v99 offset:512
.LBB282_50:                             ;   in Loop: Header=BB282_24 Depth=2
	s_or_b64 exec, exec, s[30:31]
	v_add_u32_e32 v102, 0x100, v102
	v_cmp_lt_u32_e32 vcc, s10, v102
                                        ; implicit-def: $vgpr80_vgpr81
	s_and_saveexec_b64 s[30:31], vcc
	s_xor_b64 s[30:31], exec, s[30:31]
	s_cbranch_execz .LBB282_52
; %bb.51:                               ;   in Loop: Header=BB282_24 Depth=2
	v_lshl_add_u64 v[80:81], v[102:103], 1, s[16:17]
	global_load_dwordx4 v[80:83], v[80:81], off
.LBB282_52:                             ;   in Loop: Header=BB282_24 Depth=2
	s_andn2_saveexec_b64 s[30:31], s[30:31]
	s_cbranch_execz .LBB282_54
; %bb.53:                               ;   in Loop: Header=BB282_24 Depth=2
	s_waitcnt vmcnt(0)
	v_add_u32_e32 v80, s19, v99
	ds_read_b128 v[80:83], v80 offset:512
.LBB282_54:                             ;   in Loop: Header=BB282_24 Depth=2
	s_or_b64 exec, exec, s[30:31]
	v_add_u32_e32 v102, 0x100, v118
	v_cmp_lt_u32_e32 vcc, s10, v102
                                        ; implicit-def: $vgpr84_vgpr85
	s_and_saveexec_b64 s[30:31], vcc
	s_xor_b64 s[30:31], exec, s[30:31]
	s_cbranch_execz .LBB282_56
; %bb.55:                               ;   in Loop: Header=BB282_24 Depth=2
	v_lshl_add_u64 v[84:85], v[102:103], 1, s[16:17]
	global_load_dwordx4 v[84:87], v[84:85], off
.LBB282_56:                             ;   in Loop: Header=BB282_24 Depth=2
	s_andn2_saveexec_b64 s[30:31], s[30:31]
	s_cbranch_execz .LBB282_58
; %bb.57:                               ;   in Loop: Header=BB282_24 Depth=2
	s_waitcnt vmcnt(0)
	v_add_u32_e32 v86, s43, v99
	ds_read2_b32 v[84:85], v86 offset0:128 offset1:129
	ds_read2_b32 v[86:87], v86 offset0:130 offset1:131
.LBB282_58:                             ;   in Loop: Header=BB282_24 Depth=2
	s_or_b64 exec, exec, s[30:31]
	v_add_u32_e32 v102, 0x100, v116
	v_cmp_lt_u32_e32 vcc, s10, v102
                                        ; implicit-def: $vgpr92_vgpr93
	s_and_saveexec_b64 s[30:31], vcc
	s_xor_b64 s[30:31], exec, s[30:31]
	s_cbranch_execz .LBB282_60
; %bb.59:                               ;   in Loop: Header=BB282_24 Depth=2
	v_lshl_add_u64 v[88:89], v[102:103], 1, s[16:17]
	global_load_dwordx4 v[92:95], v[88:89], off
.LBB282_60:                             ;   in Loop: Header=BB282_24 Depth=2
	s_andn2_saveexec_b64 s[30:31], s[30:31]
	s_cbranch_execz .LBB282_62
; %bb.61:                               ;   in Loop: Header=BB282_24 Depth=2
	v_add_u32_e32 v88, s44, v99
	s_waitcnt vmcnt(0)
	ds_read_b128 v[92:95], v88 offset:512
.LBB282_62:                             ;   in Loop: Header=BB282_24 Depth=2
	s_or_b64 exec, exec, s[30:31]
	v_add_u32_e32 v102, 0x100, v114
	v_cmp_lt_u32_e32 vcc, s10, v102
                                        ; implicit-def: $vgpr89
	s_and_saveexec_b64 s[30:31], vcc
	s_xor_b64 s[30:31], exec, s[30:31]
	s_cbranch_execz .LBB282_64
; %bb.63:                               ;   in Loop: Header=BB282_24 Depth=2
	v_lshl_add_u64 v[88:89], v[102:103], 1, s[16:17]
	global_load_dwordx4 v[88:91], v[88:89], off
.LBB282_64:                             ;   in Loop: Header=BB282_24 Depth=2
	s_andn2_saveexec_b64 s[30:31], s[30:31]
	s_cbranch_execz .LBB282_21
; %bb.65:                               ;   in Loop: Header=BB282_24 Depth=2
	s_waitcnt vmcnt(0)
	v_add_u32_e32 v88, s45, v99
	ds_read2_b64 v[88:91], v88 offset0:64 offset1:65
	s_branch .LBB282_21
.LBB282_66:                             ;   in Loop: Header=BB282_19 Depth=1
	v_cvt_i32_f32_e32 v37, v37
	v_cvt_i32_f32_e32 v38, v38
	;; [unrolled: 1-line block ×4, first 2 shown]
	v_cvt_f32_i32_dpp v37, v37 row_shl:1 row_mask:0xf bank_mask:0xf bound_ctrl:1
	v_cvt_f32_i32_dpp v38, v38 row_shl:2 row_mask:0xf bank_mask:0xf bound_ctrl:1
	;; [unrolled: 1-line block ×3, first 2 shown]
	v_cvt_i32_f32_e32 v34, v34
	v_add_f32_e32 v36, v36, v37
	v_add_f32_e32 v36, v36, v38
	;; [unrolled: 1-line block ×3, first 2 shown]
	v_cvt_i32_f32_e32 v37, v36
	v_cvt_i32_f32_e32 v35, v35
	v_cvt_f32_i32_dpp v33, v33 row_shl:1 row_mask:0xf bank_mask:0xf bound_ctrl:1
	v_cvt_f32_i32_dpp v34, v34 row_shl:2 row_mask:0xf bank_mask:0xf bound_ctrl:1
	;; [unrolled: 1-line block ×4, first 2 shown]
	v_add_f32_e32 v32, v32, v33
	v_add_f32_e32 v32, v32, v34
	v_cvt_i32_f32_e32 v29, v29
	v_add_f32_e32 v33, v36, v37
	v_add_f32_e32 v32, v32, v35
	v_cvt_i32_f32_e32 v36, v33
	v_cvt_i32_f32_e32 v34, v32
	;; [unrolled: 1-line block ×4, first 2 shown]
	v_cvt_f32_i32_dpp v29, v29 row_shl:1 row_mask:0xf bank_mask:0xf bound_ctrl:1
	v_cvt_f32_i32_dpp v35, v36 row_shl:8 row_mask:0xf bank_mask:0xf bound_ctrl:1
	;; [unrolled: 1-line block ×5, first 2 shown]
	v_add_f32_e32 v28, v28, v29
	v_add_f32_e32 v33, v33, v35
	;; [unrolled: 1-line block ×4, first 2 shown]
	v_cvt_i32_f32_e32 v33, v33
	v_cvt_i32_f32_e32 v34, v32
	v_add_f32_e32 v28, v28, v31
	v_cvt_i32_f32_e32 v29, v28
	v_cvt_f32_i32_dpp v33, v33 row_shr:15 row_mask:0xf bank_mask:0xf bound_ctrl:1
	v_cvt_f32_i32_dpp v34, v34 row_shl:8 row_mask:0xf bank_mask:0xf bound_ctrl:1
	v_cvt_i32_f32_e32 v25, v25
	v_cvt_f32_i32_dpp v29, v29 row_shl:4 row_mask:0xf bank_mask:0xf bound_ctrl:1
	v_cvt_i32_f32_e32 v30, v33
	v_add_f32_e32 v31, v32, v34
	v_cvt_i32_f32_e32 v26, v26
	v_cvt_i32_f32_e32 v31, v31
	v_add_f32_e32 v32, v28, v29
	v_cvt_i32_f32_e32 v27, v27
	v_cvt_i32_f32_e32 v29, v32
	v_cvt_f32_i32_dpp v25, v25 row_shl:1 row_mask:0xf bank_mask:0xf bound_ctrl:1
	v_cvt_f32_i32_dpp v30, v30 row_bcast:15 row_mask:0xf bank_mask:0xf bound_ctrl:1
	v_cvt_f32_i32_dpp v26, v26 row_shl:2 row_mask:0xf bank_mask:0xf bound_ctrl:1
	v_cvt_f32_i32_dpp v31, v31 row_shr:15 row_mask:0xf bank_mask:0xf bound_ctrl:1
	v_cvt_f32_i32_dpp v27, v27 row_shl:3 row_mask:0xf bank_mask:0xf bound_ctrl:1
	v_cvt_f32_i32_dpp v34, v29 row_shl:8 row_mask:0xf bank_mask:0xf bound_ctrl:1
	v_add_f32_e32 v24, v24, v25
	v_cvt_i32_f32_e32 v21, v21
	v_add_f32_e32 v28, v33, v30
	v_add_f32_e32 v24, v24, v26
	v_cvt_i32_f32_e32 v22, v22
	v_cvt_i32_f32_e32 v30, v28
	;; [unrolled: 1-line block ×3, first 2 shown]
	v_add_f32_e32 v25, v24, v27
	v_cvt_i32_f32_e32 v23, v23
	v_add_f32_e32 v32, v32, v34
	v_cvt_i32_f32_e32 v26, v25
	v_cvt_i32_f32_e32 v32, v32
	v_cvt_f32_i32_dpp v21, v21 row_shl:1 row_mask:0xf bank_mask:0xf bound_ctrl:1
	v_cvt_f32_i32_dpp v22, v22 row_shl:2 row_mask:0xf bank_mask:0xf bound_ctrl:1
	v_mov_b32_dpp v29, v30 row_bcast:31 row_mask:0xf bank_mask:0xf bound_ctrl:1
	v_cvt_f32_i32_dpp v30, v33 row_bcast:15 row_mask:0xf bank_mask:0xf bound_ctrl:1
	v_cvt_f32_i32_dpp v23, v23 row_shl:3 row_mask:0xf bank_mask:0xf bound_ctrl:1
	v_cvt_f32_i32_dpp v26, v26 row_shl:4 row_mask:0xf bank_mask:0xf bound_ctrl:1
	v_cvt_f32_i32_dpp v32, v32 row_shr:15 row_mask:0xf bank_mask:0xf bound_ctrl:1
	v_add_f32_e32 v20, v20, v21
	v_add_f32_e32 v20, v20, v22
	;; [unrolled: 1-line block ×4, first 2 shown]
	v_cvt_i32_f32_e32 v27, v24
	v_add_f32_e32 v25, v25, v26
	v_cvt_i32_f32_e32 v20, v22
	v_cvt_i32_f32_e32 v30, v32
	;; [unrolled: 1-line block ×3, first 2 shown]
	v_mov_b32_dpp v21, v27 row_bcast:31 row_mask:0xf bank_mask:0xf bound_ctrl:1
	v_cvt_f32_i32_dpp v27, v20 row_shl:4 row_mask:0xf bank_mask:0xf bound_ctrl:1
	v_cvt_f32_i32_dpp v23, v30 row_bcast:15 row_mask:0xf bank_mask:0xf bound_ctrl:1
	v_cvt_f32_i32_dpp v26, v26 row_shl:8 row_mask:0xf bank_mask:0xf bound_ctrl:1
	v_cvt_i32_f32_e32 v17, v17
	v_add_f32_e32 v22, v22, v27
	v_cvt_i32_f32_e32 v18, v18
	v_add_f32_e32 v20, v32, v23
	v_add_f32_e32 v23, v25, v26
	v_cvt_i32_f32_e32 v19, v19
	v_cvt_i32_f32_e32 v25, v22
	v_cvt_f32_i32_dpp v17, v17 row_shl:1 row_mask:0xf bank_mask:0xf bound_ctrl:1
	v_cvt_f32_i32_dpp v18, v18 row_shl:2 row_mask:0xf bank_mask:0xf bound_ctrl:1
	;; [unrolled: 1-line block ×4, first 2 shown]
	v_add_f32_e32 v16, v16, v17
	v_add_f32_e32 v16, v16, v18
	;; [unrolled: 1-line block ×4, first 2 shown]
	v_cvt_i32_f32_e32 v17, v16
	v_cvt_i32_f32_e32 v19, v19
	;; [unrolled: 1-line block ×7, first 2 shown]
	v_cvt_f32_i32_dpp v17, v17 row_shl:4 row_mask:0xf bank_mask:0xf bound_ctrl:1
	v_cvt_i32_f32_e32 v22, v20
	v_cvt_f32_i32_dpp v19, v19 row_shr:15 row_mask:0xf bank_mask:0xf bound_ctrl:1
	v_cvt_f32_i32_dpp v1, v1 row_shl:1 row_mask:0xf bank_mask:0xf bound_ctrl:1
	v_cvt_f32_i32_dpp v13, v13 row_shl:1 row_mask:0xf bank_mask:0xf bound_ctrl:1
	v_cvt_i32_f32_e32 v9, v9
	v_cvt_f32_i32_dpp v2, v2 row_shl:2 row_mask:0xf bank_mask:0xf bound_ctrl:1
	v_cvt_i32_f32_e32 v3, v3
	;; [unrolled: 2-line block ×4, first 2 shown]
	v_add_f32_e32 v25, v16, v17
	v_mov_b32_dpp v17, v22 row_bcast:31 row_mask:0xf bank_mask:0xf bound_ctrl:1
	v_cvt_i32_f32_e32 v22, v19
	v_add_f32_e32 v0, v0, v1
	v_add_f32_e32 v12, v12, v13
	v_cvt_f32_i32_dpp v9, v9 row_shl:1 row_mask:0xf bank_mask:0xf bound_ctrl:1
	v_add_f32_e32 v0, v0, v2
	v_cvt_f32_i32_dpp v1, v3 row_shl:3 row_mask:0xf bank_mask:0xf bound_ctrl:1
	v_cvt_i32_f32_e32 v2, v5
	v_add_f32_e32 v12, v12, v14
	v_cvt_f32_i32_dpp v10, v10 row_shl:2 row_mask:0xf bank_mask:0xf bound_ctrl:1
	v_cvt_i32_f32_e32 v3, v6
	;; [unrolled: 3-line block ×3, first 2 shown]
	v_cvt_f32_i32_dpp v22, v22 row_bcast:15 row_mask:0xf bank_mask:0xf bound_ctrl:1
	v_cvt_i32_f32_e32 v12, v14
	v_add_f32_e32 v8, v8, v9
	v_add_f32_e32 v0, v0, v1
	v_cvt_f32_i32_dpp v1, v2 row_shl:1 row_mask:0xf bank_mask:0xf bound_ctrl:1
	v_add_f32_e32 v8, v8, v10
	v_cvt_f32_i32_dpp v2, v3 row_shl:2 row_mask:0xf bank_mask:0xf bound_ctrl:1
	;; [unrolled: 2-line block ×4, first 2 shown]
	v_cvt_i32_f32_e32 v10, v9
	v_add_f32_e32 v1, v4, v1
	v_add_f32_e32 v1, v1, v2
	;; [unrolled: 1-line block ×4, first 2 shown]
	v_cvt_f32_i32_dpp v10, v10 row_shl:4 row_mask:0xf bank_mask:0xf bound_ctrl:1
	v_cvt_i32_f32_e32 v5, v0
	v_cvt_i32_f32_e32 v2, v1
	;; [unrolled: 1-line block ×4, first 2 shown]
	v_add_f32_e32 v9, v9, v10
	v_cvt_f32_i32_dpp v4, v5 row_shl:4 row_mask:0xf bank_mask:0xf bound_ctrl:1
	v_cvt_f32_i32_dpp v2, v2 row_shl:4 row_mask:0xf bank_mask:0xf bound_ctrl:1
	v_cvt_f32_i32_dpp v18, v23 row_shr:15 row_mask:0xf bank_mask:0xf bound_ctrl:1
	v_cvt_f32_i32_dpp v19, v19 row_shl:8 row_mask:0xf bank_mask:0xf bound_ctrl:1
	v_cvt_i32_f32_e32 v10, v9
	v_add_f32_e32 v0, v0, v4
	v_add_f32_e32 v1, v1, v2
	v_cvt_i32_f32_e32 v23, v18
	v_cvt_i32_f32_e32 v16, v25
	v_add_f32_e32 v14, v14, v19
	v_cvt_f32_i32_dpp v3, v10 row_shl:8 row_mask:0xf bank_mask:0xf bound_ctrl:1
	v_cvt_i32_f32_e32 v4, v0
	v_cvt_i32_f32_e32 v2, v1
	;; [unrolled: 1-line block ×3, first 2 shown]
	v_cvt_f32_i32_dpp v23, v23 row_bcast:15 row_mask:0xf bank_mask:0xf bound_ctrl:1
	v_cvt_f32_i32_dpp v26, v16 row_shl:8 row_mask:0xf bank_mask:0xf bound_ctrl:1
	v_add_f32_e32 v3, v9, v3
	v_cvt_f32_i32_dpp v4, v4 row_shl:8 row_mask:0xf bank_mask:0xf bound_ctrl:1
	v_cvt_f32_i32_dpp v2, v2 row_shl:8 row_mask:0xf bank_mask:0xf bound_ctrl:1
	v_cvt_f32_i32_dpp v5, v14 row_shr:15 row_mask:0xf bank_mask:0xf bound_ctrl:1
	v_cvt_i32_f32_e32 v3, v3
	v_add_f32_e32 v16, v18, v23
	v_add_f32_e32 v23, v25, v26
	;; [unrolled: 1-line block ×4, first 2 shown]
	v_cvt_i32_f32_e32 v23, v23
	v_cvt_i32_f32_e32 v6, v5
	v_cvt_f32_i32_dpp v3, v3 row_shr:15 row_mask:0xf bank_mask:0xf bound_ctrl:1
	v_cvt_i32_f32_e32 v0, v0
	v_cvt_i32_f32_e32 v1, v1
	v_cvt_f32_i32_dpp v23, v23 row_shr:15 row_mask:0xf bank_mask:0xf bound_ctrl:1
	v_cvt_f32_i32_dpp v2, v6 row_bcast:15 row_mask:0xf bank_mask:0xf bound_ctrl:1
	v_cvt_f32_i32_dpp v0, v0 row_shr:15 row_mask:0xf bank_mask:0xf bound_ctrl:1
	v_cvt_i32_f32_e32 v4, v3
	v_cvt_f32_i32_dpp v1, v1 row_shr:15 row_mask:0xf bank_mask:0xf bound_ctrl:1
	v_cvt_i32_f32_e32 v18, v16
	v_cvt_i32_f32_e32 v25, v23
	v_add_f32_e32 v7, v5, v2
	v_cvt_i32_f32_e32 v2, v0
	v_cvt_f32_i32_dpp v4, v4 row_bcast:15 row_mask:0xf bank_mask:0xf bound_ctrl:1
	v_cvt_i32_f32_e32 v5, v1
	v_mov_b32_dpp v15, v18 row_bcast:31 row_mask:0xf bank_mask:0xf bound_ctrl:1
	v_cvt_f32_i32_dpp v18, v25 row_bcast:15 row_mask:0xf bank_mask:0xf bound_ctrl:1
	v_cvt_f32_i32_dpp v2, v2 row_bcast:15 row_mask:0xf bank_mask:0xf bound_ctrl:1
	v_add_f32_e32 v4, v3, v4
	v_cvt_f32_i32_dpp v3, v5 row_bcast:15 row_mask:0xf bank_mask:0xf bound_ctrl:1
	v_add_f32_e32 v12, v23, v18
	v_add_f32_e32 v2, v0, v2
	v_cvt_i32_f32_e32 v22, v13
	v_add_f32_e32 v0, v1, v3
	v_cvt_i32_f32_e32 v18, v12
	v_cvt_i32_f32_e32 v6, v7
	;; [unrolled: 1-line block ×5, first 2 shown]
	v_mov_b32_dpp v11, v22 row_bcast:31 row_mask:0xf bank_mask:0xf bound_ctrl:1
	v_mov_b32_dpp v8, v18 row_bcast:31 row_mask:0xf bank_mask:0xf bound_ctrl:1
	;; [unrolled: 1-line block ×6, first 2 shown]
	s_and_saveexec_b64 s[28:29], s[0:1]
	s_cbranch_execz .LBB282_129
; %bb.67:                               ;   in Loop: Header=BB282_19 Depth=1
	s_andn2_b64 vcc, exec, s[24:25]
	v_mov_b32_e32 v27, 0
	v_mov_b32_e32 v26, 0
	;; [unrolled: 1-line block ×10, first 2 shown]
	s_cbranch_vccnz .LBB282_69
; %bb.68:                               ;   in Loop: Header=BB282_19 Depth=1
	v_mul_hi_u32 v5, v98, v101
	v_mul_lo_u32 v5, v5, s18
	v_sub_u32_e32 v5, v98, v5
	v_subrev_u32_e32 v9, s18, v5
	v_cmp_le_u32_e32 vcc, s18, v5
	v_mov_b32_e32 v19, v103
	v_mov_b32_e32 v33, v103
	v_cndmask_b32_e32 v5, v5, v9, vcc
	v_subrev_u32_e32 v9, s18, v5
	v_cmp_le_u32_e32 vcc, s18, v5
	s_nop 1
	v_cndmask_b32_e32 v102, v5, v9, vcc
	v_mul_hi_u32 v5, v106, v101
	v_mul_lo_u32 v5, v5, s18
	v_sub_u32_e32 v5, v106, v5
	v_subrev_u32_e32 v9, s18, v5
	v_cmp_le_u32_e32 vcc, s18, v5
	v_add_u32_e32 v18, s39, v102
	v_lshl_add_u64 v[36:37], v[18:19], 1, s[12:13]
	v_cndmask_b32_e32 v5, v5, v9, vcc
	v_subrev_u32_e32 v9, s18, v5
	v_cmp_le_u32_e32 vcc, s18, v5
	v_lshl_add_u64 v[30:31], v[102:103], 1, s[12:13]
	s_nop 0
	v_cndmask_b32_e32 v32, v5, v9, vcc
	v_add_u32_e32 v18, s39, v32
	v_lshl_add_u64 v[38:39], v[18:19], 1, s[12:13]
	v_add_u32_e32 v18, s40, v102
	v_lshl_add_u64 v[40:41], v[18:19], 1, s[12:13]
	;; [unrolled: 2-line block ×5, first 2 shown]
	v_lshl_add_u64 v[46:47], v[18:19], 1, s[12:13]
	global_load_ushort v27, v[30:31], off
	global_load_ushort v26, v[34:35], off
	;; [unrolled: 1-line block ×8, first 2 shown]
	v_add_u32_e32 v102, s42, v102
	v_lshl_add_u64 v[30:31], v[102:103], 1, s[12:13]
	v_add_u32_e32 v102, s42, v32
	v_lshl_add_u64 v[32:33], v[102:103], 1, s[12:13]
	global_load_ushort v9, v[30:31], off
	global_load_ushort v5, v[32:33], off
.LBB282_69:                             ;   in Loop: Header=BB282_19 Depth=1
	v_cmp_ne_u32_e32 vcc, 0, v96
	s_and_saveexec_b64 s[6:7], vcc
	s_cbranch_execnz .LBB282_79
; %bb.70:                               ;   in Loop: Header=BB282_19 Depth=1
	s_or_b64 exec, exec, s[6:7]
	v_cmp_ne_u32_e64 s[4:5], 0, v97
	s_and_saveexec_b64 s[30:31], s[4:5]
	s_cbranch_execnz .LBB282_84
.LBB282_71:                             ;   in Loop: Header=BB282_19 Depth=1
	s_or_b64 exec, exec, s[30:31]
	v_add_u32_e32 v102, s11, v98
	s_and_saveexec_b64 s[30:31], vcc
	s_cbranch_execnz .LBB282_89
.LBB282_72:                             ;   in Loop: Header=BB282_19 Depth=1
	s_or_b64 exec, exec, s[30:31]
	s_and_saveexec_b64 s[30:31], s[4:5]
	s_cbranch_execnz .LBB282_94
.LBB282_73:                             ;   in Loop: Header=BB282_19 Depth=1
	s_or_b64 exec, exec, s[30:31]
	v_add_u32_e32 v102, s11, v102
	s_and_saveexec_b64 s[30:31], vcc
	s_cbranch_execnz .LBB282_99
.LBB282_74:                             ;   in Loop: Header=BB282_19 Depth=1
	s_or_b64 exec, exec, s[30:31]
	s_and_saveexec_b64 s[30:31], s[4:5]
	s_cbranch_execnz .LBB282_104
.LBB282_75:                             ;   in Loop: Header=BB282_19 Depth=1
	s_or_b64 exec, exec, s[30:31]
	v_add_u32_e32 v102, s11, v102
	s_and_saveexec_b64 s[30:31], vcc
	s_cbranch_execnz .LBB282_109
.LBB282_76:                             ;   in Loop: Header=BB282_19 Depth=1
	s_or_b64 exec, exec, s[30:31]
	s_and_saveexec_b64 s[30:31], s[4:5]
	s_cbranch_execnz .LBB282_114
.LBB282_77:                             ;   in Loop: Header=BB282_19 Depth=1
	s_or_b64 exec, exec, s[30:31]
	v_add_u32_e32 v102, s11, v102
	s_and_saveexec_b64 s[6:7], vcc
	s_cbranch_execnz .LBB282_119
.LBB282_78:                             ;   in Loop: Header=BB282_19 Depth=1
	s_or_b64 exec, exec, s[6:7]
	s_and_b64 exec, exec, s[4:5]
	s_cbranch_execnz .LBB282_124
	s_branch .LBB282_129
.LBB282_79:                             ;   in Loop: Header=BB282_19 Depth=1
	v_cvt_f32_i32_e32 v29, v29
	s_waitcnt vmcnt(9)
	v_lshlrev_b32_e32 v27, 16, v27
	v_add_f32_e32 v28, v28, v29
	v_add_f32_e32 v28, v28, v27
	v_and_b32_e32 v27, 0x7f800000, v28
	v_cmp_ne_u32_e64 s[4:5], s46, v27
                                        ; implicit-def: $vgpr27
	s_and_saveexec_b64 s[30:31], s[4:5]
	s_xor_b64 s[4:5], exec, s[30:31]
; %bb.80:                               ;   in Loop: Header=BB282_19 Depth=1
	v_bfe_u32 v27, v28, 16, 1
	v_add3_u32 v27, v28, v27, s10
                                        ; implicit-def: $vgpr28
; %bb.81:                               ;   in Loop: Header=BB282_19 Depth=1
	s_andn2_saveexec_b64 s[30:31], s[4:5]
; %bb.82:                               ;   in Loop: Header=BB282_19 Depth=1
	v_or_b32_e32 v27, 0x10000, v28
	v_cmp_eq_u32_sdwa s[4:5], v28, v103 src0_sel:WORD_0 src1_sel:DWORD
	s_nop 1
	v_cndmask_b32_e64 v27, v27, v28, s[4:5]
; %bb.83:                               ;   in Loop: Header=BB282_19 Depth=1
	s_or_b64 exec, exec, s[30:31]
	v_mov_b32_e32 v99, v103
	v_lshl_add_u64 v[28:29], v[98:99], 1, s[14:15]
	global_store_short_d16_hi v[28:29], v27, off
	s_or_b64 exec, exec, s[6:7]
	v_cmp_ne_u32_e64 s[4:5], 0, v97
	s_and_saveexec_b64 s[30:31], s[4:5]
	s_cbranch_execz .LBB282_71
.LBB282_84:                             ;   in Loop: Header=BB282_19 Depth=1
	v_cvt_f32_i32_e32 v21, v21
	v_add_f32_e32 v21, v24, v21
	s_waitcnt vmcnt(8)
	v_lshlrev_b32_e32 v24, 16, v26
	v_add_f32_e32 v24, v21, v24
	v_and_b32_e32 v21, 0x7f800000, v24
	v_cmp_ne_u32_e64 s[6:7], s46, v21
                                        ; implicit-def: $vgpr21
	s_and_saveexec_b64 s[34:35], s[6:7]
	s_xor_b64 s[6:7], exec, s[34:35]
; %bb.85:                               ;   in Loop: Header=BB282_19 Depth=1
	v_bfe_u32 v21, v24, 16, 1
	v_add3_u32 v21, v24, v21, s10
                                        ; implicit-def: $vgpr24
; %bb.86:                               ;   in Loop: Header=BB282_19 Depth=1
	s_andn2_saveexec_b64 s[34:35], s[6:7]
; %bb.87:                               ;   in Loop: Header=BB282_19 Depth=1
	v_or_b32_e32 v21, 0x10000, v24
	v_cmp_eq_u32_sdwa s[6:7], v24, v103 src0_sel:WORD_0 src1_sel:DWORD
	s_nop 1
	v_cndmask_b32_e64 v21, v21, v24, s[6:7]
; %bb.88:                               ;   in Loop: Header=BB282_19 Depth=1
	s_or_b64 exec, exec, s[34:35]
	v_mov_b32_e32 v107, v103
	v_lshl_add_u64 v[26:27], v[106:107], 1, s[14:15]
	global_store_short_d16_hi v[26:27], v21, off
	s_or_b64 exec, exec, s[30:31]
	v_add_u32_e32 v102, s11, v98
	s_and_saveexec_b64 s[30:31], vcc
	s_cbranch_execz .LBB282_72
.LBB282_89:                             ;   in Loop: Header=BB282_19 Depth=1
	v_cvt_f32_i32_e32 v17, v17
	v_add_f32_e32 v17, v20, v17
	s_waitcnt vmcnt(7)
	v_lshlrev_b32_e32 v20, 16, v25
	v_add_f32_e32 v20, v17, v20
	v_and_b32_e32 v17, 0x7f800000, v20
	v_cmp_ne_u32_e64 s[6:7], s46, v17
                                        ; implicit-def: $vgpr17
	s_and_saveexec_b64 s[34:35], s[6:7]
	s_xor_b64 s[6:7], exec, s[34:35]
; %bb.90:                               ;   in Loop: Header=BB282_19 Depth=1
	v_bfe_u32 v17, v20, 16, 1
	v_add3_u32 v17, v20, v17, s10
                                        ; implicit-def: $vgpr20
; %bb.91:                               ;   in Loop: Header=BB282_19 Depth=1
	s_andn2_saveexec_b64 s[34:35], s[6:7]
; %bb.92:                               ;   in Loop: Header=BB282_19 Depth=1
	v_or_b32_e32 v17, 0x10000, v20
	v_cmp_eq_u32_sdwa s[6:7], v20, v103 src0_sel:WORD_0 src1_sel:DWORD
	s_nop 1
	v_cndmask_b32_e64 v17, v17, v20, s[6:7]
; %bb.93:                               ;   in Loop: Header=BB282_19 Depth=1
	s_or_b64 exec, exec, s[34:35]
	v_lshl_add_u64 v[20:21], v[102:103], 1, s[14:15]
	global_store_short_d16_hi v[20:21], v17, off
	s_or_b64 exec, exec, s[30:31]
	s_and_saveexec_b64 s[30:31], s[4:5]
	s_cbranch_execz .LBB282_73
.LBB282_94:                             ;   in Loop: Header=BB282_19 Depth=1
	v_cvt_f32_i32_e32 v15, v15
	v_add_f32_e32 v15, v16, v15
	s_waitcnt vmcnt(6)
	v_lshlrev_b32_e32 v16, 16, v23
	v_add_f32_e32 v16, v15, v16
	v_and_b32_e32 v15, 0x7f800000, v16
	v_cmp_ne_u32_e64 s[6:7], s46, v15
                                        ; implicit-def: $vgpr15
	s_and_saveexec_b64 s[34:35], s[6:7]
	s_xor_b64 s[6:7], exec, s[34:35]
; %bb.95:                               ;   in Loop: Header=BB282_19 Depth=1
	v_bfe_u32 v15, v16, 16, 1
	v_add3_u32 v15, v16, v15, s10
                                        ; implicit-def: $vgpr16
; %bb.96:                               ;   in Loop: Header=BB282_19 Depth=1
	s_andn2_saveexec_b64 s[34:35], s[6:7]
; %bb.97:                               ;   in Loop: Header=BB282_19 Depth=1
	v_or_b32_e32 v15, 0x10000, v16
	v_cmp_eq_u32_sdwa s[6:7], v16, v103 src0_sel:WORD_0 src1_sel:DWORD
	s_nop 1
	v_cndmask_b32_e64 v15, v15, v16, s[6:7]
; %bb.98:                               ;   in Loop: Header=BB282_19 Depth=1
	s_or_b64 exec, exec, s[34:35]
	v_add_u32_e32 v16, 1, v102
	v_mov_b32_e32 v17, v103
	v_lshl_add_u64 v[16:17], v[16:17], 1, s[14:15]
	global_store_short_d16_hi v[16:17], v15, off
	s_or_b64 exec, exec, s[30:31]
	v_add_u32_e32 v102, s11, v102
	s_and_saveexec_b64 s[30:31], vcc
	s_cbranch_execz .LBB282_74
.LBB282_99:                             ;   in Loop: Header=BB282_19 Depth=1
	v_cvt_f32_i32_e32 v11, v11
	v_add_f32_e32 v11, v13, v11
	s_waitcnt vmcnt(5)
	v_lshlrev_b32_e32 v13, 16, v22
	v_add_f32_e32 v13, v11, v13
	v_and_b32_e32 v11, 0x7f800000, v13
	v_cmp_ne_u32_e64 s[6:7], s46, v11
                                        ; implicit-def: $vgpr11
	s_and_saveexec_b64 s[34:35], s[6:7]
	s_xor_b64 s[6:7], exec, s[34:35]
; %bb.100:                              ;   in Loop: Header=BB282_19 Depth=1
	v_bfe_u32 v11, v13, 16, 1
	v_add3_u32 v11, v13, v11, s10
                                        ; implicit-def: $vgpr13
; %bb.101:                              ;   in Loop: Header=BB282_19 Depth=1
	s_andn2_saveexec_b64 s[34:35], s[6:7]
; %bb.102:                              ;   in Loop: Header=BB282_19 Depth=1
	v_or_b32_e32 v11, 0x10000, v13
	v_cmp_eq_u32_sdwa s[6:7], v13, v103 src0_sel:WORD_0 src1_sel:DWORD
	s_nop 1
	v_cndmask_b32_e64 v11, v11, v13, s[6:7]
; %bb.103:                              ;   in Loop: Header=BB282_19 Depth=1
	s_or_b64 exec, exec, s[34:35]
	v_lshl_add_u64 v[16:17], v[102:103], 1, s[14:15]
	global_store_short_d16_hi v[16:17], v11, off
	s_or_b64 exec, exec, s[30:31]
	s_and_saveexec_b64 s[30:31], s[4:5]
	s_cbranch_execz .LBB282_75
.LBB282_104:                            ;   in Loop: Header=BB282_19 Depth=1
	v_cvt_f32_i32_e32 v8, v8
	s_waitcnt vmcnt(4)
	v_lshlrev_b32_e32 v11, 16, v19
	v_add_f32_e32 v8, v12, v8
	v_add_f32_e32 v11, v8, v11
	v_and_b32_e32 v8, 0x7f800000, v11
	v_cmp_ne_u32_e64 s[6:7], s46, v8
                                        ; implicit-def: $vgpr8
	s_and_saveexec_b64 s[34:35], s[6:7]
	s_xor_b64 s[6:7], exec, s[34:35]
; %bb.105:                              ;   in Loop: Header=BB282_19 Depth=1
	v_bfe_u32 v8, v11, 16, 1
	v_add3_u32 v8, v11, v8, s10
                                        ; implicit-def: $vgpr11
; %bb.106:                              ;   in Loop: Header=BB282_19 Depth=1
	s_andn2_saveexec_b64 s[34:35], s[6:7]
; %bb.107:                              ;   in Loop: Header=BB282_19 Depth=1
	v_or_b32_e32 v8, 0x10000, v11
	v_cmp_eq_u32_sdwa s[6:7], v11, v103 src0_sel:WORD_0 src1_sel:DWORD
	s_nop 1
	v_cndmask_b32_e64 v8, v8, v11, s[6:7]
; %bb.108:                              ;   in Loop: Header=BB282_19 Depth=1
	s_or_b64 exec, exec, s[34:35]
	v_add_u32_e32 v12, 1, v102
	v_mov_b32_e32 v13, v103
	v_lshl_add_u64 v[12:13], v[12:13], 1, s[14:15]
	global_store_short_d16_hi v[12:13], v8, off
	s_or_b64 exec, exec, s[30:31]
	v_add_u32_e32 v102, s11, v102
	s_and_saveexec_b64 s[30:31], vcc
	s_cbranch_execz .LBB282_76
.LBB282_109:                            ;   in Loop: Header=BB282_19 Depth=1
	v_cvt_f32_i32_e32 v8, v10
	v_add_f32_e32 v7, v7, v8
	s_waitcnt vmcnt(3)
	v_lshlrev_b32_e32 v8, 16, v18
	v_add_f32_e32 v8, v7, v8
	v_and_b32_e32 v7, 0x7f800000, v8
	v_cmp_ne_u32_e64 s[6:7], s46, v7
                                        ; implicit-def: $vgpr7
	s_and_saveexec_b64 s[34:35], s[6:7]
	s_xor_b64 s[6:7], exec, s[34:35]
; %bb.110:                              ;   in Loop: Header=BB282_19 Depth=1
	v_bfe_u32 v7, v8, 16, 1
	v_add3_u32 v7, v8, v7, s10
                                        ; implicit-def: $vgpr8
; %bb.111:                              ;   in Loop: Header=BB282_19 Depth=1
	s_andn2_saveexec_b64 s[34:35], s[6:7]
; %bb.112:                              ;   in Loop: Header=BB282_19 Depth=1
	v_or_b32_e32 v7, 0x10000, v8
	v_cmp_eq_u32_sdwa s[6:7], v8, v103 src0_sel:WORD_0 src1_sel:DWORD
	s_nop 1
	v_cndmask_b32_e64 v7, v7, v8, s[6:7]
; %bb.113:                              ;   in Loop: Header=BB282_19 Depth=1
	s_or_b64 exec, exec, s[34:35]
	v_lshl_add_u64 v[10:11], v[102:103], 1, s[14:15]
	global_store_short_d16_hi v[10:11], v7, off
	s_or_b64 exec, exec, s[30:31]
	s_and_saveexec_b64 s[30:31], s[4:5]
	s_cbranch_execz .LBB282_77
.LBB282_114:                            ;   in Loop: Header=BB282_19 Depth=1
	v_cvt_f32_i32_e32 v6, v6
	v_add_f32_e32 v4, v4, v6
	s_waitcnt vmcnt(2)
	v_lshlrev_b32_e32 v6, 16, v14
	v_add_f32_e32 v6, v4, v6
	v_and_b32_e32 v4, 0x7f800000, v6
	v_cmp_ne_u32_e64 s[6:7], s46, v4
                                        ; implicit-def: $vgpr4
	s_and_saveexec_b64 s[34:35], s[6:7]
	s_xor_b64 s[6:7], exec, s[34:35]
; %bb.115:                              ;   in Loop: Header=BB282_19 Depth=1
	v_bfe_u32 v4, v6, 16, 1
	v_add3_u32 v4, v6, v4, s10
                                        ; implicit-def: $vgpr6
; %bb.116:                              ;   in Loop: Header=BB282_19 Depth=1
	s_andn2_saveexec_b64 s[34:35], s[6:7]
; %bb.117:                              ;   in Loop: Header=BB282_19 Depth=1
	v_or_b32_e32 v4, 0x10000, v6
	v_cmp_eq_u32_sdwa s[6:7], v6, v103 src0_sel:WORD_0 src1_sel:DWORD
	s_nop 1
	v_cndmask_b32_e64 v4, v4, v6, s[6:7]
; %bb.118:                              ;   in Loop: Header=BB282_19 Depth=1
	s_or_b64 exec, exec, s[34:35]
	v_add_u32_e32 v6, 1, v102
	v_mov_b32_e32 v7, v103
	v_lshl_add_u64 v[6:7], v[6:7], 1, s[14:15]
	global_store_short_d16_hi v[6:7], v4, off
	s_or_b64 exec, exec, s[30:31]
	v_add_u32_e32 v102, s11, v102
	s_and_saveexec_b64 s[6:7], vcc
	s_cbranch_execz .LBB282_78
.LBB282_119:                            ;   in Loop: Header=BB282_19 Depth=1
	v_cvt_f32_i32_e32 v3, v3
	v_add_f32_e32 v2, v2, v3
	s_waitcnt vmcnt(1)
	v_lshlrev_b32_e32 v3, 16, v9
	v_add_f32_e32 v3, v2, v3
	v_and_b32_e32 v2, 0x7f800000, v3
	v_cmp_ne_u32_e32 vcc, s46, v2
                                        ; implicit-def: $vgpr2
	s_and_saveexec_b64 s[30:31], vcc
	s_xor_b64 s[30:31], exec, s[30:31]
; %bb.120:                              ;   in Loop: Header=BB282_19 Depth=1
	v_bfe_u32 v2, v3, 16, 1
	v_add3_u32 v2, v3, v2, s10
                                        ; implicit-def: $vgpr3
; %bb.121:                              ;   in Loop: Header=BB282_19 Depth=1
	s_andn2_saveexec_b64 s[30:31], s[30:31]
; %bb.122:                              ;   in Loop: Header=BB282_19 Depth=1
	v_or_b32_e32 v2, 0x10000, v3
	v_cmp_eq_u32_sdwa vcc, v3, v103 src0_sel:WORD_0 src1_sel:DWORD
	s_nop 1
	v_cndmask_b32_e32 v2, v2, v3, vcc
; %bb.123:                              ;   in Loop: Header=BB282_19 Depth=1
	s_or_b64 exec, exec, s[30:31]
	v_lshl_add_u64 v[6:7], v[102:103], 1, s[14:15]
	global_store_short_d16_hi v[6:7], v2, off
	s_or_b64 exec, exec, s[6:7]
	s_and_b64 exec, exec, s[4:5]
	s_cbranch_execz .LBB282_129
.LBB282_124:                            ;   in Loop: Header=BB282_19 Depth=1
	v_cvt_f32_i32_e32 v1, v1
	v_add_f32_e32 v0, v0, v1
	s_waitcnt vmcnt(0)
	v_lshlrev_b32_e32 v1, 16, v5
	v_add_f32_e32 v1, v0, v1
	v_and_b32_e32 v0, 0x7f800000, v1
	v_cmp_ne_u32_e32 vcc, s46, v0
                                        ; implicit-def: $vgpr0
	s_and_saveexec_b64 s[4:5], vcc
	s_xor_b64 s[4:5], exec, s[4:5]
; %bb.125:                              ;   in Loop: Header=BB282_19 Depth=1
	v_bfe_u32 v0, v1, 16, 1
	v_add3_u32 v0, v1, v0, s10
                                        ; implicit-def: $vgpr1
; %bb.126:                              ;   in Loop: Header=BB282_19 Depth=1
	s_andn2_saveexec_b64 s[4:5], s[4:5]
; %bb.127:                              ;   in Loop: Header=BB282_19 Depth=1
	v_or_b32_e32 v0, 0x10000, v1
	v_cmp_eq_u32_sdwa vcc, v1, v103 src0_sel:WORD_0 src1_sel:DWORD
	s_nop 1
	v_cndmask_b32_e32 v0, v0, v1, vcc
; %bb.128:                              ;   in Loop: Header=BB282_19 Depth=1
	s_or_b64 exec, exec, s[4:5]
	v_add_u32_e32 v102, 1, v102
	v_lshl_add_u64 v[2:3], v[102:103], 1, s[14:15]
	global_store_short_d16_hi v[2:3], v0, off
.LBB282_129:                            ;   in Loop: Header=BB282_19 Depth=1
	s_or_b64 exec, exec, s[28:29]
	v_add_u32_e32 v98, s37, v98
	v_add_u32_e32 v0, 2, v98
	v_cmp_gt_u32_e32 vcc, s11, v98
	v_cmp_le_u32_e64 s[4:5], s11, v0
	s_and_b64 s[4:5], vcc, s[4:5]
	s_and_saveexec_b64 s[6:7], s[4:5]
	s_cbranch_execz .LBB282_18
; %bb.130:                              ;   in Loop: Header=BB282_19 Depth=1
	v_cmp_ne_u32_e32 vcc, s38, v98
	s_and_saveexec_b64 s[28:29], vcc
	s_cbranch_execz .LBB282_17
; %bb.131:                              ;   in Loop: Header=BB282_19 Depth=1
	v_subrev_u32_e32 v0, s38, v98
	v_cmp_lt_u32_e32 vcc, 1, v0
	s_mov_b64 s[30:31], 0
	s_mov_b64 s[34:35], 0
	v_cndmask_b32_e32 v0, 1, v0, vcc
.LBB282_132:                            ;   Parent Loop BB282_19 Depth=1
                                        ; =>  This Inner Loop Header: Depth=2
	s_cmp_lg_u32 s34, 1
	s_cselect_b64 vcc, -1, 0
	s_cmp_lg_u32 s34, 0
	v_cndmask_b32_e32 v97, 0, v97, vcc
	s_cselect_b64 vcc, -1, 0
	s_add_u32 s34, s34, 1
	s_addc_u32 s35, s35, 0
	v_cmp_eq_u32_e64 s[4:5], s34, v0
	s_or_b64 s[30:31], s[4:5], s[30:31]
	v_cndmask_b32_e32 v96, 0, v96, vcc
	s_andn2_b64 exec, exec, s[30:31]
	s_cbranch_execnz .LBB282_132
; %bb.133:                              ;   in Loop: Header=BB282_19 Depth=1
	s_or_b64 exec, exec, s[30:31]
	s_branch .LBB282_17
.LBB282_134:
	s_endpgm
	.section	.rodata,"a",@progbits
	.p2align	6, 0x0
	.amdhsa_kernel _Z12wvSplitK_hf_I14__hip_bfloat16Li32ELi2ELi16ELi8ELi2ELi5EEviiiiiiPKT_S3_S3_PS1_ii
		.amdhsa_group_segment_fixed_size 65536
		.amdhsa_private_segment_fixed_size 0
		.amdhsa_kernarg_size 64
		.amdhsa_user_sgpr_count 2
		.amdhsa_user_sgpr_dispatch_ptr 0
		.amdhsa_user_sgpr_queue_ptr 0
		.amdhsa_user_sgpr_kernarg_segment_ptr 1
		.amdhsa_user_sgpr_dispatch_id 0
		.amdhsa_user_sgpr_kernarg_preload_length 0
		.amdhsa_user_sgpr_kernarg_preload_offset 0
		.amdhsa_user_sgpr_private_segment_size 0
		.amdhsa_uses_dynamic_stack 0
		.amdhsa_enable_private_segment 0
		.amdhsa_system_sgpr_workgroup_id_x 1
		.amdhsa_system_sgpr_workgroup_id_y 0
		.amdhsa_system_sgpr_workgroup_id_z 0
		.amdhsa_system_sgpr_workgroup_info 0
		.amdhsa_system_vgpr_workitem_id 1
		.amdhsa_next_free_vgpr 123
		.amdhsa_next_free_sgpr 47
		.amdhsa_accum_offset 124
		.amdhsa_reserve_vcc 1
		.amdhsa_float_round_mode_32 0
		.amdhsa_float_round_mode_16_64 0
		.amdhsa_float_denorm_mode_32 3
		.amdhsa_float_denorm_mode_16_64 3
		.amdhsa_dx10_clamp 1
		.amdhsa_ieee_mode 1
		.amdhsa_fp16_overflow 0
		.amdhsa_tg_split 0
		.amdhsa_exception_fp_ieee_invalid_op 0
		.amdhsa_exception_fp_denorm_src 0
		.amdhsa_exception_fp_ieee_div_zero 0
		.amdhsa_exception_fp_ieee_overflow 0
		.amdhsa_exception_fp_ieee_underflow 0
		.amdhsa_exception_fp_ieee_inexact 0
		.amdhsa_exception_int_div_zero 0
	.end_amdhsa_kernel
	.section	.text._Z12wvSplitK_hf_I14__hip_bfloat16Li32ELi2ELi16ELi8ELi2ELi5EEviiiiiiPKT_S3_S3_PS1_ii,"axG",@progbits,_Z12wvSplitK_hf_I14__hip_bfloat16Li32ELi2ELi16ELi8ELi2ELi5EEviiiiiiPKT_S3_S3_PS1_ii,comdat
.Lfunc_end282:
	.size	_Z12wvSplitK_hf_I14__hip_bfloat16Li32ELi2ELi16ELi8ELi2ELi5EEviiiiiiPKT_S3_S3_PS1_ii, .Lfunc_end282-_Z12wvSplitK_hf_I14__hip_bfloat16Li32ELi2ELi16ELi8ELi2ELi5EEviiiiiiPKT_S3_S3_PS1_ii
                                        ; -- End function
	.section	.AMDGPU.csdata,"",@progbits
; Kernel info:
; codeLenInByte = 5952
; NumSgprs: 53
; NumVgprs: 123
; NumAgprs: 0
; TotalNumVgprs: 123
; ScratchSize: 0
; MemoryBound: 1
; FloatMode: 240
; IeeeMode: 1
; LDSByteSize: 65536 bytes/workgroup (compile time only)
; SGPRBlocks: 6
; VGPRBlocks: 15
; NumSGPRsForWavesPerEU: 53
; NumVGPRsForWavesPerEU: 123
; AccumOffset: 124
; Occupancy: 2
; WaveLimiterHint : 0
; COMPUTE_PGM_RSRC2:SCRATCH_EN: 0
; COMPUTE_PGM_RSRC2:USER_SGPR: 2
; COMPUTE_PGM_RSRC2:TRAP_HANDLER: 0
; COMPUTE_PGM_RSRC2:TGID_X_EN: 1
; COMPUTE_PGM_RSRC2:TGID_Y_EN: 0
; COMPUTE_PGM_RSRC2:TGID_Z_EN: 0
; COMPUTE_PGM_RSRC2:TIDIG_COMP_CNT: 1
; COMPUTE_PGM_RSRC3_GFX90A:ACCUM_OFFSET: 30
; COMPUTE_PGM_RSRC3_GFX90A:TG_SPLIT: 0
	.section	.text._Z16wvSplitK_hf_big_I14__hip_bfloat16Li32ELi2ELi16ELi8ELi2ELi5EEviiiiiiPKT_S3_S3_PS1_ii,"axG",@progbits,_Z16wvSplitK_hf_big_I14__hip_bfloat16Li32ELi2ELi16ELi8ELi2ELi5EEviiiiiiPKT_S3_S3_PS1_ii,comdat
	.protected	_Z16wvSplitK_hf_big_I14__hip_bfloat16Li32ELi2ELi16ELi8ELi2ELi5EEviiiiiiPKT_S3_S3_PS1_ii ; -- Begin function _Z16wvSplitK_hf_big_I14__hip_bfloat16Li32ELi2ELi16ELi8ELi2ELi5EEviiiiiiPKT_S3_S3_PS1_ii
	.globl	_Z16wvSplitK_hf_big_I14__hip_bfloat16Li32ELi2ELi16ELi8ELi2ELi5EEviiiiiiPKT_S3_S3_PS1_ii
	.p2align	8
	.type	_Z16wvSplitK_hf_big_I14__hip_bfloat16Li32ELi2ELi16ELi8ELi2ELi5EEviiiiiiPKT_S3_S3_PS1_ii,@function
_Z16wvSplitK_hf_big_I14__hip_bfloat16Li32ELi2ELi16ELi8ELi2ELi5EEviiiiiiPKT_S3_S3_PS1_ii: ; @_Z16wvSplitK_hf_big_I14__hip_bfloat16Li32ELi2ELi16ELi8ELi2ELi5EEviiiiiiPKT_S3_S3_PS1_ii
; %bb.0:
	s_load_dwordx2 s[4:5], s[0:1], 0x38
	v_bfe_u32 v1, v0, 10, 10
	s_waitcnt lgkmcnt(0)
	v_cmp_gt_u32_e32 vcc, s4, v1
	s_and_saveexec_b64 s[6:7], vcc
	s_cbranch_execz .LBB283_100
; %bb.1:
	s_load_dwordx4 s[20:23], s[0:1], 0x0
	s_mul_i32 s2, s2, s4
	v_add_lshl_u32 v98, s2, v1, 1
	s_mov_b32 s6, 1
	v_add_u32_e32 v2, 2, v98
	s_waitcnt lgkmcnt(0)
	v_cmp_gt_u32_e32 vcc, s23, v98
	v_cmp_le_u32_e64 s[2:3], s23, v2
	s_mov_b32 s7, s6
	s_and_b64 s[8:9], vcc, s[2:3]
	v_mov_b64_e32 v[96:97], s[6:7]
	s_and_saveexec_b64 s[2:3], s[8:9]
	s_cbranch_execz .LBB283_7
; %bb.2:
	s_add_i32 s14, s23, -2
	v_cmp_ne_u32_e32 vcc, s14, v98
	v_mov_b64_e32 v[96:97], s[6:7]
	s_and_saveexec_b64 s[6:7], vcc
	s_cbranch_execz .LBB283_6
; %bb.3:
	v_subrev_u32_e32 v2, s14, v98
	s_mov_b32 s8, 1
	v_cmp_lt_u32_e32 vcc, 1, v2
	s_mov_b64 s[10:11], 0
	s_mov_b64 s[12:13], 0
	v_cndmask_b32_e32 v2, 1, v2, vcc
	s_mov_b32 s9, s8
.LBB283_4:                              ; =>This Inner Loop Header: Depth=1
	s_cmp_lg_u32 s12, 1
	s_cselect_b32 s9, s9, 0
	s_cmp_lg_u32 s12, 0
	s_cselect_b32 s8, s8, 0
	s_add_u32 s12, s12, 1
	s_addc_u32 s13, s13, 0
	v_cmp_eq_u32_e32 vcc, s12, v2
	s_or_b64 s[10:11], vcc, s[10:11]
	v_mov_b64_e32 v[96:97], s[8:9]
	s_andn2_b64 exec, exec, s[10:11]
	s_cbranch_execnz .LBB283_4
; %bb.5:
	s_or_b64 exec, exec, s[10:11]
	v_mov_b32_e32 v98, s14
.LBB283_6:
	s_or_b64 exec, exec, s[6:7]
.LBB283_7:
	s_or_b64 exec, exec, s[2:3]
	s_lshl_b32 s2, s4, 1
	s_abs_i32 s3, s2
	v_cvt_f32_u32_e32 v2, s3
	s_sub_i32 s8, 0, s3
	s_abs_i32 s7, s23
	s_ashr_i32 s6, s23, 31
	v_rcp_iflag_f32_e32 v2, v2
	s_nop 0
	v_mul_f32_e32 v2, 0x4f7ffffe, v2
	v_cvt_u32_f32_e32 v2, v2
	s_nop 0
	v_readfirstlane_b32 s9, v2
	s_mul_i32 s8, s8, s9
	s_mul_hi_u32 s8, s9, s8
	s_add_i32 s9, s9, s8
	s_mul_hi_u32 s8, s7, s9
	s_mul_i32 s8, s8, s3
	s_sub_i32 s7, s7, s8
	s_sub_i32 s8, s7, s3
	s_cmp_ge_u32 s7, s3
	s_cselect_b32 s7, s8, s7
	s_sub_i32 s8, s7, s3
	s_cmp_ge_u32 s7, s3
	s_cselect_b32 s3, s8, s7
	s_xor_b32 s3, s3, s6
	s_sub_i32 s3, s3, s6
	s_add_i32 s2, s2, s23
	s_sub_i32 s2, s2, s3
	s_cmp_eq_u32 s3, 0
	s_cselect_b32 s33, s23, s2
	v_cmp_gt_u32_e32 vcc, s33, v98
	s_and_b64 exec, exec, vcc
	s_cbranch_execz .LBB283_100
; %bb.8:
	s_load_dwordx8 s[12:19], s[0:1], 0x10
	s_min_u32 s40, s22, 0x1800
	s_cmp_lg_u32 s20, 0
	s_load_dwordx2 s[10:11], s[0:1], 0x30
	s_cselect_b64 s[2:3], -1, 0
	s_cmp_lg_u32 s22, 0
	s_mul_i32 s0, s5, s4
	s_cselect_b64 s[6:7], -1, 0
	s_lshl_b32 s41, s4, 8
	s_add_i32 s42, s20, -8
	s_add_i32 s43, s23, -1
	s_lshl_b32 s44, s0, 1
	s_waitcnt lgkmcnt(0)
	s_cmp_lg_u64 s[18:19], 0
	s_cselect_b64 s[26:27], -1, 0
	s_abs_i32 s5, s13
	v_cvt_f32_u32_e32 v2, s12
	v_cvt_f32_u32_e32 v3, s5
	s_sub_i32 s8, 0, s12
	s_add_i32 s13, s23, -2
	v_rcp_iflag_f32_e32 v2, v2
	v_rcp_iflag_f32_e32 v3, v3
	v_and_b32_e32 v0, 0x3ff, v0
	v_lshlrev_b32_e32 v103, 3, v0
	v_mul_f32_e32 v2, 0x4f7ffffe, v2
	v_mul_f32_e32 v3, 0x4f7ffffe, v3
	v_cvt_u32_f32_e32 v2, v2
	v_cvt_u32_f32_e32 v3, v3
	v_cmp_eq_u32_e64 s[0:1], 31, v0
	v_lshlrev_b32_e32 v0, 4, v0
	v_mul_lo_u32 v4, s8, v2
	s_sub_i32 s8, 0, s5
	v_readfirstlane_b32 s9, v3
	s_mul_i32 s8, s8, s9
	s_mul_hi_u32 s8, s9, s8
	s_add_i32 s9, s9, s8
	s_sub_i32 s8, 1, s5
	s_cmp_lt_u32 s5, 2
	s_cselect_b32 s8, s8, 1
	s_sub_i32 s28, s8, s5
	s_cmp_ge_u32 s8, s5
	s_cselect_b32 s45, s28, s8
	s_lshr_b32 s8, s9, 31
	s_mul_i32 s8, s8, s5
	s_sub_i32 s8, 2, s8
	s_sub_i32 s28, s8, s5
	s_cmp_ge_u32 s8, s5
	s_cselect_b32 s8, s28, s8
	s_sub_i32 s28, s8, s5
	s_cmp_ge_u32 s8, s5
	s_cselect_b32 s46, s28, s8
	s_mul_hi_u32 s8, s9, 3
	s_mul_i32 s8, s8, s5
	s_sub_i32 s8, 3, s8
	s_sub_i32 s28, s8, s5
	s_cmp_ge_u32 s8, s5
	s_cselect_b32 s8, s28, s8
	s_sub_i32 s28, s8, s5
	s_cmp_ge_u32 s8, s5
	s_cselect_b32 s47, s28, s8
	s_lshr_b32 s8, s9, 30
	s_mul_i32 s8, s8, s5
	s_sub_i32 s8, 4, s8
	s_sub_i32 s9, s8, s5
	s_cmp_ge_u32 s8, s5
	s_cselect_b32 s8, s9, s8
	s_sub_i32 s9, s8, s5
	s_cmp_ge_u32 s8, s5
	s_cselect_b32 s48, s9, s8
	s_add_u32 s28, s10, 2
	v_lshl_add_u32 v111, v1, 9, v0
	v_lshl_add_u32 v102, v1, 8, v103
	v_cndmask_b32_e64 v0, 0, 1, s[2:3]
	v_mul_hi_u32 v4, v2, v4
	s_addc_u32 s29, s11, 0
	s_lshl_b32 s50, s4, 9
	v_mad_u64_u32 v[104:105], s[4:5], s22, 3, v[102:103]
	v_cmp_ne_u32_e64 s[2:3], 1, v0
	v_cndmask_b32_e64 v0, 0, 1, s[6:7]
	s_mov_b64 s[24:25], 0
	v_add_u32_e32 v110, v2, v4
	v_mov_b32_e32 v101, 0
	s_mul_i32 s45, s45, s12
	s_mul_i32 s46, s46, s12
	;; [unrolled: 1-line block ×4, first 2 shown]
	s_lshl_b32 s49, s40, 3
	s_mul_i32 s51, s40, 6
	s_lshl_b32 s52, s40, 2
	s_lshl_b32 s53, s40, 1
	v_lshl_add_u32 v112, s22, 1, v102
	v_lshl_add_u32 v105, s22, 2, v102
	v_add_u32_e32 v113, s22, v102
	v_cmp_ne_u32_e64 s[4:5], 1, v0
	s_mov_b32 s54, 0x7f800000
	s_movk_i32 s55, 0x7fff
	s_branch .LBB283_12
.LBB283_9:                              ;   in Loop: Header=BB283_12 Depth=1
	s_or_b64 exec, exec, s[34:35]
	v_mov_b32_e32 v98, s13
.LBB283_10:                             ;   in Loop: Header=BB283_12 Depth=1
	s_or_b64 exec, exec, s[8:9]
.LBB283_11:                             ;   in Loop: Header=BB283_12 Depth=1
	s_or_b64 exec, exec, s[30:31]
	v_cmp_le_u32_e32 vcc, s33, v98
	s_or_b64 s[24:25], vcc, s[24:25]
	s_andn2_b64 exec, exec, s[24:25]
	s_cbranch_execz .LBB283_100
.LBB283_12:                             ; =>This Loop Header: Depth=1
                                        ;     Child Loop BB283_17 Depth 2
                                        ;       Child Loop BB283_22 Depth 3
                                        ;     Child Loop BB283_98 Depth 2
	s_and_b64 vcc, exec, s[2:3]
	v_mov_b32_e32 v3, v101
	v_mov_b32_e32 v2, v101
	;; [unrolled: 1-line block ×6, first 2 shown]
	s_waitcnt vmcnt(0)
	v_mov_b32_e32 v5, v101
	v_mov_b32_e32 v4, v101
	;; [unrolled: 1-line block ×34, first 2 shown]
	s_cbranch_vccnz .LBB283_29
; %bb.13:                               ;   in Loop: Header=BB283_12 Depth=1
	v_min_u32_e32 v0, s43, v98
	v_mul_lo_u32 v100, v0, s21
	v_add_u32_e32 v0, 1, v98
	v_min_u32_e32 v0, s43, v0
	v_mul_lo_u32 v0, v0, s21
	v_mov_b32_e32 v1, v101
	v_mov_b32_e32 v16, 0
	v_cmp_gt_u32_e64 s[6:7], s23, v98
	s_mov_b32 s36, 0
	v_lshlrev_b64 v[106:107], 1, v[100:101]
	v_lshlrev_b64 v[108:109], 1, v[0:1]
	s_mov_b32 s37, 0
	v_mov_b32_e32 v17, v16
	v_mov_b32_e32 v18, v16
	;; [unrolled: 1-line block ×39, first 2 shown]
	s_branch .LBB283_17
.LBB283_14:                             ;   in Loop: Header=BB283_17 Depth=2
	s_or_b64 exec, exec, s[34:35]
.LBB283_15:                             ;   in Loop: Header=BB283_17 Depth=2
	s_or_b64 exec, exec, s[30:31]
	s_waitcnt vmcnt(3) lgkmcnt(4)
	v_mfma_f32_4x4x4_16b_bf16 v[36:39], v[92:93], v[52:53], v[36:39]
	s_waitcnt vmcnt(2)
	v_mfma_f32_4x4x4_16b_bf16 v[32:35], v[92:93], v[48:49], v[32:35]
	s_waitcnt lgkmcnt(3)
	v_mfma_f32_4x4x4_16b_bf16 v[28:31], v[88:89], v[52:53], v[28:31]
	v_mfma_f32_4x4x4_16b_bf16 v[24:27], v[88:89], v[48:49], v[24:27]
	s_waitcnt lgkmcnt(2)
	v_mfma_f32_4x4x4_16b_bf16 v[20:23], v[84:85], v[52:53], v[20:23]
	;; [unrolled: 3-line block ×4, first 2 shown]
	v_mfma_f32_4x4x4_16b_bf16 v[0:3], v[60:61], v[48:49], v[0:3]
	v_mfma_f32_4x4x4_16b_bf16 v[36:39], v[94:95], v[54:55], v[36:39]
	;; [unrolled: 1-line block ×11, first 2 shown]
	s_waitcnt vmcnt(1)
	v_mfma_f32_4x4x4_16b_bf16 v[36:39], v[80:81], v[44:45], v[36:39]
	s_waitcnt vmcnt(0)
	v_mfma_f32_4x4x4_16b_bf16 v[32:35], v[80:81], v[40:41], v[32:35]
	v_mfma_f32_4x4x4_16b_bf16 v[28:31], v[72:73], v[44:45], v[28:31]
	;; [unrolled: 1-line block ×19, first 2 shown]
.LBB283_16:                             ;   in Loop: Header=BB283_17 Depth=2
	s_or_b64 exec, exec, s[8:9]
	s_addk_i32 s37, 0x200
	s_cmp_ge_u32 s37, s20
	s_cbranch_scc1 .LBB283_29
.LBB283_17:                             ;   Parent Loop BB283_12 Depth=1
                                        ; =>  This Loop Header: Depth=2
                                        ;       Child Loop BB283_22 Depth 3
	s_cmp_eq_u32 s37, 0
	s_cselect_b64 s[8:9], -1, 0
	s_add_i32 s30, s36, s40
	s_cmp_eq_u32 s37, s30
	s_cselect_b64 s[34:35], -1, 0
	s_or_b64 s[34:35], s[8:9], s[34:35]
	s_andn2_b64 vcc, exec, s[34:35]
	s_cbranch_vccz .LBB283_19
; %bb.18:                               ;   in Loop: Header=BB283_17 Depth=2
	s_and_saveexec_b64 s[8:9], s[6:7]
	s_cbranch_execz .LBB283_16
	s_branch .LBB283_26
.LBB283_19:                             ;   in Loop: Header=BB283_17 Depth=2
	s_and_b64 s[8:9], s[8:9], exec
	s_cselect_b32 s36, s36, s30
	s_and_b64 vcc, exec, s[4:5]
	s_barrier
	s_cbranch_vccnz .LBB283_25
; %bb.20:                               ;   in Loop: Header=BB283_17 Depth=2
	v_add_u32_e32 v40, s36, v112
	v_add_u32_e32 v41, s36, v104
	;; [unrolled: 1-line block ×5, first 2 shown]
	s_mov_b32 s38, 0
	s_mov_b64 s[30:31], 0
	v_mov_b32_e32 v45, v111
                                        ; implicit-def: $sgpr34_sgpr35
	s_branch .LBB283_22
.LBB283_21:                             ;   in Loop: Header=BB283_22 Depth=3
	s_or_b64 exec, exec, s[8:9]
	s_and_b64 s[8:9], exec, s[34:35]
	s_or_b64 s[30:31], s[8:9], s[30:31]
	s_andn2_b64 exec, exec, s[30:31]
	s_cbranch_execz .LBB283_24
.LBB283_22:                             ;   Parent Loop BB283_12 Depth=1
                                        ;     Parent Loop BB283_17 Depth=2
                                        ; =>    This Inner Loop Header: Depth=3
	v_add_u32_e32 v46, s38, v102
	v_add_u32_e32 v100, s38, v44
	v_cmp_gt_u32_e32 vcc, s22, v100
	v_cmp_gt_u32_e64 s[8:9], s40, v46
	s_and_b64 s[56:57], s[8:9], vcc
	s_or_b64 s[34:35], s[34:35], exec
	s_and_saveexec_b64 s[8:9], s[56:57]
	s_cbranch_execz .LBB283_21
; %bb.23:                               ;   in Loop: Header=BB283_22 Depth=3
	v_lshl_add_u64 v[46:47], v[100:101], 1, s[16:17]
	v_add_u32_e32 v100, s38, v43
	v_lshl_add_u64 v[50:51], v[100:101], 1, s[16:17]
	v_add_u32_e32 v100, s38, v40
	;; [unrolled: 2-line block ×3, first 2 shown]
	v_lshl_add_u64 v[58:59], v[100:101], 1, s[16:17]
	global_load_dwordx4 v[46:49], v[46:47], off
	s_nop 0
	global_load_dwordx4 v[50:53], v[50:51], off
	s_nop 0
	;; [unrolled: 2-line block ×3, first 2 shown]
	global_load_dwordx4 v[58:61], v[58:59], off
	v_add_u32_e32 v100, s38, v42
	v_lshl_add_u64 v[62:63], v[100:101], 1, s[16:17]
	global_load_dwordx4 v[62:65], v[62:63], off
	s_add_i32 s38, s38, s41
	s_cmp_ge_u32 s38, s40
	s_cselect_b64 s[56:57], -1, 0
	s_andn2_b64 s[34:35], s[34:35], exec
	s_and_b64 s[56:57], s[56:57], exec
	v_add_u32_e32 v66, s53, v45
	v_add_u32_e32 v67, s52, v45
	;; [unrolled: 1-line block ×4, first 2 shown]
	s_or_b64 s[34:35], s[34:35], s[56:57]
	s_waitcnt vmcnt(4)
	ds_write_b128 v45, v[46:49]
	v_add_u32_e32 v45, s50, v45
	s_waitcnt vmcnt(3)
	ds_write2_b64 v66, v[50:51], v[52:53] offset1:1
	s_waitcnt vmcnt(2)
	ds_write2_b32 v67, v54, v55 offset1:1
	ds_write2_b32 v67, v56, v57 offset0:2 offset1:3
	s_waitcnt vmcnt(1)
	ds_write2_b64 v68, v[58:59], v[60:61] offset1:1
	s_waitcnt vmcnt(0)
	ds_write2_b64 v69, v[62:63], v[64:65] offset1:1
	s_branch .LBB283_21
.LBB283_24:                             ;   in Loop: Header=BB283_17 Depth=2
	s_or_b64 exec, exec, s[30:31]
.LBB283_25:                             ;   in Loop: Header=BB283_17 Depth=2
	s_waitcnt lgkmcnt(0)
	s_barrier
	s_and_saveexec_b64 s[8:9], s[6:7]
	s_cbranch_execz .LBB283_16
.LBB283_26:                             ;   in Loop: Header=BB283_17 Depth=2
	v_add_u32_e32 v114, s37, v103
	v_min_u32_e32 v100, s42, v114
	v_lshl_add_u64 v[40:41], v[100:101], 1, s[14:15]
	v_add_u32_e32 v99, 0x100, v114
	v_lshl_add_u64 v[42:43], v[40:41], 0, v[106:107]
	v_lshl_add_u64 v[40:41], v[40:41], 0, v[108:109]
	v_min_u32_e32 v100, s42, v99
	global_load_dwordx4 v[52:55], v[42:43], off nt
	global_load_dwordx4 v[48:51], v[40:41], off nt
	v_lshl_add_u64 v[40:41], v[100:101], 1, s[14:15]
	v_lshl_add_u64 v[56:57], v[40:41], 0, v[106:107]
	;; [unrolled: 1-line block ×3, first 2 shown]
	global_load_dwordx4 v[44:47], v[56:57], off nt
	global_load_dwordx4 v[40:43], v[58:59], off nt
	v_cmp_gt_u32_e32 vcc, s20, v114
	v_mov_b32_e32 v58, 0
	v_mov_b32_e32 v59, 0
	;; [unrolled: 1-line block ×40, first 2 shown]
	s_and_saveexec_b64 s[30:31], vcc
	s_cbranch_execz .LBB283_15
; %bb.27:                               ;   in Loop: Header=BB283_17 Depth=2
	v_subrev_u32_e32 v56, s36, v114
	v_lshlrev_b32_e32 v117, 1, v56
	v_add_u32_e32 v116, s53, v117
	v_add_u32_e32 v115, s53, v116
	;; [unrolled: 1-line block ×4, first 2 shown]
	ds_read_b128 v[92:95], v117
	ds_read_b128 v[88:91], v116
	;; [unrolled: 1-line block ×5, first 2 shown]
	v_cmp_gt_u32_e32 vcc, s20, v99
	v_mov_b32_e32 v81, 0
	v_mov_b32_e32 v80, 0
	;; [unrolled: 1-line block ×20, first 2 shown]
	s_and_saveexec_b64 s[34:35], vcc
	s_cbranch_execz .LBB283_14
; %bb.28:                               ;   in Loop: Header=BB283_17 Depth=2
	ds_read_b128 v[80:83], v117 offset:512
	ds_read_b128 v[72:75], v116 offset:512
	;; [unrolled: 1-line block ×4, first 2 shown]
	ds_read2_b64 v[56:59], v100 offset0:64 offset1:65
	s_branch .LBB283_14
.LBB283_29:                             ;   in Loop: Header=BB283_12 Depth=1
	v_cmp_le_u32_e32 vcc, s23, v98
	s_and_saveexec_b64 s[6:7], vcc
	s_xor_b64 s[6:7], exec, s[6:7]
; %bb.30:                               ;   in Loop: Header=BB283_12 Depth=1
	v_add_u32_e32 v98, s44, v98
                                        ; implicit-def: $vgpr3
                                        ; implicit-def: $vgpr7
                                        ; implicit-def: $vgpr11
                                        ; implicit-def: $vgpr15
                                        ; implicit-def: $vgpr39
                                        ; implicit-def: $vgpr35
                                        ; implicit-def: $vgpr31
                                        ; implicit-def: $vgpr27
                                        ; implicit-def: $vgpr23
                                        ; implicit-def: $vgpr19
; %bb.31:                               ;   in Loop: Header=BB283_12 Depth=1
	s_andn2_saveexec_b64 s[30:31], s[6:7]
	s_cbranch_execz .LBB283_11
; %bb.32:                               ;   in Loop: Header=BB283_12 Depth=1
	v_cvt_i32_f32_e32 v37, v37
	v_cvt_i32_f32_e32 v38, v38
	;; [unrolled: 1-line block ×4, first 2 shown]
	v_cvt_f32_i32_dpp v37, v37 row_shl:1 row_mask:0xf bank_mask:0xf bound_ctrl:1
	v_cvt_f32_i32_dpp v38, v38 row_shl:2 row_mask:0xf bank_mask:0xf bound_ctrl:1
	;; [unrolled: 1-line block ×3, first 2 shown]
	v_cvt_i32_f32_e32 v34, v34
	v_add_f32_e32 v36, v36, v37
	v_add_f32_e32 v36, v36, v38
	;; [unrolled: 1-line block ×3, first 2 shown]
	v_cvt_i32_f32_e32 v37, v36
	v_cvt_i32_f32_e32 v35, v35
	v_cvt_f32_i32_dpp v33, v33 row_shl:1 row_mask:0xf bank_mask:0xf bound_ctrl:1
	v_cvt_f32_i32_dpp v34, v34 row_shl:2 row_mask:0xf bank_mask:0xf bound_ctrl:1
	v_cvt_f32_i32_dpp v37, v37 row_shl:4 row_mask:0xf bank_mask:0xf bound_ctrl:1
	v_cvt_f32_i32_dpp v35, v35 row_shl:3 row_mask:0xf bank_mask:0xf bound_ctrl:1
	v_add_f32_e32 v32, v32, v33
	v_add_f32_e32 v32, v32, v34
	v_cvt_i32_f32_e32 v29, v29
	v_add_f32_e32 v33, v36, v37
	v_add_f32_e32 v32, v32, v35
	v_cvt_i32_f32_e32 v36, v33
	v_cvt_i32_f32_e32 v34, v32
	;; [unrolled: 1-line block ×4, first 2 shown]
	v_cvt_f32_i32_dpp v29, v29 row_shl:1 row_mask:0xf bank_mask:0xf bound_ctrl:1
	v_cvt_f32_i32_dpp v35, v36 row_shl:8 row_mask:0xf bank_mask:0xf bound_ctrl:1
	;; [unrolled: 1-line block ×5, first 2 shown]
	v_add_f32_e32 v28, v28, v29
	v_add_f32_e32 v33, v33, v35
	;; [unrolled: 1-line block ×4, first 2 shown]
	v_cvt_i32_f32_e32 v33, v33
	v_cvt_i32_f32_e32 v34, v32
	v_add_f32_e32 v28, v28, v31
	v_cvt_i32_f32_e32 v29, v28
	v_cvt_f32_i32_dpp v33, v33 row_shr:15 row_mask:0xf bank_mask:0xf bound_ctrl:1
	v_cvt_f32_i32_dpp v34, v34 row_shl:8 row_mask:0xf bank_mask:0xf bound_ctrl:1
	v_cvt_i32_f32_e32 v25, v25
	v_cvt_f32_i32_dpp v29, v29 row_shl:4 row_mask:0xf bank_mask:0xf bound_ctrl:1
	v_cvt_i32_f32_e32 v30, v33
	v_add_f32_e32 v31, v32, v34
	v_cvt_i32_f32_e32 v26, v26
	v_cvt_i32_f32_e32 v31, v31
	v_add_f32_e32 v32, v28, v29
	v_cvt_i32_f32_e32 v27, v27
	v_cvt_i32_f32_e32 v29, v32
	v_cvt_f32_i32_dpp v25, v25 row_shl:1 row_mask:0xf bank_mask:0xf bound_ctrl:1
	v_cvt_f32_i32_dpp v30, v30 row_bcast:15 row_mask:0xf bank_mask:0xf bound_ctrl:1
	v_cvt_f32_i32_dpp v26, v26 row_shl:2 row_mask:0xf bank_mask:0xf bound_ctrl:1
	v_cvt_f32_i32_dpp v31, v31 row_shr:15 row_mask:0xf bank_mask:0xf bound_ctrl:1
	v_cvt_f32_i32_dpp v27, v27 row_shl:3 row_mask:0xf bank_mask:0xf bound_ctrl:1
	v_cvt_f32_i32_dpp v34, v29 row_shl:8 row_mask:0xf bank_mask:0xf bound_ctrl:1
	v_add_f32_e32 v24, v24, v25
	v_cvt_i32_f32_e32 v21, v21
	v_add_f32_e32 v28, v33, v30
	v_add_f32_e32 v24, v24, v26
	v_cvt_i32_f32_e32 v22, v22
	v_cvt_i32_f32_e32 v30, v28
	;; [unrolled: 1-line block ×3, first 2 shown]
	v_add_f32_e32 v25, v24, v27
	v_cvt_i32_f32_e32 v23, v23
	v_add_f32_e32 v32, v32, v34
	v_cvt_i32_f32_e32 v26, v25
	v_cvt_i32_f32_e32 v32, v32
	v_cvt_f32_i32_dpp v21, v21 row_shl:1 row_mask:0xf bank_mask:0xf bound_ctrl:1
	v_cvt_f32_i32_dpp v22, v22 row_shl:2 row_mask:0xf bank_mask:0xf bound_ctrl:1
	v_mov_b32_dpp v29, v30 row_bcast:31 row_mask:0xf bank_mask:0xf bound_ctrl:1
	v_cvt_f32_i32_dpp v30, v33 row_bcast:15 row_mask:0xf bank_mask:0xf bound_ctrl:1
	v_cvt_f32_i32_dpp v23, v23 row_shl:3 row_mask:0xf bank_mask:0xf bound_ctrl:1
	v_cvt_f32_i32_dpp v26, v26 row_shl:4 row_mask:0xf bank_mask:0xf bound_ctrl:1
	v_cvt_f32_i32_dpp v32, v32 row_shr:15 row_mask:0xf bank_mask:0xf bound_ctrl:1
	v_add_f32_e32 v20, v20, v21
	v_add_f32_e32 v20, v20, v22
	;; [unrolled: 1-line block ×4, first 2 shown]
	v_cvt_i32_f32_e32 v27, v24
	v_add_f32_e32 v25, v25, v26
	v_cvt_i32_f32_e32 v20, v22
	v_cvt_i32_f32_e32 v30, v32
	;; [unrolled: 1-line block ×3, first 2 shown]
	v_mov_b32_dpp v21, v27 row_bcast:31 row_mask:0xf bank_mask:0xf bound_ctrl:1
	v_cvt_f32_i32_dpp v27, v20 row_shl:4 row_mask:0xf bank_mask:0xf bound_ctrl:1
	v_cvt_f32_i32_dpp v23, v30 row_bcast:15 row_mask:0xf bank_mask:0xf bound_ctrl:1
	v_cvt_f32_i32_dpp v26, v26 row_shl:8 row_mask:0xf bank_mask:0xf bound_ctrl:1
	v_cvt_i32_f32_e32 v17, v17
	v_add_f32_e32 v22, v22, v27
	v_cvt_i32_f32_e32 v18, v18
	v_add_f32_e32 v20, v32, v23
	v_add_f32_e32 v23, v25, v26
	v_cvt_i32_f32_e32 v19, v19
	v_cvt_i32_f32_e32 v25, v22
	v_cvt_f32_i32_dpp v17, v17 row_shl:1 row_mask:0xf bank_mask:0xf bound_ctrl:1
	v_cvt_f32_i32_dpp v18, v18 row_shl:2 row_mask:0xf bank_mask:0xf bound_ctrl:1
	;; [unrolled: 1-line block ×4, first 2 shown]
	v_add_f32_e32 v16, v16, v17
	v_add_f32_e32 v16, v16, v18
	;; [unrolled: 1-line block ×4, first 2 shown]
	v_cvt_i32_f32_e32 v17, v16
	v_cvt_i32_f32_e32 v19, v19
	;; [unrolled: 1-line block ×5, first 2 shown]
	v_cvt_f32_i32_dpp v17, v17 row_shl:4 row_mask:0xf bank_mask:0xf bound_ctrl:1
	v_cvt_i32_f32_e32 v22, v20
	v_cvt_f32_i32_dpp v19, v19 row_shr:15 row_mask:0xf bank_mask:0xf bound_ctrl:1
	v_cvt_f32_i32_dpp v13, v13 row_shl:1 row_mask:0xf bank_mask:0xf bound_ctrl:1
	v_cvt_f32_i32_dpp v14, v14 row_shl:2 row_mask:0xf bank_mask:0xf bound_ctrl:1
	;; [unrolled: 1-line block ×3, first 2 shown]
	v_cvt_i32_f32_e32 v5, v5
	v_add_f32_e32 v25, v16, v17
	v_mov_b32_dpp v17, v22 row_bcast:31 row_mask:0xf bank_mask:0xf bound_ctrl:1
	v_cvt_i32_f32_e32 v22, v19
	v_add_f32_e32 v12, v12, v13
	v_cvt_i32_f32_e32 v9, v9
	v_cvt_i32_f32_e32 v1, v1
	v_add_f32_e32 v12, v12, v14
	v_cvt_i32_f32_e32 v10, v10
	v_cvt_i32_f32_e32 v6, v6
	;; [unrolled: 1-line block ×3, first 2 shown]
	v_add_f32_e32 v14, v12, v15
	v_cvt_i32_f32_e32 v11, v11
	v_cvt_f32_i32_dpp v5, v5 row_shl:1 row_mask:0xf bank_mask:0xf bound_ctrl:1
	v_cvt_i32_f32_e32 v7, v7
	v_cvt_i32_f32_e32 v3, v3
	v_cvt_f32_i32_dpp v22, v22 row_bcast:15 row_mask:0xf bank_mask:0xf bound_ctrl:1
	v_cvt_i32_f32_e32 v12, v14
	v_cvt_f32_i32_dpp v9, v9 row_shl:1 row_mask:0xf bank_mask:0xf bound_ctrl:1
	v_cvt_f32_i32_dpp v1, v1 row_shl:1 row_mask:0xf bank_mask:0xf bound_ctrl:1
	;; [unrolled: 1-line block ×6, first 2 shown]
	v_add_f32_e32 v4, v4, v5
	v_cvt_f32_i32_dpp v5, v7 row_shl:3 row_mask:0xf bank_mask:0xf bound_ctrl:1
	v_cvt_f32_i32_dpp v3, v3 row_shl:3 row_mask:0xf bank_mask:0xf bound_ctrl:1
	v_add_f32_e32 v13, v19, v22
	v_cvt_f32_i32_dpp v19, v12 row_shl:4 row_mask:0xf bank_mask:0xf bound_ctrl:1
	v_add_f32_e32 v8, v8, v9
	v_add_f32_e32 v0, v0, v1
	;; [unrolled: 1-line block ×9, first 2 shown]
	v_cvt_i32_f32_e32 v10, v9
	v_cvt_i32_f32_e32 v5, v4
	;; [unrolled: 1-line block ×5, first 2 shown]
	v_cvt_f32_i32_dpp v10, v10 row_shl:4 row_mask:0xf bank_mask:0xf bound_ctrl:1
	v_cvt_f32_i32_dpp v3, v5 row_shl:4 row_mask:0xf bank_mask:0xf bound_ctrl:1
	;; [unrolled: 1-line block ×3, first 2 shown]
	v_cvt_f32_i32_dpp v18, v23 row_shr:15 row_mask:0xf bank_mask:0xf bound_ctrl:1
	v_cvt_f32_i32_dpp v19, v19 row_shl:8 row_mask:0xf bank_mask:0xf bound_ctrl:1
	v_add_f32_e32 v9, v9, v10
	v_add_f32_e32 v3, v4, v3
	;; [unrolled: 1-line block ×3, first 2 shown]
	v_cvt_i32_f32_e32 v23, v18
	v_cvt_i32_f32_e32 v16, v25
	v_add_f32_e32 v14, v14, v19
	v_cvt_i32_f32_e32 v10, v9
	v_cvt_i32_f32_e32 v4, v3
	;; [unrolled: 1-line block ×4, first 2 shown]
	v_cvt_f32_i32_dpp v23, v23 row_bcast:15 row_mask:0xf bank_mask:0xf bound_ctrl:1
	v_cvt_f32_i32_dpp v26, v16 row_shl:8 row_mask:0xf bank_mask:0xf bound_ctrl:1
	v_cvt_f32_i32_dpp v2, v10 row_shl:8 row_mask:0xf bank_mask:0xf bound_ctrl:1
	;; [unrolled: 1-line block ×4, first 2 shown]
	v_cvt_f32_i32_dpp v5, v14 row_shr:15 row_mask:0xf bank_mask:0xf bound_ctrl:1
	v_add_f32_e32 v16, v18, v23
	v_add_f32_e32 v23, v25, v26
	;; [unrolled: 1-line block ×5, first 2 shown]
	v_cvt_i32_f32_e32 v23, v23
	v_cvt_i32_f32_e32 v2, v2
	;; [unrolled: 1-line block ×5, first 2 shown]
	v_cvt_f32_i32_dpp v23, v23 row_shr:15 row_mask:0xf bank_mask:0xf bound_ctrl:1
	v_cvt_f32_i32_dpp v2, v2 row_shr:15 row_mask:0xf bank_mask:0xf bound_ctrl:1
	v_cvt_f32_i32_dpp v1, v6 row_bcast:15 row_mask:0xf bank_mask:0xf bound_ctrl:1
	v_cvt_f32_i32_dpp v3, v3 row_shr:15 row_mask:0xf bank_mask:0xf bound_ctrl:1
	v_cvt_f32_i32_dpp v0, v0 row_shr:15 row_mask:0xf bank_mask:0xf bound_ctrl:1
	v_cvt_i32_f32_e32 v18, v16
	v_cvt_i32_f32_e32 v25, v23
	;; [unrolled: 1-line block ×3, first 2 shown]
	v_add_f32_e32 v7, v5, v1
	v_cvt_i32_f32_e32 v1, v3
	v_cvt_i32_f32_e32 v5, v0
	v_mov_b32_dpp v15, v18 row_bcast:31 row_mask:0xf bank_mask:0xf bound_ctrl:1
	v_cvt_f32_i32_dpp v18, v25 row_bcast:15 row_mask:0xf bank_mask:0xf bound_ctrl:1
	v_cvt_f32_i32_dpp v4, v4 row_bcast:15 row_mask:0xf bank_mask:0xf bound_ctrl:1
	;; [unrolled: 1-line block ×4, first 2 shown]
	v_add_f32_e32 v12, v23, v18
	v_add_f32_e32 v4, v2, v4
	;; [unrolled: 1-line block ×4, first 2 shown]
	v_cvt_i32_f32_e32 v22, v13
	v_cvt_i32_f32_e32 v18, v12
	;; [unrolled: 1-line block ×6, first 2 shown]
	v_mov_b32_dpp v11, v22 row_bcast:31 row_mask:0xf bank_mask:0xf bound_ctrl:1
	v_mov_b32_dpp v8, v18 row_bcast:31 row_mask:0xf bank_mask:0xf bound_ctrl:1
	;; [unrolled: 1-line block ×6, first 2 shown]
	s_and_saveexec_b64 s[34:35], s[0:1]
	s_cbranch_execz .LBB283_95
; %bb.33:                               ;   in Loop: Header=BB283_12 Depth=1
	s_andn2_b64 vcc, exec, s[26:27]
	v_mov_b32_e32 v27, 0
	v_mov_b32_e32 v26, 0
	;; [unrolled: 1-line block ×10, first 2 shown]
	s_cbranch_vccnz .LBB283_35
; %bb.34:                               ;   in Loop: Header=BB283_12 Depth=1
	v_mul_hi_u32 v5, v98, v110
	v_mul_lo_u32 v5, v5, s12
	v_sub_u32_e32 v5, v98, v5
	v_subrev_u32_e32 v9, s12, v5
	v_cmp_le_u32_e32 vcc, s12, v5
	v_mov_b32_e32 v19, v101
	v_mov_b32_e32 v33, v101
	v_cndmask_b32_e32 v5, v5, v9, vcc
	v_subrev_u32_e32 v9, s12, v5
	v_cmp_le_u32_e32 vcc, s12, v5
	s_nop 1
	v_cndmask_b32_e32 v100, v5, v9, vcc
	v_add_u32_e32 v5, 1, v98
	v_mul_hi_u32 v9, v5, v110
	v_mul_lo_u32 v9, v9, s12
	v_sub_u32_e32 v5, v5, v9
	v_subrev_u32_e32 v9, s12, v5
	v_cmp_le_u32_e32 vcc, s12, v5
	v_add_u32_e32 v18, s45, v100
	v_lshl_add_u64 v[36:37], v[18:19], 1, s[18:19]
	v_cndmask_b32_e32 v5, v5, v9, vcc
	v_subrev_u32_e32 v9, s12, v5
	v_cmp_le_u32_e32 vcc, s12, v5
	v_lshl_add_u64 v[30:31], v[100:101], 1, s[18:19]
	s_nop 0
	v_cndmask_b32_e32 v32, v5, v9, vcc
	v_add_u32_e32 v18, s45, v32
	v_lshl_add_u64 v[38:39], v[18:19], 1, s[18:19]
	v_add_u32_e32 v18, s46, v100
	v_lshl_add_u64 v[40:41], v[18:19], 1, s[18:19]
	v_add_u32_e32 v18, s46, v32
	v_lshl_add_u64 v[42:43], v[18:19], 1, s[18:19]
	v_add_u32_e32 v18, s47, v100
	v_lshl_add_u64 v[44:45], v[18:19], 1, s[18:19]
	v_add_u32_e32 v18, s47, v32
	v_lshl_add_u64 v[34:35], v[32:33], 1, s[18:19]
	v_lshl_add_u64 v[46:47], v[18:19], 1, s[18:19]
	global_load_ushort v27, v[30:31], off
	global_load_ushort v26, v[34:35], off
	;; [unrolled: 1-line block ×8, first 2 shown]
	v_add_u32_e32 v100, s48, v100
	v_lshl_add_u64 v[30:31], v[100:101], 1, s[18:19]
	v_add_u32_e32 v100, s48, v32
	v_lshl_add_u64 v[32:33], v[100:101], 1, s[18:19]
	global_load_ushort v9, v[30:31], off
	global_load_ushort v5, v[32:33], off
.LBB283_35:                             ;   in Loop: Header=BB283_12 Depth=1
	v_cmp_ne_u32_e32 vcc, 0, v96
	s_and_saveexec_b64 s[8:9], vcc
	s_cbranch_execnz .LBB283_45
; %bb.36:                               ;   in Loop: Header=BB283_12 Depth=1
	s_or_b64 exec, exec, s[8:9]
	v_cmp_ne_u32_e64 s[6:7], 0, v97
	s_and_saveexec_b64 s[36:37], s[6:7]
	s_cbranch_execnz .LBB283_50
.LBB283_37:                             ;   in Loop: Header=BB283_12 Depth=1
	s_or_b64 exec, exec, s[36:37]
	v_add_u32_e32 v100, s23, v98
	s_and_saveexec_b64 s[36:37], vcc
	s_cbranch_execnz .LBB283_55
.LBB283_38:                             ;   in Loop: Header=BB283_12 Depth=1
	s_or_b64 exec, exec, s[36:37]
	s_and_saveexec_b64 s[36:37], s[6:7]
	s_cbranch_execnz .LBB283_60
.LBB283_39:                             ;   in Loop: Header=BB283_12 Depth=1
	s_or_b64 exec, exec, s[36:37]
	v_add_u32_e32 v100, s23, v100
	s_and_saveexec_b64 s[36:37], vcc
	s_cbranch_execnz .LBB283_65
.LBB283_40:                             ;   in Loop: Header=BB283_12 Depth=1
	s_or_b64 exec, exec, s[36:37]
	s_and_saveexec_b64 s[36:37], s[6:7]
	s_cbranch_execnz .LBB283_70
.LBB283_41:                             ;   in Loop: Header=BB283_12 Depth=1
	s_or_b64 exec, exec, s[36:37]
	v_add_u32_e32 v100, s23, v100
	s_and_saveexec_b64 s[36:37], vcc
	s_cbranch_execnz .LBB283_75
.LBB283_42:                             ;   in Loop: Header=BB283_12 Depth=1
	s_or_b64 exec, exec, s[36:37]
	s_and_saveexec_b64 s[36:37], s[6:7]
	s_cbranch_execnz .LBB283_80
.LBB283_43:                             ;   in Loop: Header=BB283_12 Depth=1
	s_or_b64 exec, exec, s[36:37]
	v_add_u32_e32 v100, s23, v100
	s_and_saveexec_b64 s[8:9], vcc
	s_cbranch_execnz .LBB283_85
.LBB283_44:                             ;   in Loop: Header=BB283_12 Depth=1
	s_or_b64 exec, exec, s[8:9]
	s_and_b64 exec, exec, s[6:7]
	s_cbranch_execnz .LBB283_90
	s_branch .LBB283_95
.LBB283_45:                             ;   in Loop: Header=BB283_12 Depth=1
	v_cvt_f32_i32_e32 v29, v29
	s_waitcnt vmcnt(9)
	v_lshlrev_b32_e32 v27, 16, v27
	v_add_f32_e32 v28, v28, v29
	v_add_f32_e32 v28, v28, v27
	v_and_b32_e32 v27, 0x7f800000, v28
	v_cmp_ne_u32_e64 s[6:7], s54, v27
                                        ; implicit-def: $vgpr27
	s_and_saveexec_b64 s[36:37], s[6:7]
	s_xor_b64 s[6:7], exec, s[36:37]
; %bb.46:                               ;   in Loop: Header=BB283_12 Depth=1
	v_bfe_u32 v27, v28, 16, 1
	v_add3_u32 v27, v28, v27, s55
                                        ; implicit-def: $vgpr28
; %bb.47:                               ;   in Loop: Header=BB283_12 Depth=1
	s_andn2_saveexec_b64 s[36:37], s[6:7]
; %bb.48:                               ;   in Loop: Header=BB283_12 Depth=1
	v_or_b32_e32 v27, 0x10000, v28
	v_cmp_eq_u32_sdwa s[6:7], v28, v101 src0_sel:WORD_0 src1_sel:DWORD
	s_nop 1
	v_cndmask_b32_e64 v27, v27, v28, s[6:7]
; %bb.49:                               ;   in Loop: Header=BB283_12 Depth=1
	s_or_b64 exec, exec, s[36:37]
	v_mov_b32_e32 v99, v101
	v_lshl_add_u64 v[28:29], v[98:99], 1, s[10:11]
	global_store_short_d16_hi v[28:29], v27, off
	s_or_b64 exec, exec, s[8:9]
	v_cmp_ne_u32_e64 s[6:7], 0, v97
	s_and_saveexec_b64 s[36:37], s[6:7]
	s_cbranch_execz .LBB283_37
.LBB283_50:                             ;   in Loop: Header=BB283_12 Depth=1
	v_cvt_f32_i32_e32 v21, v21
	v_add_f32_e32 v21, v24, v21
	s_waitcnt vmcnt(8)
	v_lshlrev_b32_e32 v24, 16, v26
	v_add_f32_e32 v24, v21, v24
	v_and_b32_e32 v21, 0x7f800000, v24
	v_cmp_ne_u32_e64 s[8:9], s54, v21
                                        ; implicit-def: $vgpr21
	s_and_saveexec_b64 s[38:39], s[8:9]
	s_xor_b64 s[8:9], exec, s[38:39]
; %bb.51:                               ;   in Loop: Header=BB283_12 Depth=1
	v_bfe_u32 v21, v24, 16, 1
	v_add3_u32 v21, v24, v21, s55
                                        ; implicit-def: $vgpr24
; %bb.52:                               ;   in Loop: Header=BB283_12 Depth=1
	s_andn2_saveexec_b64 s[38:39], s[8:9]
; %bb.53:                               ;   in Loop: Header=BB283_12 Depth=1
	v_or_b32_e32 v21, 0x10000, v24
	v_cmp_eq_u32_sdwa s[8:9], v24, v101 src0_sel:WORD_0 src1_sel:DWORD
	s_nop 1
	v_cndmask_b32_e64 v21, v21, v24, s[8:9]
; %bb.54:                               ;   in Loop: Header=BB283_12 Depth=1
	s_or_b64 exec, exec, s[38:39]
	v_mov_b32_e32 v99, v101
	v_lshl_add_u64 v[26:27], v[98:99], 1, s[28:29]
	global_store_short_d16_hi v[26:27], v21, off
	s_or_b64 exec, exec, s[36:37]
	v_add_u32_e32 v100, s23, v98
	s_and_saveexec_b64 s[36:37], vcc
	s_cbranch_execz .LBB283_38
.LBB283_55:                             ;   in Loop: Header=BB283_12 Depth=1
	v_cvt_f32_i32_e32 v17, v17
	v_add_f32_e32 v17, v20, v17
	s_waitcnt vmcnt(7)
	v_lshlrev_b32_e32 v20, 16, v25
	v_add_f32_e32 v20, v17, v20
	v_and_b32_e32 v17, 0x7f800000, v20
	v_cmp_ne_u32_e64 s[8:9], s54, v17
                                        ; implicit-def: $vgpr17
	s_and_saveexec_b64 s[38:39], s[8:9]
	s_xor_b64 s[8:9], exec, s[38:39]
; %bb.56:                               ;   in Loop: Header=BB283_12 Depth=1
	v_bfe_u32 v17, v20, 16, 1
	v_add3_u32 v17, v20, v17, s55
                                        ; implicit-def: $vgpr20
; %bb.57:                               ;   in Loop: Header=BB283_12 Depth=1
	s_andn2_saveexec_b64 s[38:39], s[8:9]
; %bb.58:                               ;   in Loop: Header=BB283_12 Depth=1
	v_or_b32_e32 v17, 0x10000, v20
	v_cmp_eq_u32_sdwa s[8:9], v20, v101 src0_sel:WORD_0 src1_sel:DWORD
	s_nop 1
	v_cndmask_b32_e64 v17, v17, v20, s[8:9]
; %bb.59:                               ;   in Loop: Header=BB283_12 Depth=1
	s_or_b64 exec, exec, s[38:39]
	v_lshl_add_u64 v[20:21], v[100:101], 1, s[10:11]
	global_store_short_d16_hi v[20:21], v17, off
	s_or_b64 exec, exec, s[36:37]
	s_and_saveexec_b64 s[36:37], s[6:7]
	s_cbranch_execz .LBB283_39
.LBB283_60:                             ;   in Loop: Header=BB283_12 Depth=1
	v_cvt_f32_i32_e32 v15, v15
	v_add_f32_e32 v15, v16, v15
	s_waitcnt vmcnt(6)
	v_lshlrev_b32_e32 v16, 16, v23
	v_add_f32_e32 v16, v15, v16
	v_and_b32_e32 v15, 0x7f800000, v16
	v_cmp_ne_u32_e64 s[8:9], s54, v15
                                        ; implicit-def: $vgpr15
	s_and_saveexec_b64 s[38:39], s[8:9]
	s_xor_b64 s[8:9], exec, s[38:39]
; %bb.61:                               ;   in Loop: Header=BB283_12 Depth=1
	v_bfe_u32 v15, v16, 16, 1
	v_add3_u32 v15, v16, v15, s55
                                        ; implicit-def: $vgpr16
; %bb.62:                               ;   in Loop: Header=BB283_12 Depth=1
	s_andn2_saveexec_b64 s[38:39], s[8:9]
; %bb.63:                               ;   in Loop: Header=BB283_12 Depth=1
	v_or_b32_e32 v15, 0x10000, v16
	v_cmp_eq_u32_sdwa s[8:9], v16, v101 src0_sel:WORD_0 src1_sel:DWORD
	s_nop 1
	v_cndmask_b32_e64 v15, v15, v16, s[8:9]
; %bb.64:                               ;   in Loop: Header=BB283_12 Depth=1
	s_or_b64 exec, exec, s[38:39]
	v_add_u32_e32 v16, 1, v100
	v_mov_b32_e32 v17, v101
	v_lshl_add_u64 v[16:17], v[16:17], 1, s[10:11]
	global_store_short_d16_hi v[16:17], v15, off
	s_or_b64 exec, exec, s[36:37]
	v_add_u32_e32 v100, s23, v100
	s_and_saveexec_b64 s[36:37], vcc
	s_cbranch_execz .LBB283_40
.LBB283_65:                             ;   in Loop: Header=BB283_12 Depth=1
	v_cvt_f32_i32_e32 v11, v11
	v_add_f32_e32 v11, v13, v11
	s_waitcnt vmcnt(5)
	v_lshlrev_b32_e32 v13, 16, v22
	v_add_f32_e32 v13, v11, v13
	v_and_b32_e32 v11, 0x7f800000, v13
	v_cmp_ne_u32_e64 s[8:9], s54, v11
                                        ; implicit-def: $vgpr11
	s_and_saveexec_b64 s[38:39], s[8:9]
	s_xor_b64 s[8:9], exec, s[38:39]
; %bb.66:                               ;   in Loop: Header=BB283_12 Depth=1
	v_bfe_u32 v11, v13, 16, 1
	v_add3_u32 v11, v13, v11, s55
                                        ; implicit-def: $vgpr13
; %bb.67:                               ;   in Loop: Header=BB283_12 Depth=1
	s_andn2_saveexec_b64 s[38:39], s[8:9]
; %bb.68:                               ;   in Loop: Header=BB283_12 Depth=1
	v_or_b32_e32 v11, 0x10000, v13
	v_cmp_eq_u32_sdwa s[8:9], v13, v101 src0_sel:WORD_0 src1_sel:DWORD
	s_nop 1
	v_cndmask_b32_e64 v11, v11, v13, s[8:9]
; %bb.69:                               ;   in Loop: Header=BB283_12 Depth=1
	s_or_b64 exec, exec, s[38:39]
	v_lshl_add_u64 v[16:17], v[100:101], 1, s[10:11]
	global_store_short_d16_hi v[16:17], v11, off
	s_or_b64 exec, exec, s[36:37]
	s_and_saveexec_b64 s[36:37], s[6:7]
	s_cbranch_execz .LBB283_41
.LBB283_70:                             ;   in Loop: Header=BB283_12 Depth=1
	v_cvt_f32_i32_e32 v8, v8
	s_waitcnt vmcnt(4)
	v_lshlrev_b32_e32 v11, 16, v19
	v_add_f32_e32 v8, v12, v8
	v_add_f32_e32 v11, v8, v11
	v_and_b32_e32 v8, 0x7f800000, v11
	v_cmp_ne_u32_e64 s[8:9], s54, v8
                                        ; implicit-def: $vgpr8
	s_and_saveexec_b64 s[38:39], s[8:9]
	s_xor_b64 s[8:9], exec, s[38:39]
; %bb.71:                               ;   in Loop: Header=BB283_12 Depth=1
	v_bfe_u32 v8, v11, 16, 1
	v_add3_u32 v8, v11, v8, s55
                                        ; implicit-def: $vgpr11
; %bb.72:                               ;   in Loop: Header=BB283_12 Depth=1
	s_andn2_saveexec_b64 s[38:39], s[8:9]
; %bb.73:                               ;   in Loop: Header=BB283_12 Depth=1
	v_or_b32_e32 v8, 0x10000, v11
	v_cmp_eq_u32_sdwa s[8:9], v11, v101 src0_sel:WORD_0 src1_sel:DWORD
	s_nop 1
	v_cndmask_b32_e64 v8, v8, v11, s[8:9]
; %bb.74:                               ;   in Loop: Header=BB283_12 Depth=1
	s_or_b64 exec, exec, s[38:39]
	v_add_u32_e32 v12, 1, v100
	v_mov_b32_e32 v13, v101
	v_lshl_add_u64 v[12:13], v[12:13], 1, s[10:11]
	global_store_short_d16_hi v[12:13], v8, off
	s_or_b64 exec, exec, s[36:37]
	v_add_u32_e32 v100, s23, v100
	s_and_saveexec_b64 s[36:37], vcc
	s_cbranch_execz .LBB283_42
.LBB283_75:                             ;   in Loop: Header=BB283_12 Depth=1
	v_cvt_f32_i32_e32 v8, v10
	v_add_f32_e32 v7, v7, v8
	s_waitcnt vmcnt(3)
	v_lshlrev_b32_e32 v8, 16, v18
	v_add_f32_e32 v8, v7, v8
	v_and_b32_e32 v7, 0x7f800000, v8
	v_cmp_ne_u32_e64 s[8:9], s54, v7
                                        ; implicit-def: $vgpr7
	s_and_saveexec_b64 s[38:39], s[8:9]
	s_xor_b64 s[8:9], exec, s[38:39]
; %bb.76:                               ;   in Loop: Header=BB283_12 Depth=1
	v_bfe_u32 v7, v8, 16, 1
	v_add3_u32 v7, v8, v7, s55
                                        ; implicit-def: $vgpr8
; %bb.77:                               ;   in Loop: Header=BB283_12 Depth=1
	s_andn2_saveexec_b64 s[38:39], s[8:9]
; %bb.78:                               ;   in Loop: Header=BB283_12 Depth=1
	v_or_b32_e32 v7, 0x10000, v8
	v_cmp_eq_u32_sdwa s[8:9], v8, v101 src0_sel:WORD_0 src1_sel:DWORD
	s_nop 1
	v_cndmask_b32_e64 v7, v7, v8, s[8:9]
; %bb.79:                               ;   in Loop: Header=BB283_12 Depth=1
	s_or_b64 exec, exec, s[38:39]
	v_lshl_add_u64 v[10:11], v[100:101], 1, s[10:11]
	global_store_short_d16_hi v[10:11], v7, off
	s_or_b64 exec, exec, s[36:37]
	s_and_saveexec_b64 s[36:37], s[6:7]
	s_cbranch_execz .LBB283_43
.LBB283_80:                             ;   in Loop: Header=BB283_12 Depth=1
	v_cvt_f32_i32_e32 v6, v6
	v_add_f32_e32 v4, v4, v6
	s_waitcnt vmcnt(2)
	v_lshlrev_b32_e32 v6, 16, v14
	v_add_f32_e32 v6, v4, v6
	v_and_b32_e32 v4, 0x7f800000, v6
	v_cmp_ne_u32_e64 s[8:9], s54, v4
                                        ; implicit-def: $vgpr4
	s_and_saveexec_b64 s[38:39], s[8:9]
	s_xor_b64 s[8:9], exec, s[38:39]
; %bb.81:                               ;   in Loop: Header=BB283_12 Depth=1
	v_bfe_u32 v4, v6, 16, 1
	v_add3_u32 v4, v6, v4, s55
                                        ; implicit-def: $vgpr6
; %bb.82:                               ;   in Loop: Header=BB283_12 Depth=1
	s_andn2_saveexec_b64 s[38:39], s[8:9]
; %bb.83:                               ;   in Loop: Header=BB283_12 Depth=1
	v_or_b32_e32 v4, 0x10000, v6
	v_cmp_eq_u32_sdwa s[8:9], v6, v101 src0_sel:WORD_0 src1_sel:DWORD
	s_nop 1
	v_cndmask_b32_e64 v4, v4, v6, s[8:9]
; %bb.84:                               ;   in Loop: Header=BB283_12 Depth=1
	s_or_b64 exec, exec, s[38:39]
	v_add_u32_e32 v6, 1, v100
	v_mov_b32_e32 v7, v101
	v_lshl_add_u64 v[6:7], v[6:7], 1, s[10:11]
	global_store_short_d16_hi v[6:7], v4, off
	s_or_b64 exec, exec, s[36:37]
	v_add_u32_e32 v100, s23, v100
	s_and_saveexec_b64 s[8:9], vcc
	s_cbranch_execz .LBB283_44
.LBB283_85:                             ;   in Loop: Header=BB283_12 Depth=1
	v_cvt_f32_i32_e32 v3, v3
	v_add_f32_e32 v2, v2, v3
	s_waitcnt vmcnt(1)
	v_lshlrev_b32_e32 v3, 16, v9
	v_add_f32_e32 v3, v2, v3
	v_and_b32_e32 v2, 0x7f800000, v3
	v_cmp_ne_u32_e32 vcc, s54, v2
                                        ; implicit-def: $vgpr2
	s_and_saveexec_b64 s[36:37], vcc
	s_xor_b64 s[36:37], exec, s[36:37]
; %bb.86:                               ;   in Loop: Header=BB283_12 Depth=1
	v_bfe_u32 v2, v3, 16, 1
	v_add3_u32 v2, v3, v2, s55
                                        ; implicit-def: $vgpr3
; %bb.87:                               ;   in Loop: Header=BB283_12 Depth=1
	s_andn2_saveexec_b64 s[36:37], s[36:37]
; %bb.88:                               ;   in Loop: Header=BB283_12 Depth=1
	v_or_b32_e32 v2, 0x10000, v3
	v_cmp_eq_u32_sdwa vcc, v3, v101 src0_sel:WORD_0 src1_sel:DWORD
	s_nop 1
	v_cndmask_b32_e32 v2, v2, v3, vcc
; %bb.89:                               ;   in Loop: Header=BB283_12 Depth=1
	s_or_b64 exec, exec, s[36:37]
	v_lshl_add_u64 v[6:7], v[100:101], 1, s[10:11]
	global_store_short_d16_hi v[6:7], v2, off
	s_or_b64 exec, exec, s[8:9]
	s_and_b64 exec, exec, s[6:7]
	s_cbranch_execz .LBB283_95
.LBB283_90:                             ;   in Loop: Header=BB283_12 Depth=1
	v_cvt_f32_i32_e32 v1, v1
	v_add_f32_e32 v0, v0, v1
	s_waitcnt vmcnt(0)
	v_lshlrev_b32_e32 v1, 16, v5
	v_add_f32_e32 v1, v0, v1
	v_and_b32_e32 v0, 0x7f800000, v1
	v_cmp_ne_u32_e32 vcc, s54, v0
                                        ; implicit-def: $vgpr0
	s_and_saveexec_b64 s[6:7], vcc
	s_xor_b64 s[6:7], exec, s[6:7]
; %bb.91:                               ;   in Loop: Header=BB283_12 Depth=1
	v_bfe_u32 v0, v1, 16, 1
	v_add3_u32 v0, v1, v0, s55
                                        ; implicit-def: $vgpr1
; %bb.92:                               ;   in Loop: Header=BB283_12 Depth=1
	s_andn2_saveexec_b64 s[6:7], s[6:7]
; %bb.93:                               ;   in Loop: Header=BB283_12 Depth=1
	v_or_b32_e32 v0, 0x10000, v1
	v_cmp_eq_u32_sdwa vcc, v1, v101 src0_sel:WORD_0 src1_sel:DWORD
	s_nop 1
	v_cndmask_b32_e32 v0, v0, v1, vcc
; %bb.94:                               ;   in Loop: Header=BB283_12 Depth=1
	s_or_b64 exec, exec, s[6:7]
	v_add_u32_e32 v100, 1, v100
	v_lshl_add_u64 v[2:3], v[100:101], 1, s[10:11]
	global_store_short_d16_hi v[2:3], v0, off
.LBB283_95:                             ;   in Loop: Header=BB283_12 Depth=1
	s_or_b64 exec, exec, s[34:35]
	v_add_u32_e32 v98, s44, v98
	v_add_u32_e32 v0, 2, v98
	v_cmp_gt_u32_e32 vcc, s23, v98
	v_cmp_le_u32_e64 s[6:7], s23, v0
	s_and_b64 s[6:7], vcc, s[6:7]
	s_and_saveexec_b64 s[8:9], s[6:7]
	s_cbranch_execz .LBB283_10
; %bb.96:                               ;   in Loop: Header=BB283_12 Depth=1
	v_cmp_ne_u32_e32 vcc, s13, v98
	s_and_saveexec_b64 s[34:35], vcc
	s_cbranch_execz .LBB283_9
; %bb.97:                               ;   in Loop: Header=BB283_12 Depth=1
	v_subrev_u32_e32 v0, s13, v98
	v_cmp_lt_u32_e32 vcc, 1, v0
	s_mov_b64 s[36:37], 0
	s_mov_b64 s[38:39], 0
	v_cndmask_b32_e32 v0, 1, v0, vcc
.LBB283_98:                             ;   Parent Loop BB283_12 Depth=1
                                        ; =>  This Inner Loop Header: Depth=2
	s_cmp_lg_u32 s38, 1
	s_cselect_b64 vcc, -1, 0
	s_cmp_lg_u32 s38, 0
	v_cndmask_b32_e32 v97, 0, v97, vcc
	s_cselect_b64 vcc, -1, 0
	s_add_u32 s38, s38, 1
	s_addc_u32 s39, s39, 0
	v_cmp_eq_u32_e64 s[6:7], s38, v0
	s_or_b64 s[36:37], s[6:7], s[36:37]
	v_cndmask_b32_e32 v96, 0, v96, vcc
	s_andn2_b64 exec, exec, s[36:37]
	s_cbranch_execnz .LBB283_98
; %bb.99:                               ;   in Loop: Header=BB283_12 Depth=1
	s_or_b64 exec, exec, s[36:37]
	s_branch .LBB283_9
.LBB283_100:
	s_endpgm
	.section	.rodata,"a",@progbits
	.p2align	6, 0x0
	.amdhsa_kernel _Z16wvSplitK_hf_big_I14__hip_bfloat16Li32ELi2ELi16ELi8ELi2ELi5EEviiiiiiPKT_S3_S3_PS1_ii
		.amdhsa_group_segment_fixed_size 65536
		.amdhsa_private_segment_fixed_size 0
		.amdhsa_kernarg_size 64
		.amdhsa_user_sgpr_count 2
		.amdhsa_user_sgpr_dispatch_ptr 0
		.amdhsa_user_sgpr_queue_ptr 0
		.amdhsa_user_sgpr_kernarg_segment_ptr 1
		.amdhsa_user_sgpr_dispatch_id 0
		.amdhsa_user_sgpr_kernarg_preload_length 0
		.amdhsa_user_sgpr_kernarg_preload_offset 0
		.amdhsa_user_sgpr_private_segment_size 0
		.amdhsa_uses_dynamic_stack 0
		.amdhsa_enable_private_segment 0
		.amdhsa_system_sgpr_workgroup_id_x 1
		.amdhsa_system_sgpr_workgroup_id_y 0
		.amdhsa_system_sgpr_workgroup_id_z 0
		.amdhsa_system_sgpr_workgroup_info 0
		.amdhsa_system_vgpr_workitem_id 1
		.amdhsa_next_free_vgpr 118
		.amdhsa_next_free_sgpr 58
		.amdhsa_accum_offset 120
		.amdhsa_reserve_vcc 1
		.amdhsa_float_round_mode_32 0
		.amdhsa_float_round_mode_16_64 0
		.amdhsa_float_denorm_mode_32 3
		.amdhsa_float_denorm_mode_16_64 3
		.amdhsa_dx10_clamp 1
		.amdhsa_ieee_mode 1
		.amdhsa_fp16_overflow 0
		.amdhsa_tg_split 0
		.amdhsa_exception_fp_ieee_invalid_op 0
		.amdhsa_exception_fp_denorm_src 0
		.amdhsa_exception_fp_ieee_div_zero 0
		.amdhsa_exception_fp_ieee_overflow 0
		.amdhsa_exception_fp_ieee_underflow 0
		.amdhsa_exception_fp_ieee_inexact 0
		.amdhsa_exception_int_div_zero 0
	.end_amdhsa_kernel
	.section	.text._Z16wvSplitK_hf_big_I14__hip_bfloat16Li32ELi2ELi16ELi8ELi2ELi5EEviiiiiiPKT_S3_S3_PS1_ii,"axG",@progbits,_Z16wvSplitK_hf_big_I14__hip_bfloat16Li32ELi2ELi16ELi8ELi2ELi5EEviiiiiiPKT_S3_S3_PS1_ii,comdat
.Lfunc_end283:
	.size	_Z16wvSplitK_hf_big_I14__hip_bfloat16Li32ELi2ELi16ELi8ELi2ELi5EEviiiiiiPKT_S3_S3_PS1_ii, .Lfunc_end283-_Z16wvSplitK_hf_big_I14__hip_bfloat16Li32ELi2ELi16ELi8ELi2ELi5EEviiiiiiPKT_S3_S3_PS1_ii
                                        ; -- End function
	.section	.AMDGPU.csdata,"",@progbits
; Kernel info:
; codeLenInByte = 5616
; NumSgprs: 64
; NumVgprs: 118
; NumAgprs: 0
; TotalNumVgprs: 118
; ScratchSize: 0
; MemoryBound: 0
; FloatMode: 240
; IeeeMode: 1
; LDSByteSize: 65536 bytes/workgroup (compile time only)
; SGPRBlocks: 7
; VGPRBlocks: 14
; NumSGPRsForWavesPerEU: 64
; NumVGPRsForWavesPerEU: 118
; AccumOffset: 120
; Occupancy: 2
; WaveLimiterHint : 0
; COMPUTE_PGM_RSRC2:SCRATCH_EN: 0
; COMPUTE_PGM_RSRC2:USER_SGPR: 2
; COMPUTE_PGM_RSRC2:TRAP_HANDLER: 0
; COMPUTE_PGM_RSRC2:TGID_X_EN: 1
; COMPUTE_PGM_RSRC2:TGID_Y_EN: 0
; COMPUTE_PGM_RSRC2:TGID_Z_EN: 0
; COMPUTE_PGM_RSRC2:TIDIG_COMP_CNT: 1
; COMPUTE_PGM_RSRC3_GFX90A:ACCUM_OFFSET: 29
; COMPUTE_PGM_RSRC3_GFX90A:TG_SPLIT: 0
	.section	.text._Z16wvSplitK_hf_sml_I14__hip_bfloat16Li32ELi3ELi16ELi8ELi2ELi5EEviiiiiiPKT_S3_S3_PS1_ii,"axG",@progbits,_Z16wvSplitK_hf_sml_I14__hip_bfloat16Li32ELi3ELi16ELi8ELi2ELi5EEviiiiiiPKT_S3_S3_PS1_ii,comdat
	.protected	_Z16wvSplitK_hf_sml_I14__hip_bfloat16Li32ELi3ELi16ELi8ELi2ELi5EEviiiiiiPKT_S3_S3_PS1_ii ; -- Begin function _Z16wvSplitK_hf_sml_I14__hip_bfloat16Li32ELi3ELi16ELi8ELi2ELi5EEviiiiiiPKT_S3_S3_PS1_ii
	.globl	_Z16wvSplitK_hf_sml_I14__hip_bfloat16Li32ELi3ELi16ELi8ELi2ELi5EEviiiiiiPKT_S3_S3_PS1_ii
	.p2align	8
	.type	_Z16wvSplitK_hf_sml_I14__hip_bfloat16Li32ELi3ELi16ELi8ELi2ELi5EEviiiiiiPKT_S3_S3_PS1_ii,@function
_Z16wvSplitK_hf_sml_I14__hip_bfloat16Li32ELi3ELi16ELi8ELi2ELi5EEviiiiiiPKT_S3_S3_PS1_ii: ; @_Z16wvSplitK_hf_sml_I14__hip_bfloat16Li32ELi3ELi16ELi8ELi2ELi5EEviiiiiiPKT_S3_S3_PS1_ii
; %bb.0:
	s_load_dwordx4 s[4:7], s[0:1], 0x0
	v_and_b32_e32 v4, 0x3ff, v0
	v_bfe_u32 v5, v0, 10, 10
	v_lshlrev_b32_e32 v136, 3, v4
	v_lshl_add_u32 v6, v5, 8, v136
	s_waitcnt lgkmcnt(0)
	s_mul_i32 s3, s6, 5
	s_min_u32 s3, s3, 0x8000
	v_cmp_gt_u32_e32 vcc, s3, v6
	s_and_saveexec_b64 s[8:9], vcc
	s_cbranch_execz .LBB284_9
; %bb.1:
	s_load_dwordx2 s[10:11], s[0:1], 0x20
	v_lshlrev_b32_e32 v0, 1, v6
	v_add_u32_e32 v1, 0x1000, v6
	v_cmp_gt_u32_e32 vcc, s3, v1
	s_waitcnt lgkmcnt(0)
	global_load_dwordx4 v[8:11], v0, s[10:11]
	s_waitcnt vmcnt(0)
	ds_write_b128 v0, v[8:11]
	s_and_saveexec_b64 s[12:13], vcc
	s_xor_b64 s[12:13], exec, s[12:13]
	s_cbranch_execz .LBB284_9
; %bb.2:
	v_mov_b32_e32 v1, 0
	v_lshl_add_u64 v[2:3], s[10:11], 0, v[0:1]
	v_add_co_u32_e32 v8, vcc, 0x2000, v2
	v_add_u32_e32 v1, 0x2000, v6
	s_nop 0
	v_addc_co_u32_e32 v9, vcc, 0, v3, vcc
	global_load_dwordx4 v[8:11], v[8:9], off
	v_cmp_gt_u32_e32 vcc, s3, v1
	s_waitcnt vmcnt(0)
	ds_write_b128 v0, v[8:11] offset:8192
	s_and_saveexec_b64 s[10:11], vcc
	s_xor_b64 s[10:11], exec, s[10:11]
	s_cbranch_execz .LBB284_9
; %bb.3:
	v_add_co_u32_e32 v8, vcc, 0x4000, v2
	v_add_u32_e32 v1, 0x3000, v6
	s_nop 0
	v_addc_co_u32_e32 v9, vcc, 0, v3, vcc
	global_load_dwordx4 v[8:11], v[8:9], off
	v_cmp_gt_u32_e32 vcc, s3, v1
	s_waitcnt vmcnt(0)
	ds_write_b128 v0, v[8:11] offset:16384
	s_and_saveexec_b64 s[10:11], vcc
	s_xor_b64 s[10:11], exec, s[10:11]
	s_cbranch_execz .LBB284_9
; %bb.4:
	;; [unrolled: 12-line block ×6, first 2 shown]
	v_add_co_u32_e32 v2, vcc, 0xe000, v2
	s_nop 1
	v_addc_co_u32_e32 v3, vcc, 0, v3, vcc
	global_load_dwordx4 v[6:9], v[2:3], off
	s_waitcnt vmcnt(0)
	ds_write_b128 v0, v[6:9] offset:57344
.LBB284_9:
	s_or_b64 exec, exec, s[8:9]
	s_load_dwordx2 s[16:17], s[0:1], 0x38
	s_waitcnt lgkmcnt(0)
	s_barrier
	v_cmp_gt_u32_e32 vcc, s16, v5
	s_and_saveexec_b64 s[8:9], vcc
	s_cbranch_execz .LBB284_84
; %bb.10:
	s_load_dwordx2 s[12:13], s[0:1], 0x10
	s_mul_i32 s2, s2, s16
	v_add_u32_e32 v0, s2, v5
	v_lshl_add_u32 v116, v0, 1, v0
	v_cmp_gt_u32_e32 vcc, s7, v116
	s_and_b64 exec, exec, vcc
	s_cbranch_execz .LBB284_84
; %bb.11:
	s_load_dwordx4 s[8:11], s[0:1], 0x28
	s_load_dwordx2 s[14:15], s[0:1], 0x18
	s_cmp_lg_u32 s4, 0
	s_cselect_b64 s[2:3], -1, 0
	s_add_i32 s24, s4, -8
	s_add_i32 s25, s7, -1
	s_waitcnt lgkmcnt(0)
	s_cmp_lg_u64 s[8:9], 0
	s_cselect_b64 s[18:19], -1, 0
	s_abs_i32 s21, s13
	v_cvt_f32_u32_e32 v0, s12
	v_cvt_f32_u32_e32 v1, s21
	s_mul_i32 s20, s16, s17
	s_mul_i32 s13, s20, 3
	v_rcp_iflag_f32_e32 v0, v0
	v_rcp_iflag_f32_e32 v1, v1
	s_sub_i32 s20, 0, s12
	v_cmp_eq_u32_e64 s[0:1], 31, v4
	v_mul_f32_e32 v0, 0x4f7ffffe, v0
	v_mul_f32_e32 v1, 0x4f7ffffe, v1
	v_cvt_u32_f32_e32 v0, v0
	v_cvt_u32_f32_e32 v1, v1
	s_mov_b64 s[16:17], 0
	v_mov_b32_e32 v119, 0
	v_mul_lo_u32 v2, s20, v0
	s_sub_i32 s20, 0, s21
	v_readfirstlane_b32 s22, v1
	s_mul_i32 s20, s20, s22
	s_mul_hi_u32 s20, s22, s20
	s_add_i32 s22, s22, s20
	s_sub_i32 s20, 1, s21
	s_cmp_lt_u32 s21, 2
	s_cselect_b32 s20, s20, 1
	s_sub_i32 s23, s20, s21
	s_cmp_ge_u32 s20, s21
	s_cselect_b32 s26, s23, s20
	s_lshr_b32 s20, s22, 31
	s_mul_i32 s20, s20, s21
	s_sub_i32 s20, 2, s20
	s_sub_i32 s23, s20, s21
	s_cmp_ge_u32 s20, s21
	s_cselect_b32 s20, s23, s20
	s_sub_i32 s23, s20, s21
	s_cmp_ge_u32 s20, s21
	s_cselect_b32 s27, s23, s20
	s_mul_hi_u32 s20, s22, 3
	s_mul_i32 s20, s20, s21
	s_sub_i32 s20, 3, s20
	s_sub_i32 s23, s20, s21
	s_cmp_ge_u32 s20, s21
	s_cselect_b32 s20, s23, s20
	s_sub_i32 s23, s20, s21
	s_cmp_ge_u32 s20, s21
	s_cselect_b32 s28, s23, s20
	s_lshr_b32 s20, s22, 30
	s_mul_i32 s20, s20, s21
	s_sub_i32 s20, 4, s20
	s_sub_i32 s22, s20, s21
	s_cmp_ge_u32 s20, s21
	s_cselect_b32 s20, s22, s20
	s_sub_i32 s22, s20, s21
	v_mul_hi_u32 v2, v0, v2
	s_cmp_ge_u32 s20, s21
	v_add_u32_e32 v137, v0, v2
	s_cselect_b32 s29, s22, s20
	v_cndmask_b32_e64 v0, 0, 1, s[2:3]
	s_mul_i32 s26, s26, s12
	s_mul_i32 s27, s27, s12
	;; [unrolled: 1-line block ×4, first 2 shown]
	s_lshl_b32 s30, s6, 3
	v_lshlrev_b32_e32 v138, 4, v4
	s_mul_i32 s31, s6, 6
	s_lshl_b32 s33, s6, 2
	s_lshl_b32 s6, s6, 1
	v_cmp_ne_u32_e64 s[2:3], 1, v0
	s_mov_b32 s34, 0x7f800000
	s_movk_i32 s35, 0x7fff
	s_branch .LBB284_14
.LBB284_12:                             ;   in Loop: Header=BB284_14 Depth=1
	s_or_b64 exec, exec, s[22:23]
	v_add_u32_e32 v118, 2, v118
	v_lshl_add_u64 v[2:3], v[118:119], 1, s[10:11]
	global_store_short_d16_hi v[2:3], v0, off
.LBB284_13:                             ;   in Loop: Header=BB284_14 Depth=1
	s_or_b64 exec, exec, s[20:21]
	v_add_u32_e32 v116, s13, v116
	v_cmp_le_u32_e32 vcc, s7, v116
	s_or_b64 s[16:17], vcc, s[16:17]
	s_andn2_b64 exec, exec, s[16:17]
	s_cbranch_execz .LBB284_84
.LBB284_14:                             ; =>This Loop Header: Depth=1
                                        ;     Child Loop BB284_18 Depth 2
	s_and_b64 vcc, exec, s[2:3]
	v_add_u32_e32 v120, 2, v116
	v_mov_b32_e32 v11, v119
	v_mov_b32_e32 v10, v119
	;; [unrolled: 1-line block ×60, first 2 shown]
	s_cbranch_vccnz .LBB284_21
; %bb.15:                               ;   in Loop: Header=BB284_14 Depth=1
	v_min_u32_e32 v0, s25, v116
	v_mul_lo_u32 v118, v0, s5
	v_add_u32_e32 v0, 1, v116
	v_min_u32_e32 v0, s25, v0
	v_min_u32_e32 v2, s25, v120
	v_mul_lo_u32 v0, v0, s5
	v_mov_b32_e32 v1, v119
	v_mul_lo_u32 v2, v2, s5
	v_mov_b32_e32 v3, v119
	v_mov_b32_e32 v24, 0
	s_mov_b32 s36, 0
	v_lshlrev_b64 v[122:123], 1, v[118:119]
	v_lshlrev_b64 v[124:125], 1, v[0:1]
	;; [unrolled: 1-line block ×3, first 2 shown]
	v_mov_b32_e32 v117, v138
	v_mov_b32_e32 v25, v24
	;; [unrolled: 1-line block ×60, first 2 shown]
	s_branch .LBB284_18
.LBB284_16:                             ;   in Loop: Header=BB284_18 Depth=2
	s_or_b64 exec, exec, s[22:23]
.LBB284_17:                             ;   in Loop: Header=BB284_18 Depth=2
	s_or_b64 exec, exec, s[20:21]
	s_waitcnt vmcnt(5) lgkmcnt(1)
	v_mfma_f32_4x4x4_16b_bf16 v[56:59], v[112:113], v[80:81], v[56:59]
	s_addk_i32 s36, 0x200
	s_waitcnt vmcnt(4)
	v_mfma_f32_4x4x4_16b_bf16 v[52:55], v[112:113], v[76:77], v[52:55]
	v_add_u32_e32 v117, 0x400, v117
	s_waitcnt vmcnt(3)
	v_mfma_f32_4x4x4_16b_bf16 v[48:51], v[112:113], v[84:85], v[48:51]
	s_cmp_ge_u32 s36, s4
	v_mfma_f32_4x4x4_16b_bf16 v[44:47], v[108:109], v[80:81], v[44:47]
	v_mfma_f32_4x4x4_16b_bf16 v[40:43], v[108:109], v[76:77], v[40:43]
	;; [unrolled: 1-line block ×9, first 2 shown]
	s_waitcnt lgkmcnt(0)
	v_mfma_f32_4x4x4_16b_bf16 v[4:7], v[96:97], v[80:81], v[4:7]
	v_mfma_f32_4x4x4_16b_bf16 v[0:3], v[96:97], v[76:77], v[0:3]
	;; [unrolled: 1-line block ×18, first 2 shown]
	s_waitcnt vmcnt(2)
	v_mfma_f32_4x4x4_16b_bf16 v[56:59], v[104:105], v[68:69], v[56:59]
	s_waitcnt vmcnt(1)
	v_mfma_f32_4x4x4_16b_bf16 v[52:55], v[104:105], v[72:73], v[52:55]
	;; [unrolled: 2-line block ×3, first 2 shown]
	v_mfma_f32_4x4x4_16b_bf16 v[44:47], v[92:93], v[68:69], v[44:47]
	v_mfma_f32_4x4x4_16b_bf16 v[40:43], v[92:93], v[72:73], v[40:43]
	;; [unrolled: 1-line block ×27, first 2 shown]
	s_cbranch_scc1 .LBB284_21
.LBB284_18:                             ;   Parent Loop BB284_14 Depth=1
                                        ; =>  This Inner Loop Header: Depth=2
	v_add_u32_e32 v88, s36, v136
	v_min_u32_e32 v118, s24, v88
	v_lshl_add_u64 v[60:61], v[118:119], 1, s[14:15]
	v_add_u32_e32 v121, 0x100, v88
	v_lshl_add_u64 v[62:63], v[60:61], 0, v[122:123]
	v_min_u32_e32 v118, s24, v121
	v_lshl_add_u64 v[64:65], v[60:61], 0, v[124:125]
	global_load_dwordx4 v[80:83], v[62:63], off nt
	global_load_dwordx4 v[76:79], v[64:65], off nt
	v_lshl_add_u64 v[62:63], v[118:119], 1, s[14:15]
	v_lshl_add_u64 v[60:61], v[60:61], 0, v[126:127]
	;; [unrolled: 1-line block ×3, first 2 shown]
	global_load_dwordx4 v[84:87], v[60:61], off nt
	global_load_dwordx4 v[68:71], v[64:65], off nt
	v_lshl_add_u64 v[64:65], v[62:63], 0, v[124:125]
	v_lshl_add_u64 v[66:67], v[62:63], 0, v[126:127]
	global_load_dwordx4 v[72:75], v[64:65], off nt
	global_load_dwordx4 v[60:63], v[66:67], off nt
	v_cmp_gt_u32_e32 vcc, s4, v88
	v_mov_b32_e32 v66, 0
	v_mov_b32_e32 v67, 0
	;; [unrolled: 1-line block ×40, first 2 shown]
	s_and_saveexec_b64 s[20:21], vcc
	s_cbranch_execz .LBB284_17
; %bb.19:                               ;   in Loop: Header=BB284_18 Depth=2
	v_add_u32_e32 v141, s6, v117
	v_add_u32_e32 v118, s33, v117
	ds_read_b128 v[108:111], v141
	ds_read2_b32 v[134:135], v118 offset1:1
	v_add_u32_e32 v140, s31, v117
	ds_read2_b32 v[132:133], v118 offset0:2 offset1:3
	ds_read_b128 v[100:103], v140
	v_add_u32_e32 v139, s30, v117
	ds_read_b128 v[112:115], v117
	ds_read2_b64 v[96:99], v139 offset1:1
	v_cmp_gt_u32_e32 vcc, s4, v121
	v_mov_b32_e32 v105, 0
	v_mov_b32_e32 v104, 0
	v_mov_b32_e32 v107, 0
	v_mov_b32_e32 v106, 0
	v_mov_b32_e32 v93, 0
	v_mov_b32_e32 v92, 0
	v_mov_b32_e32 v95, 0
	v_mov_b32_e32 v94, 0
	v_mov_b32_e32 v131, 0
	v_mov_b32_e32 v130, 0
	v_mov_b32_e32 v129, 0
	v_mov_b32_e32 v128, 0
	v_mov_b32_e32 v89, 0
	v_mov_b32_e32 v88, 0
	v_mov_b32_e32 v91, 0
	v_mov_b32_e32 v90, 0
	v_mov_b32_e32 v65, 0
	v_mov_b32_e32 v64, 0
	v_mov_b32_e32 v67, 0
	v_mov_b32_e32 v66, 0
	s_and_saveexec_b64 s[22:23], vcc
	s_cbranch_execz .LBB284_16
; %bb.20:                               ;   in Loop: Header=BB284_18 Depth=2
	ds_read_b128 v[92:95], v141 offset:512
	ds_read2_b32 v[130:131], v118 offset0:128 offset1:129
	ds_read2_b32 v[128:129], v118 offset0:130 offset1:131
	ds_read_b128 v[88:91], v140 offset:512
	ds_read_b128 v[104:107], v117 offset:512
	ds_read2_b64 v[64:67], v139 offset0:64 offset1:65
	s_branch .LBB284_16
.LBB284_21:                             ;   in Loop: Header=BB284_14 Depth=1
	; sched_barrier mask(0x00000000)
	v_cvt_i32_f32_e32 v57, v57
	v_cvt_i32_f32_e32 v58, v58
	;; [unrolled: 1-line block ×4, first 2 shown]
	v_cvt_f32_i32_dpp v57, v57 row_shl:1 row_mask:0xf bank_mask:0xf bound_ctrl:1
	v_cvt_f32_i32_dpp v58, v58 row_shl:2 row_mask:0xf bank_mask:0xf bound_ctrl:1
	;; [unrolled: 1-line block ×3, first 2 shown]
	v_cvt_i32_f32_e32 v54, v54
	v_add_f32_e32 v56, v56, v57
	v_add_f32_e32 v56, v56, v58
	v_cvt_i32_f32_e32 v55, v55
	v_add_f32_e32 v56, v56, v59
	v_cvt_i32_f32_e32 v57, v56
	v_cvt_f32_i32_dpp v53, v53 row_shl:1 row_mask:0xf bank_mask:0xf bound_ctrl:1
	v_cvt_f32_i32_dpp v54, v54 row_shl:2 row_mask:0xf bank_mask:0xf bound_ctrl:1
	;; [unrolled: 1-line block ×4, first 2 shown]
	v_add_f32_e32 v52, v52, v53
	v_add_f32_e32 v52, v52, v54
	;; [unrolled: 1-line block ×3, first 2 shown]
	v_cvt_i32_f32_e32 v54, v52
	v_add_f32_e32 v53, v56, v57
	v_cvt_i32_f32_e32 v56, v53
	v_cvt_i32_f32_e32 v49, v49
	v_cvt_f32_i32_dpp v54, v54 row_shl:4 row_mask:0xf bank_mask:0xf bound_ctrl:1
	v_cvt_i32_f32_e32 v50, v50
	v_cvt_f32_i32_dpp v55, v56 row_shl:8 row_mask:0xf bank_mask:0xf bound_ctrl:1
	v_cvt_i32_f32_e32 v51, v51
	v_add_f32_e32 v52, v52, v54
	v_cvt_i32_f32_e32 v54, v52
	v_add_f32_e32 v53, v53, v55
	v_cvt_f32_i32_dpp v49, v49 row_shl:1 row_mask:0xf bank_mask:0xf bound_ctrl:1
	v_cvt_i32_f32_e32 v53, v53
	v_cvt_f32_i32_dpp v50, v50 row_shl:2 row_mask:0xf bank_mask:0xf bound_ctrl:1
	v_cvt_f32_i32_dpp v51, v51 row_shl:3 row_mask:0xf bank_mask:0xf bound_ctrl:1
	;; [unrolled: 1-line block ×3, first 2 shown]
	v_add_f32_e32 v48, v48, v49
	v_cvt_f32_i32_dpp v53, v53 row_shr:15 row_mask:0xf bank_mask:0xf bound_ctrl:1
	v_add_f32_e32 v48, v48, v50
	v_add_f32_e32 v51, v48, v51
	;; [unrolled: 1-line block ×3, first 2 shown]
	v_cvt_i32_f32_e32 v52, v51
	v_cvt_i32_f32_e32 v55, v53
	;; [unrolled: 1-line block ×4, first 2 shown]
	v_cvt_f32_i32_dpp v52, v52 row_shl:4 row_mask:0xf bank_mask:0xf bound_ctrl:1
	v_cvt_i32_f32_e32 v47, v47
	v_cvt_f32_i32_dpp v50, v55 row_bcast:15 row_mask:0xf bank_mask:0xf bound_ctrl:1
	v_cvt_i32_f32_e32 v49, v49
	v_cvt_f32_i32_dpp v45, v45 row_shl:1 row_mask:0xf bank_mask:0xf bound_ctrl:1
	v_cvt_f32_i32_dpp v46, v46 row_shl:2 row_mask:0xf bank_mask:0xf bound_ctrl:1
	v_add_f32_e32 v51, v51, v52
	v_cvt_f32_i32_dpp v47, v47 row_shl:3 row_mask:0xf bank_mask:0xf bound_ctrl:1
	v_cvt_i32_f32_e32 v52, v51
	v_add_f32_e32 v48, v53, v50
	v_cvt_f32_i32_dpp v50, v49 row_shr:15 row_mask:0xf bank_mask:0xf bound_ctrl:1
	v_add_f32_e32 v44, v44, v45
	v_add_f32_e32 v44, v44, v46
	;; [unrolled: 1-line block ×3, first 2 shown]
	v_cvt_f32_i32_dpp v52, v52 row_shl:8 row_mask:0xf bank_mask:0xf bound_ctrl:1
	v_cvt_i32_f32_e32 v44, v45
	v_cvt_i32_f32_e32 v53, v50
	;; [unrolled: 1-line block ×4, first 2 shown]
	v_add_f32_e32 v47, v51, v52
	v_cvt_f32_i32_dpp v51, v44 row_shl:4 row_mask:0xf bank_mask:0xf bound_ctrl:1
	v_cvt_i32_f32_e32 v43, v43
	v_cvt_f32_i32_dpp v46, v53 row_bcast:15 row_mask:0xf bank_mask:0xf bound_ctrl:1
	v_cvt_f32_i32_dpp v41, v41 row_shl:1 row_mask:0xf bank_mask:0xf bound_ctrl:1
	v_cvt_f32_i32_dpp v42, v42 row_shl:2 row_mask:0xf bank_mask:0xf bound_ctrl:1
	v_add_f32_e32 v45, v45, v51
	v_cvt_f32_i32_dpp v43, v43 row_shl:3 row_mask:0xf bank_mask:0xf bound_ctrl:1
	v_add_f32_e32 v44, v50, v46
	v_cvt_i32_f32_e32 v50, v45
	v_add_f32_e32 v40, v40, v41
	v_add_f32_e32 v40, v40, v42
	v_add_f32_e32 v40, v40, v43
	v_cvt_f32_i32_dpp v50, v50 row_shl:8 row_mask:0xf bank_mask:0xf bound_ctrl:1
	v_cvt_i32_f32_e32 v41, v40
	v_cvt_i32_f32_e32 v47, v47
	;; [unrolled: 1-line block ×3, first 2 shown]
	v_add_f32_e32 v43, v45, v50
	v_cvt_f32_i32_dpp v45, v41 row_shl:4 row_mask:0xf bank_mask:0xf bound_ctrl:1
	v_cvt_f32_i32_dpp v47, v47 row_shr:15 row_mask:0xf bank_mask:0xf bound_ctrl:1
	v_cvt_i32_f32_e32 v37, v37
	v_cvt_i32_f32_e32 v38, v38
	v_add_f32_e32 v45, v40, v45
	v_cvt_i32_f32_e32 v42, v47
	v_mov_b32_dpp v41, v46 row_bcast:31 row_mask:0xf bank_mask:0xf bound_ctrl:1
	v_cvt_i32_f32_e32 v46, v45
	v_cvt_i32_f32_e32 v39, v39
	v_cvt_f32_i32_dpp v37, v37 row_shl:1 row_mask:0xf bank_mask:0xf bound_ctrl:1
	v_cvt_f32_i32_dpp v38, v38 row_shl:2 row_mask:0xf bank_mask:0xf bound_ctrl:1
	v_cvt_f32_i32_dpp v42, v42 row_bcast:15 row_mask:0xf bank_mask:0xf bound_ctrl:1
	v_cvt_f32_i32_dpp v46, v46 row_shl:8 row_mask:0xf bank_mask:0xf bound_ctrl:1
	v_cvt_f32_i32_dpp v39, v39 row_shl:3 row_mask:0xf bank_mask:0xf bound_ctrl:1
	v_cvt_i32_f32_e32 v43, v43
	v_add_f32_e32 v36, v36, v37
	v_add_f32_e32 v36, v36, v38
	v_add_f32_e32 v40, v47, v42
	v_add_f32_e32 v45, v45, v46
	v_add_f32_e32 v38, v36, v39
	v_cvt_i32_f32_e32 v42, v40
	v_cvt_i32_f32_e32 v45, v45
	;; [unrolled: 1-line block ×3, first 2 shown]
	v_cvt_f32_i32_dpp v43, v43 row_shr:15 row_mask:0xf bank_mask:0xf bound_ctrl:1
	v_cvt_i32_f32_e32 v33, v33
	v_cvt_i32_f32_e32 v34, v34
	v_mov_b32_dpp v37, v42 row_bcast:31 row_mask:0xf bank_mask:0xf bound_ctrl:1
	v_cvt_f32_i32_dpp v42, v45 row_shr:15 row_mask:0xf bank_mask:0xf bound_ctrl:1
	v_cvt_f32_i32_dpp v45, v36 row_shl:4 row_mask:0xf bank_mask:0xf bound_ctrl:1
	v_cvt_i32_f32_e32 v35, v35
	v_cvt_i32_f32_e32 v47, v43
	v_cvt_f32_i32_dpp v33, v33 row_shl:1 row_mask:0xf bank_mask:0xf bound_ctrl:1
	v_cvt_f32_i32_dpp v34, v34 row_shl:2 row_mask:0xf bank_mask:0xf bound_ctrl:1
	v_add_f32_e32 v38, v38, v45
	v_cvt_f32_i32_dpp v35, v35 row_shl:3 row_mask:0xf bank_mask:0xf bound_ctrl:1
	v_cvt_f32_i32_dpp v39, v47 row_bcast:15 row_mask:0xf bank_mask:0xf bound_ctrl:1
	v_cvt_i32_f32_e32 v45, v38
	v_add_f32_e32 v32, v32, v33
	v_add_f32_e32 v32, v32, v34
	;; [unrolled: 1-line block ×3, first 2 shown]
	v_cvt_i32_f32_e32 v29, v29
	v_add_f32_e32 v36, v43, v39
	v_cvt_i32_f32_e32 v43, v42
	v_cvt_f32_i32_dpp v45, v45 row_shl:8 row_mask:0xf bank_mask:0xf bound_ctrl:1
	v_cvt_i32_f32_e32 v32, v34
	v_cvt_i32_f32_e32 v30, v30
	;; [unrolled: 1-line block ×3, first 2 shown]
	v_cvt_f32_i32_dpp v29, v29 row_shl:1 row_mask:0xf bank_mask:0xf bound_ctrl:1
	v_cvt_f32_i32_dpp v35, v43 row_bcast:15 row_mask:0xf bank_mask:0xf bound_ctrl:1
	v_add_f32_e32 v33, v38, v45
	v_cvt_f32_i32_dpp v43, v32 row_shl:4 row_mask:0xf bank_mask:0xf bound_ctrl:1
	v_cvt_f32_i32_dpp v30, v30 row_shl:2 row_mask:0xf bank_mask:0xf bound_ctrl:1
	v_cvt_i32_f32_e32 v38, v33
	v_cvt_f32_i32_dpp v31, v31 row_shl:3 row_mask:0xf bank_mask:0xf bound_ctrl:1
	v_add_f32_e32 v28, v28, v29
	v_add_f32_e32 v34, v34, v43
	;; [unrolled: 1-line block ×4, first 2 shown]
	v_cvt_f32_i32_dpp v35, v38 row_shr:15 row_mask:0xf bank_mask:0xf bound_ctrl:1
	v_cvt_i32_f32_e32 v38, v34
	v_add_f32_e32 v28, v28, v31
	v_cvt_i32_f32_e32 v29, v28
	v_cvt_i32_f32_e32 v30, v35
	v_cvt_f32_i32_dpp v38, v38 row_shl:8 row_mask:0xf bank_mask:0xf bound_ctrl:1
	v_cvt_i32_f32_e32 v25, v25
	v_cvt_f32_i32_dpp v29, v29 row_shl:4 row_mask:0xf bank_mask:0xf bound_ctrl:1
	v_cvt_i32_f32_e32 v26, v26
	v_add_f32_e32 v31, v34, v38
	v_cvt_i32_f32_e32 v31, v31
	v_cvt_f32_i32_dpp v30, v30 row_bcast:15 row_mask:0xf bank_mask:0xf bound_ctrl:1
	v_add_f32_e32 v38, v28, v29
	v_cvt_i32_f32_e32 v27, v27
	v_cvt_i32_f32_e32 v29, v38
	v_cvt_f32_i32_dpp v25, v25 row_shl:1 row_mask:0xf bank_mask:0xf bound_ctrl:1
	v_cvt_f32_i32_dpp v26, v26 row_shl:2 row_mask:0xf bank_mask:0xf bound_ctrl:1
	v_cvt_i32_f32_e32 v39, v36
	v_cvt_f32_i32_dpp v31, v31 row_shr:15 row_mask:0xf bank_mask:0xf bound_ctrl:1
	v_add_f32_e32 v28, v35, v30
	v_cvt_f32_i32_dpp v27, v27 row_shl:3 row_mask:0xf bank_mask:0xf bound_ctrl:1
	v_cvt_i32_f32_e32 v35, v28
	v_cvt_f32_i32_dpp v42, v29 row_shl:8 row_mask:0xf bank_mask:0xf bound_ctrl:1
	v_add_f32_e32 v24, v24, v25
	v_cvt_i32_f32_e32 v21, v21
	v_add_f32_e32 v24, v24, v26
	v_cvt_i32_f32_e32 v22, v22
	v_mov_b32_dpp v33, v39 row_bcast:31 row_mask:0xf bank_mask:0xf bound_ctrl:1
	v_cvt_i32_f32_e32 v34, v32
	v_cvt_i32_f32_e32 v39, v31
	v_add_f32_e32 v25, v24, v27
	v_cvt_i32_f32_e32 v23, v23
	v_mov_b32_dpp v29, v35 row_bcast:31 row_mask:0xf bank_mask:0xf bound_ctrl:1
	v_add_f32_e32 v35, v38, v42
	v_cvt_i32_f32_e32 v26, v25
	v_cvt_i32_f32_e32 v35, v35
	v_cvt_f32_i32_dpp v21, v21 row_shl:1 row_mask:0xf bank_mask:0xf bound_ctrl:1
	v_cvt_f32_i32_dpp v22, v22 row_shl:2 row_mask:0xf bank_mask:0xf bound_ctrl:1
	v_mov_b32_dpp v30, v34 row_bcast:31 row_mask:0xf bank_mask:0xf bound_ctrl:1
	v_cvt_f32_i32_dpp v34, v39 row_bcast:15 row_mask:0xf bank_mask:0xf bound_ctrl:1
	v_cvt_f32_i32_dpp v23, v23 row_shl:3 row_mask:0xf bank_mask:0xf bound_ctrl:1
	v_cvt_f32_i32_dpp v26, v26 row_shl:4 row_mask:0xf bank_mask:0xf bound_ctrl:1
	v_cvt_f32_i32_dpp v35, v35 row_shr:15 row_mask:0xf bank_mask:0xf bound_ctrl:1
	v_add_f32_e32 v20, v20, v21
	v_add_f32_e32 v20, v20, v22
	v_cvt_i32_f32_e32 v17, v17
	v_add_f32_e32 v24, v31, v34
	v_add_f32_e32 v22, v20, v23
	v_cvt_i32_f32_e32 v18, v18
	v_cvt_i32_f32_e32 v27, v24
	v_add_f32_e32 v25, v25, v26
	v_cvt_i32_f32_e32 v20, v22
	v_cvt_i32_f32_e32 v19, v19
	;; [unrolled: 1-line block ×4, first 2 shown]
	v_cvt_f32_i32_dpp v17, v17 row_shl:1 row_mask:0xf bank_mask:0xf bound_ctrl:1
	v_cvt_f32_i32_dpp v18, v18 row_shl:2 row_mask:0xf bank_mask:0xf bound_ctrl:1
	v_mov_b32_dpp v21, v27 row_bcast:31 row_mask:0xf bank_mask:0xf bound_ctrl:1
	v_cvt_f32_i32_dpp v27, v20 row_shl:4 row_mask:0xf bank_mask:0xf bound_ctrl:1
	v_cvt_f32_i32_dpp v19, v19 row_shl:3 row_mask:0xf bank_mask:0xf bound_ctrl:1
	v_cvt_f32_i32_dpp v23, v31 row_bcast:15 row_mask:0xf bank_mask:0xf bound_ctrl:1
	v_cvt_f32_i32_dpp v26, v26 row_shl:8 row_mask:0xf bank_mask:0xf bound_ctrl:1
	v_add_f32_e32 v16, v16, v17
	v_add_f32_e32 v16, v16, v18
	;; [unrolled: 1-line block ×6, first 2 shown]
	v_cvt_i32_f32_e32 v25, v22
	v_cvt_i32_f32_e32 v17, v16
	;; [unrolled: 1-line block ×4, first 2 shown]
	v_cvt_f32_i32_dpp v25, v25 row_shl:8 row_mask:0xf bank_mask:0xf bound_ctrl:1
	v_cvt_f32_i32_dpp v17, v17 row_shl:4 row_mask:0xf bank_mask:0xf bound_ctrl:1
	v_cvt_f32_i32_dpp v18, v23 row_shr:15 row_mask:0xf bank_mask:0xf bound_ctrl:1
	v_cvt_i32_f32_e32 v1, v1
	v_add_f32_e32 v19, v22, v25
	v_add_f32_e32 v25, v16, v17
	v_cvt_i32_f32_e32 v19, v19
	v_cvt_i32_f32_e32 v23, v18
	;; [unrolled: 1-line block ×10, first 2 shown]
	v_cvt_f32_i32_dpp v19, v19 row_shr:15 row_mask:0xf bank_mask:0xf bound_ctrl:1
	v_cvt_f32_i32_dpp v23, v23 row_bcast:15 row_mask:0xf bank_mask:0xf bound_ctrl:1
	v_cvt_f32_i32_dpp v26, v16 row_shl:8 row_mask:0xf bank_mask:0xf bound_ctrl:1
	v_cvt_f32_i32_dpp v5, v5 row_shl:1 row_mask:0xf bank_mask:0xf bound_ctrl:1
	v_cvt_f32_i32_dpp v1, v1 row_shl:1 row_mask:0xf bank_mask:0xf bound_ctrl:1
	v_cvt_f32_i32_dpp v13, v13 row_shl:1 row_mask:0xf bank_mask:0xf bound_ctrl:1
	v_cvt_f32_i32_dpp v6, v6 row_shl:2 row_mask:0xf bank_mask:0xf bound_ctrl:1
	v_cvt_f32_i32_dpp v2, v2 row_shl:2 row_mask:0xf bank_mask:0xf bound_ctrl:1
	v_cvt_i32_f32_e32 v3, v3
	v_cvt_f32_i32_dpp v14, v14 row_shl:2 row_mask:0xf bank_mask:0xf bound_ctrl:1
	v_cvt_f32_i32_dpp v7, v7 row_shl:3 row_mask:0xf bank_mask:0xf bound_ctrl:1
	;; [unrolled: 1-line block ×3, first 2 shown]
	v_mov_b32_dpp v17, v22 row_bcast:31 row_mask:0xf bank_mask:0xf bound_ctrl:1
	v_cvt_i32_f32_e32 v22, v19
	v_add_f32_e32 v16, v18, v23
	v_add_f32_e32 v23, v25, v26
	;; [unrolled: 1-line block ×4, first 2 shown]
	v_cvt_i32_f32_e32 v23, v23
	v_add_f32_e32 v12, v12, v13
	v_add_f32_e32 v4, v4, v6
	;; [unrolled: 1-line block ×3, first 2 shown]
	v_cvt_f32_i32_dpp v1, v3 row_shl:3 row_mask:0xf bank_mask:0xf bound_ctrl:1
	v_cvt_i32_f32_e32 v2, v9
	v_add_f32_e32 v12, v12, v14
	v_add_f32_e32 v4, v4, v7
	v_cvt_i32_f32_e32 v3, v10
	v_add_f32_e32 v14, v12, v15
	v_cvt_i32_f32_e32 v5, v4
	v_cvt_i32_f32_e32 v9, v11
	v_cvt_f32_i32_dpp v22, v22 row_bcast:15 row_mask:0xf bank_mask:0xf bound_ctrl:1
	v_cvt_i32_f32_e32 v12, v14
	v_cvt_f32_i32_dpp v23, v23 row_shr:15 row_mask:0xf bank_mask:0xf bound_ctrl:1
	v_add_f32_e32 v0, v0, v1
	v_cvt_f32_i32_dpp v1, v2 row_shl:1 row_mask:0xf bank_mask:0xf bound_ctrl:1
	v_cvt_f32_i32_dpp v2, v3 row_shl:2 row_mask:0xf bank_mask:0xf bound_ctrl:1
	v_cvt_f32_i32_dpp v5, v5 row_shl:4 row_mask:0xf bank_mask:0xf bound_ctrl:1
	v_cvt_f32_i32_dpp v3, v9 row_shl:3 row_mask:0xf bank_mask:0xf bound_ctrl:1
	v_add_f32_e32 v13, v19, v22
	v_cvt_f32_i32_dpp v19, v12 row_shl:4 row_mask:0xf bank_mask:0xf bound_ctrl:1
	v_cvt_i32_f32_e32 v18, v16
	v_cvt_i32_f32_e32 v25, v23
	v_add_f32_e32 v1, v8, v1
	v_add_f32_e32 v1, v1, v2
	;; [unrolled: 1-line block ×5, first 2 shown]
	v_cvt_i32_f32_e32 v5, v4
	v_cvt_i32_f32_e32 v9, v0
	;; [unrolled: 1-line block ×3, first 2 shown]
	v_mov_b32_dpp v15, v18 row_bcast:31 row_mask:0xf bank_mask:0xf bound_ctrl:1
	v_cvt_f32_i32_dpp v18, v25 row_bcast:15 row_mask:0xf bank_mask:0xf bound_ctrl:1
	v_cvt_i32_f32_e32 v14, v19
	v_cvt_f32_i32_dpp v3, v5 row_shl:8 row_mask:0xf bank_mask:0xf bound_ctrl:1
	v_cvt_f32_i32_dpp v5, v9 row_shl:4 row_mask:0xf bank_mask:0xf bound_ctrl:1
	;; [unrolled: 1-line block ×3, first 2 shown]
	v_add_f32_e32 v12, v23, v18
	v_cvt_f32_i32_dpp v23, v14 row_shl:8 row_mask:0xf bank_mask:0xf bound_ctrl:1
	v_add_f32_e32 v0, v0, v5
	v_add_f32_e32 v1, v1, v2
	;; [unrolled: 1-line block ×4, first 2 shown]
	v_cvt_i32_f32_e32 v4, v0
	v_cvt_i32_f32_e32 v2, v1
	;; [unrolled: 1-line block ×4, first 2 shown]
	v_cvt_f32_i32_dpp v4, v4 row_shl:8 row_mask:0xf bank_mask:0xf bound_ctrl:1
	v_cvt_f32_i32_dpp v2, v2 row_shl:8 row_mask:0xf bank_mask:0xf bound_ctrl:1
	v_cvt_f32_i32_dpp v6, v6 row_shr:15 row_mask:0xf bank_mask:0xf bound_ctrl:1
	v_cvt_f32_i32_dpp v3, v3 row_shr:15 row_mask:0xf bank_mask:0xf bound_ctrl:1
	v_add_f32_e32 v0, v0, v4
	v_add_f32_e32 v1, v1, v2
	v_cvt_i32_f32_e32 v5, v6
	v_cvt_i32_f32_e32 v0, v0
	;; [unrolled: 1-line block ×4, first 2 shown]
	v_cvt_f32_i32_dpp v2, v5 row_bcast:15 row_mask:0xf bank_mask:0xf bound_ctrl:1
	v_cvt_f32_i32_dpp v0, v0 row_shr:15 row_mask:0xf bank_mask:0xf bound_ctrl:1
	v_cvt_f32_i32_dpp v1, v1 row_shr:15 row_mask:0xf bank_mask:0xf bound_ctrl:1
	v_cvt_f32_i32_dpp v4, v4 row_bcast:15 row_mask:0xf bank_mask:0xf bound_ctrl:1
	v_add_f32_e32 v9, v6, v2
	v_cvt_i32_f32_e32 v2, v0
	v_cvt_i32_f32_e32 v5, v1
	v_add_f32_e32 v6, v3, v4
	v_cvt_i32_f32_e32 v49, v48
	v_cvt_f32_i32_dpp v2, v2 row_bcast:15 row_mask:0xf bank_mask:0xf bound_ctrl:1
	v_cvt_f32_i32_dpp v3, v5 row_bcast:15 row_mask:0xf bank_mask:0xf bound_ctrl:1
	v_cvt_i32_f32_e32 v22, v13
	v_cvt_i32_f32_e32 v18, v12
	v_add_f32_e32 v4, v0, v2
	v_add_f32_e32 v2, v1, v3
	v_cvt_i32_f32_e32 v8, v9
	v_cvt_i32_f32_e32 v5, v6
	;; [unrolled: 1-line block ×4, first 2 shown]
	v_mov_b32_dpp v49, v49 row_bcast:31 row_mask:0xf bank_mask:0xf bound_ctrl:1
	v_mov_b32_dpp v14, v22 row_bcast:31 row_mask:0xf bank_mask:0xf bound_ctrl:1
	;; [unrolled: 1-line block ×7, first 2 shown]
	s_and_saveexec_b64 s[20:21], s[0:1]
	s_cbranch_execz .LBB284_13
; %bb.22:                               ;   in Loop: Header=BB284_14 Depth=1
	s_andn2_b64 vcc, exec, s[18:19]
	v_mov_b32_e32 v0, 0
	v_mov_b32_e32 v42, 0
	;; [unrolled: 1-line block ×15, first 2 shown]
	s_cbranch_vccnz .LBB284_24
; %bb.23:                               ;   in Loop: Header=BB284_14 Depth=1
	v_mul_hi_u32 v0, v116, v137
	v_mul_lo_u32 v0, v0, s12
	v_sub_u32_e32 v0, v116, v0
	v_subrev_u32_e32 v1, s12, v0
	v_cmp_le_u32_e32 vcc, s12, v0
	v_mov_b32_e32 v23, v119
	v_mov_b32_e32 v51, v119
	v_cndmask_b32_e32 v0, v0, v1, vcc
	v_subrev_u32_e32 v1, s12, v0
	v_cmp_le_u32_e32 vcc, s12, v0
	s_nop 1
	v_cndmask_b32_e32 v118, v0, v1, vcc
	v_add_u32_e32 v0, 1, v116
	v_mul_hi_u32 v1, v0, v137
	v_mul_lo_u32 v1, v1, s12
	v_sub_u32_e32 v0, v0, v1
	v_subrev_u32_e32 v1, s12, v0
	v_cmp_le_u32_e32 vcc, s12, v0
	v_lshl_add_u64 v[18:19], v[118:119], 1, s[8:9]
	s_nop 0
	v_cndmask_b32_e32 v0, v0, v1, vcc
	v_subrev_u32_e32 v1, s12, v0
	v_cmp_le_u32_e32 vcc, s12, v0
	s_nop 1
	v_cndmask_b32_e32 v22, v0, v1, vcc
	v_mul_hi_u32 v0, v120, v137
	v_mul_lo_u32 v0, v0, s12
	v_sub_u32_e32 v0, v120, v0
	v_subrev_u32_e32 v1, s12, v0
	v_cmp_le_u32_e32 vcc, s12, v0
	v_lshl_add_u64 v[46:47], v[22:23], 1, s[8:9]
	s_nop 0
	v_cndmask_b32_e32 v0, v0, v1, vcc
	v_subrev_u32_e32 v1, s12, v0
	v_cmp_le_u32_e32 vcc, s12, v0
	s_nop 1
	v_cndmask_b32_e32 v50, v0, v1, vcc
	v_add_u32_e32 v0, s26, v118
	v_mov_b32_e32 v1, v119
	v_lshl_add_u64 v[54:55], v[0:1], 1, s[8:9]
	v_add_u32_e32 v0, s26, v22
	v_lshl_add_u64 v[56:57], v[0:1], 1, s[8:9]
	v_add_u32_e32 v0, s26, v50
	;; [unrolled: 2-line block ×4, first 2 shown]
	v_lshl_add_u64 v[52:53], v[50:51], 1, s[8:9]
	v_lshl_add_u64 v[62:63], v[0:1], 1, s[8:9]
	global_load_ushort v0, v[18:19], off
	global_load_ushort v42, v[46:47], off
	;; [unrolled: 1-line block ×8, first 2 shown]
	v_add_u32_e32 v18, s27, v50
	v_mov_b32_e32 v19, v119
	v_lshl_add_u64 v[46:47], v[18:19], 1, s[8:9]
	v_add_u32_e32 v18, s28, v118
	v_add_u32_e32 v118, s29, v118
	v_lshl_add_u64 v[52:53], v[18:19], 1, s[8:9]
	v_add_u32_e32 v18, s28, v22
	v_lshl_add_u64 v[58:59], v[118:119], 1, s[8:9]
	;; [unrolled: 2-line block ×5, first 2 shown]
	v_lshl_add_u64 v[50:51], v[118:119], 1, s[8:9]
	global_load_ushort v27, v[46:47], off
	global_load_ushort v25, v[52:53], off
	global_load_ushort v23, v[54:55], off
	global_load_ushort v22, v[56:57], off
	global_load_ushort v19, v[58:59], off
	global_load_ushort v18, v[60:61], off
	global_load_ushort v11, v[50:51], off
.LBB284_24:                             ;   in Loop: Header=BB284_14 Depth=1
	v_cvt_f32_i32_e32 v1, v49
	s_waitcnt vmcnt(14)
	v_lshlrev_b32_e32 v0, 16, v0
                                        ; implicit-def: $vgpr43
	v_add_f32_e32 v1, v48, v1
	v_add_f32_e32 v0, v1, v0
	v_and_b32_e32 v1, 0x7f800000, v0
	v_cmp_ne_u32_e32 vcc, s34, v1
	s_and_saveexec_b64 s[22:23], vcc
	s_xor_b64 s[22:23], exec, s[22:23]
; %bb.25:                               ;   in Loop: Header=BB284_14 Depth=1
	v_bfe_u32 v1, v0, 16, 1
	v_add3_u32 v43, v0, v1, s35
                                        ; implicit-def: $vgpr0
; %bb.26:                               ;   in Loop: Header=BB284_14 Depth=1
	s_andn2_saveexec_b64 s[22:23], s[22:23]
; %bb.27:                               ;   in Loop: Header=BB284_14 Depth=1
	v_or_b32_e32 v1, 0x10000, v0
	v_cmp_eq_u32_sdwa vcc, v0, v119 src0_sel:WORD_0 src1_sel:DWORD
	s_nop 1
	v_cndmask_b32_e32 v43, v1, v0, vcc
; %bb.28:                               ;   in Loop: Header=BB284_14 Depth=1
	s_or_b64 exec, exec, s[22:23]
	v_cvt_f32_i32_e32 v41, v41
	s_waitcnt vmcnt(13)
	v_lshlrev_b32_e32 v42, 16, v42
	v_mov_b32_e32 v117, v119
	v_lshl_add_u64 v[0:1], v[116:117], 1, s[10:11]
	v_add_f32_e32 v41, v44, v41
	v_add_f32_e32 v41, v41, v42
	v_and_b32_e32 v42, 0x7f800000, v41
	v_cmp_ne_u32_e32 vcc, s34, v42
	global_store_short_d16_hi v[0:1], v43, off
                                        ; implicit-def: $vgpr42
	s_and_saveexec_b64 s[22:23], vcc
	s_xor_b64 s[22:23], exec, s[22:23]
; %bb.29:                               ;   in Loop: Header=BB284_14 Depth=1
	v_bfe_u32 v42, v41, 16, 1
	v_add3_u32 v42, v41, v42, s35
                                        ; implicit-def: $vgpr41
; %bb.30:                               ;   in Loop: Header=BB284_14 Depth=1
	s_andn2_saveexec_b64 s[22:23], s[22:23]
; %bb.31:                               ;   in Loop: Header=BB284_14 Depth=1
	v_or_b32_e32 v42, 0x10000, v41
	v_cmp_eq_u32_sdwa vcc, v41, v119 src0_sel:WORD_0 src1_sel:DWORD
	s_nop 1
	v_cndmask_b32_e32 v42, v42, v41, vcc
; %bb.32:                               ;   in Loop: Header=BB284_14 Depth=1
	s_or_b64 exec, exec, s[22:23]
	v_cvt_f32_i32_e32 v37, v37
	global_store_short_d16_hi v[0:1], v42, off offset:2
	s_waitcnt vmcnt(14)
	v_lshlrev_b32_e32 v1, 16, v39
	v_add_f32_e32 v0, v40, v37
	v_add_f32_e32 v1, v0, v1
	v_and_b32_e32 v0, 0x7f800000, v1
	v_cmp_ne_u32_e32 vcc, s34, v0
                                        ; implicit-def: $vgpr0
	s_and_saveexec_b64 s[22:23], vcc
	s_xor_b64 s[22:23], exec, s[22:23]
; %bb.33:                               ;   in Loop: Header=BB284_14 Depth=1
	v_bfe_u32 v0, v1, 16, 1
	v_add3_u32 v0, v1, v0, s35
                                        ; implicit-def: $vgpr1
; %bb.34:                               ;   in Loop: Header=BB284_14 Depth=1
	s_andn2_saveexec_b64 s[22:23], s[22:23]
; %bb.35:                               ;   in Loop: Header=BB284_14 Depth=1
	v_or_b32_e32 v0, 0x10000, v1
	v_cmp_eq_u32_sdwa vcc, v1, v119 src0_sel:WORD_0 src1_sel:DWORD
	s_nop 1
	v_cndmask_b32_e32 v0, v0, v1, vcc
; %bb.36:                               ;   in Loop: Header=BB284_14 Depth=1
	s_or_b64 exec, exec, s[22:23]
	v_cvt_f32_i32_e32 v1, v33
	v_mov_b32_e32 v121, v119
	v_lshl_add_u64 v[40:41], v[120:121], 1, s[10:11]
	global_store_short_d16_hi v[40:41], v0, off
	v_add_f32_e32 v0, v36, v1
	s_waitcnt vmcnt(14)
	v_lshlrev_b32_e32 v1, 16, v38
	v_add_f32_e32 v1, v0, v1
	v_and_b32_e32 v0, 0x7f800000, v1
	v_cmp_ne_u32_e32 vcc, s34, v0
                                        ; implicit-def: $vgpr0
	s_and_saveexec_b64 s[22:23], vcc
	s_xor_b64 s[22:23], exec, s[22:23]
; %bb.37:                               ;   in Loop: Header=BB284_14 Depth=1
	v_bfe_u32 v0, v1, 16, 1
	v_add3_u32 v0, v1, v0, s35
                                        ; implicit-def: $vgpr1
; %bb.38:                               ;   in Loop: Header=BB284_14 Depth=1
	s_andn2_saveexec_b64 s[22:23], s[22:23]
; %bb.39:                               ;   in Loop: Header=BB284_14 Depth=1
	v_or_b32_e32 v0, 0x10000, v1
	v_cmp_eq_u32_sdwa vcc, v1, v119 src0_sel:WORD_0 src1_sel:DWORD
	s_nop 1
	v_cndmask_b32_e32 v0, v0, v1, vcc
; %bb.40:                               ;   in Loop: Header=BB284_14 Depth=1
	s_or_b64 exec, exec, s[22:23]
	v_cvt_f32_i32_e32 v1, v30
	v_add_u32_e32 v118, s7, v116
	v_lshl_add_u64 v[36:37], v[118:119], 1, s[10:11]
	global_store_short_d16_hi v[36:37], v0, off
	v_add_f32_e32 v0, v32, v1
	s_waitcnt vmcnt(14)
	v_lshlrev_b32_e32 v1, 16, v35
	v_add_f32_e32 v1, v0, v1
	v_and_b32_e32 v0, 0x7f800000, v1
	v_cmp_ne_u32_e32 vcc, s34, v0
                                        ; implicit-def: $vgpr0
	s_and_saveexec_b64 s[22:23], vcc
	s_xor_b64 s[22:23], exec, s[22:23]
; %bb.41:                               ;   in Loop: Header=BB284_14 Depth=1
	v_bfe_u32 v0, v1, 16, 1
	v_add3_u32 v0, v1, v0, s35
                                        ; implicit-def: $vgpr1
; %bb.42:                               ;   in Loop: Header=BB284_14 Depth=1
	s_andn2_saveexec_b64 s[22:23], s[22:23]
; %bb.43:                               ;   in Loop: Header=BB284_14 Depth=1
	v_or_b32_e32 v0, 0x10000, v1
	v_cmp_eq_u32_sdwa vcc, v1, v119 src0_sel:WORD_0 src1_sel:DWORD
	s_nop 1
	v_cndmask_b32_e32 v0, v0, v1, vcc
; %bb.44:                               ;   in Loop: Header=BB284_14 Depth=1
	s_or_b64 exec, exec, s[22:23]
	v_cvt_f32_i32_e32 v1, v29
	v_add_u32_e32 v32, 1, v118
	v_mov_b32_e32 v33, v119
	v_lshl_add_u64 v[32:33], v[32:33], 1, s[10:11]
	v_add_f32_e32 v1, v28, v1
	global_store_short_d16_hi v[32:33], v0, off
	s_waitcnt vmcnt(14)
	v_lshlrev_b32_e32 v0, 16, v34
	v_add_f32_e32 v1, v1, v0
	v_and_b32_e32 v0, 0x7f800000, v1
	v_cmp_ne_u32_e32 vcc, s34, v0
                                        ; implicit-def: $vgpr0
	s_and_saveexec_b64 s[22:23], vcc
	s_xor_b64 s[22:23], exec, s[22:23]
; %bb.45:                               ;   in Loop: Header=BB284_14 Depth=1
	v_bfe_u32 v0, v1, 16, 1
	v_add3_u32 v0, v1, v0, s35
                                        ; implicit-def: $vgpr1
; %bb.46:                               ;   in Loop: Header=BB284_14 Depth=1
	s_andn2_saveexec_b64 s[22:23], s[22:23]
; %bb.47:                               ;   in Loop: Header=BB284_14 Depth=1
	v_or_b32_e32 v0, 0x10000, v1
	v_cmp_eq_u32_sdwa vcc, v1, v119 src0_sel:WORD_0 src1_sel:DWORD
	s_nop 1
	v_cndmask_b32_e32 v0, v0, v1, vcc
; %bb.48:                               ;   in Loop: Header=BB284_14 Depth=1
	s_or_b64 exec, exec, s[22:23]
	v_cvt_f32_i32_e32 v1, v21
	v_add_u32_e32 v28, 2, v118
	v_mov_b32_e32 v29, v119
	v_lshl_add_u64 v[28:29], v[28:29], 1, s[10:11]
	v_add_f32_e32 v1, v24, v1
	global_store_short_d16_hi v[28:29], v0, off
	s_waitcnt vmcnt(14)
	v_lshlrev_b32_e32 v0, 16, v31
	v_add_f32_e32 v1, v1, v0
	v_and_b32_e32 v0, 0x7f800000, v1
	v_cmp_ne_u32_e32 vcc, s34, v0
                                        ; implicit-def: $vgpr0
	s_and_saveexec_b64 s[22:23], vcc
	s_xor_b64 s[22:23], exec, s[22:23]
; %bb.49:                               ;   in Loop: Header=BB284_14 Depth=1
	v_bfe_u32 v0, v1, 16, 1
	v_add3_u32 v0, v1, v0, s35
                                        ; implicit-def: $vgpr1
; %bb.50:                               ;   in Loop: Header=BB284_14 Depth=1
	s_andn2_saveexec_b64 s[22:23], s[22:23]
; %bb.51:                               ;   in Loop: Header=BB284_14 Depth=1
	v_or_b32_e32 v0, 0x10000, v1
	v_cmp_eq_u32_sdwa vcc, v1, v119 src0_sel:WORD_0 src1_sel:DWORD
	s_nop 1
	v_cndmask_b32_e32 v0, v0, v1, vcc
; %bb.52:                               ;   in Loop: Header=BB284_14 Depth=1
	s_or_b64 exec, exec, s[22:23]
	v_cvt_f32_i32_e32 v1, v17
	v_add_u32_e32 v118, s7, v118
	v_lshl_add_u64 v[28:29], v[118:119], 1, s[10:11]
	global_store_short_d16_hi v[28:29], v0, off
	v_add_f32_e32 v0, v20, v1
	s_waitcnt vmcnt(14)
	v_lshlrev_b32_e32 v1, 16, v26
	v_add_f32_e32 v1, v0, v1
	v_and_b32_e32 v0, 0x7f800000, v1
	v_cmp_ne_u32_e32 vcc, s34, v0
                                        ; implicit-def: $vgpr0
	s_and_saveexec_b64 s[22:23], vcc
	s_xor_b64 s[22:23], exec, s[22:23]
; %bb.53:                               ;   in Loop: Header=BB284_14 Depth=1
	v_bfe_u32 v0, v1, 16, 1
	v_add3_u32 v0, v1, v0, s35
                                        ; implicit-def: $vgpr1
; %bb.54:                               ;   in Loop: Header=BB284_14 Depth=1
	s_andn2_saveexec_b64 s[22:23], s[22:23]
; %bb.55:                               ;   in Loop: Header=BB284_14 Depth=1
	v_or_b32_e32 v0, 0x10000, v1
	v_cmp_eq_u32_sdwa vcc, v1, v119 src0_sel:WORD_0 src1_sel:DWORD
	s_nop 1
	v_cndmask_b32_e32 v0, v0, v1, vcc
; %bb.56:                               ;   in Loop: Header=BB284_14 Depth=1
	s_or_b64 exec, exec, s[22:23]
	v_cvt_f32_i32_e32 v1, v15
	v_add_u32_e32 v20, 1, v118
	v_mov_b32_e32 v21, v119
	v_lshl_add_u64 v[20:21], v[20:21], 1, s[10:11]
	v_add_f32_e32 v1, v16, v1
	global_store_short_d16_hi v[20:21], v0, off
	s_waitcnt vmcnt(14)
	v_lshlrev_b32_e32 v0, 16, v27
	v_add_f32_e32 v1, v1, v0
	v_and_b32_e32 v0, 0x7f800000, v1
	v_cmp_ne_u32_e32 vcc, s34, v0
                                        ; implicit-def: $vgpr0
	s_and_saveexec_b64 s[22:23], vcc
	s_xor_b64 s[22:23], exec, s[22:23]
; %bb.57:                               ;   in Loop: Header=BB284_14 Depth=1
	v_bfe_u32 v0, v1, 16, 1
	v_add3_u32 v0, v1, v0, s35
                                        ; implicit-def: $vgpr1
; %bb.58:                               ;   in Loop: Header=BB284_14 Depth=1
	s_andn2_saveexec_b64 s[22:23], s[22:23]
; %bb.59:                               ;   in Loop: Header=BB284_14 Depth=1
	v_or_b32_e32 v0, 0x10000, v1
	v_cmp_eq_u32_sdwa vcc, v1, v119 src0_sel:WORD_0 src1_sel:DWORD
	s_nop 1
	v_cndmask_b32_e32 v0, v0, v1, vcc
; %bb.60:                               ;   in Loop: Header=BB284_14 Depth=1
	s_or_b64 exec, exec, s[22:23]
	v_cvt_f32_i32_e32 v1, v14
	v_add_u32_e32 v14, 2, v118
	v_mov_b32_e32 v15, v119
	v_lshl_add_u64 v[14:15], v[14:15], 1, s[10:11]
	v_add_f32_e32 v1, v13, v1
	global_store_short_d16_hi v[14:15], v0, off
	s_waitcnt vmcnt(14)
	v_lshlrev_b32_e32 v0, 16, v25
	v_add_f32_e32 v1, v1, v0
	v_and_b32_e32 v0, 0x7f800000, v1
	v_cmp_ne_u32_e32 vcc, s34, v0
                                        ; implicit-def: $vgpr0
	s_and_saveexec_b64 s[22:23], vcc
	s_xor_b64 s[22:23], exec, s[22:23]
; %bb.61:                               ;   in Loop: Header=BB284_14 Depth=1
	v_bfe_u32 v0, v1, 16, 1
	v_add3_u32 v0, v1, v0, s35
                                        ; implicit-def: $vgpr1
; %bb.62:                               ;   in Loop: Header=BB284_14 Depth=1
	s_andn2_saveexec_b64 s[22:23], s[22:23]
; %bb.63:                               ;   in Loop: Header=BB284_14 Depth=1
	v_or_b32_e32 v0, 0x10000, v1
	v_cmp_eq_u32_sdwa vcc, v1, v119 src0_sel:WORD_0 src1_sel:DWORD
	s_nop 1
	v_cndmask_b32_e32 v0, v0, v1, vcc
; %bb.64:                               ;   in Loop: Header=BB284_14 Depth=1
	s_or_b64 exec, exec, s[22:23]
	v_cvt_f32_i32_e32 v1, v7
	v_add_u32_e32 v118, s7, v118
	v_lshl_add_u64 v[14:15], v[118:119], 1, s[10:11]
	global_store_short_d16_hi v[14:15], v0, off
	v_add_f32_e32 v0, v12, v1
	s_waitcnt vmcnt(14)
	v_lshlrev_b32_e32 v1, 16, v23
	v_add_f32_e32 v1, v0, v1
	v_and_b32_e32 v0, 0x7f800000, v1
	v_cmp_ne_u32_e32 vcc, s34, v0
                                        ; implicit-def: $vgpr0
	s_and_saveexec_b64 s[22:23], vcc
	s_xor_b64 s[22:23], exec, s[22:23]
; %bb.65:                               ;   in Loop: Header=BB284_14 Depth=1
	v_bfe_u32 v0, v1, 16, 1
	v_add3_u32 v0, v1, v0, s35
                                        ; implicit-def: $vgpr1
; %bb.66:                               ;   in Loop: Header=BB284_14 Depth=1
	s_andn2_saveexec_b64 s[22:23], s[22:23]
; %bb.67:                               ;   in Loop: Header=BB284_14 Depth=1
	v_or_b32_e32 v0, 0x10000, v1
	v_cmp_eq_u32_sdwa vcc, v1, v119 src0_sel:WORD_0 src1_sel:DWORD
	s_nop 1
	v_cndmask_b32_e32 v0, v0, v1, vcc
; %bb.68:                               ;   in Loop: Header=BB284_14 Depth=1
	s_or_b64 exec, exec, s[22:23]
	v_cvt_f32_i32_e32 v1, v10
	v_add_u32_e32 v12, 1, v118
	v_mov_b32_e32 v13, v119
	v_lshl_add_u64 v[12:13], v[12:13], 1, s[10:11]
	v_add_f32_e32 v1, v9, v1
	global_store_short_d16_hi v[12:13], v0, off
	s_waitcnt vmcnt(14)
	v_lshlrev_b32_e32 v0, 16, v22
	v_add_f32_e32 v1, v1, v0
	v_and_b32_e32 v0, 0x7f800000, v1
	v_cmp_ne_u32_e32 vcc, s34, v0
                                        ; implicit-def: $vgpr0
	s_and_saveexec_b64 s[22:23], vcc
	s_xor_b64 s[22:23], exec, s[22:23]
; %bb.69:                               ;   in Loop: Header=BB284_14 Depth=1
	v_bfe_u32 v0, v1, 16, 1
	v_add3_u32 v0, v1, v0, s35
                                        ; implicit-def: $vgpr1
; %bb.70:                               ;   in Loop: Header=BB284_14 Depth=1
	s_andn2_saveexec_b64 s[22:23], s[22:23]
; %bb.71:                               ;   in Loop: Header=BB284_14 Depth=1
	v_or_b32_e32 v0, 0x10000, v1
	v_cmp_eq_u32_sdwa vcc, v1, v119 src0_sel:WORD_0 src1_sel:DWORD
	s_nop 1
	v_cndmask_b32_e32 v0, v0, v1, vcc
; %bb.72:                               ;   in Loop: Header=BB284_14 Depth=1
	s_or_b64 exec, exec, s[22:23]
	v_cvt_f32_i32_e32 v1, v8
	v_add_u32_e32 v8, 2, v118
	v_mov_b32_e32 v9, v119
	v_lshl_add_u64 v[8:9], v[8:9], 1, s[10:11]
	v_add_f32_e32 v1, v6, v1
	global_store_short_d16_hi v[8:9], v0, off
	s_waitcnt vmcnt(14)
	v_lshlrev_b32_e32 v0, 16, v19
	v_add_f32_e32 v1, v1, v0
	v_and_b32_e32 v0, 0x7f800000, v1
	v_cmp_ne_u32_e32 vcc, s34, v0
                                        ; implicit-def: $vgpr0
	s_and_saveexec_b64 s[22:23], vcc
	s_xor_b64 s[22:23], exec, s[22:23]
; %bb.73:                               ;   in Loop: Header=BB284_14 Depth=1
	v_bfe_u32 v0, v1, 16, 1
	v_add3_u32 v0, v1, v0, s35
                                        ; implicit-def: $vgpr1
; %bb.74:                               ;   in Loop: Header=BB284_14 Depth=1
	s_andn2_saveexec_b64 s[22:23], s[22:23]
; %bb.75:                               ;   in Loop: Header=BB284_14 Depth=1
	v_or_b32_e32 v0, 0x10000, v1
	v_cmp_eq_u32_sdwa vcc, v1, v119 src0_sel:WORD_0 src1_sel:DWORD
	s_nop 1
	v_cndmask_b32_e32 v0, v0, v1, vcc
; %bb.76:                               ;   in Loop: Header=BB284_14 Depth=1
	s_or_b64 exec, exec, s[22:23]
	v_cvt_f32_i32_e32 v1, v5
	v_add_u32_e32 v118, s7, v118
	v_lshl_add_u64 v[6:7], v[118:119], 1, s[10:11]
	global_store_short_d16_hi v[6:7], v0, off
	v_add_f32_e32 v0, v4, v1
	s_waitcnt vmcnt(14)
	v_lshlrev_b32_e32 v1, 16, v18
	v_add_f32_e32 v1, v0, v1
	v_and_b32_e32 v0, 0x7f800000, v1
	v_cmp_ne_u32_e32 vcc, s34, v0
                                        ; implicit-def: $vgpr0
	s_and_saveexec_b64 s[22:23], vcc
	s_xor_b64 s[22:23], exec, s[22:23]
; %bb.77:                               ;   in Loop: Header=BB284_14 Depth=1
	v_bfe_u32 v0, v1, 16, 1
	v_add3_u32 v0, v1, v0, s35
                                        ; implicit-def: $vgpr1
; %bb.78:                               ;   in Loop: Header=BB284_14 Depth=1
	s_andn2_saveexec_b64 s[22:23], s[22:23]
; %bb.79:                               ;   in Loop: Header=BB284_14 Depth=1
	v_or_b32_e32 v0, 0x10000, v1
	v_cmp_eq_u32_sdwa vcc, v1, v119 src0_sel:WORD_0 src1_sel:DWORD
	s_nop 1
	v_cndmask_b32_e32 v0, v0, v1, vcc
; %bb.80:                               ;   in Loop: Header=BB284_14 Depth=1
	s_or_b64 exec, exec, s[22:23]
	v_cvt_f32_i32_e32 v1, v3
	v_add_u32_e32 v4, 1, v118
	v_mov_b32_e32 v5, v119
	v_lshl_add_u64 v[4:5], v[4:5], 1, s[10:11]
	v_add_f32_e32 v1, v2, v1
	global_store_short_d16_hi v[4:5], v0, off
	s_waitcnt vmcnt(14)
	v_lshlrev_b32_e32 v0, 16, v11
	v_add_f32_e32 v1, v1, v0
	v_and_b32_e32 v0, 0x7f800000, v1
	v_cmp_ne_u32_e32 vcc, s34, v0
                                        ; implicit-def: $vgpr0
	s_and_saveexec_b64 s[22:23], vcc
	s_xor_b64 s[22:23], exec, s[22:23]
; %bb.81:                               ;   in Loop: Header=BB284_14 Depth=1
	v_bfe_u32 v0, v1, 16, 1
	v_add3_u32 v0, v1, v0, s35
                                        ; implicit-def: $vgpr1
; %bb.82:                               ;   in Loop: Header=BB284_14 Depth=1
	s_andn2_saveexec_b64 s[22:23], s[22:23]
	s_cbranch_execz .LBB284_12
; %bb.83:                               ;   in Loop: Header=BB284_14 Depth=1
	v_or_b32_e32 v0, 0x10000, v1
	v_cmp_eq_u32_sdwa vcc, v1, v119 src0_sel:WORD_0 src1_sel:DWORD
	s_nop 1
	v_cndmask_b32_e32 v0, v0, v1, vcc
	s_branch .LBB284_12
.LBB284_84:
	s_endpgm
	.section	.rodata,"a",@progbits
	.p2align	6, 0x0
	.amdhsa_kernel _Z16wvSplitK_hf_sml_I14__hip_bfloat16Li32ELi3ELi16ELi8ELi2ELi5EEviiiiiiPKT_S3_S3_PS1_ii
		.amdhsa_group_segment_fixed_size 65536
		.amdhsa_private_segment_fixed_size 0
		.amdhsa_kernarg_size 64
		.amdhsa_user_sgpr_count 2
		.amdhsa_user_sgpr_dispatch_ptr 0
		.amdhsa_user_sgpr_queue_ptr 0
		.amdhsa_user_sgpr_kernarg_segment_ptr 1
		.amdhsa_user_sgpr_dispatch_id 0
		.amdhsa_user_sgpr_kernarg_preload_length 0
		.amdhsa_user_sgpr_kernarg_preload_offset 0
		.amdhsa_user_sgpr_private_segment_size 0
		.amdhsa_uses_dynamic_stack 0
		.amdhsa_enable_private_segment 0
		.amdhsa_system_sgpr_workgroup_id_x 1
		.amdhsa_system_sgpr_workgroup_id_y 0
		.amdhsa_system_sgpr_workgroup_id_z 0
		.amdhsa_system_sgpr_workgroup_info 0
		.amdhsa_system_vgpr_workitem_id 1
		.amdhsa_next_free_vgpr 142
		.amdhsa_next_free_sgpr 37
		.amdhsa_accum_offset 144
		.amdhsa_reserve_vcc 1
		.amdhsa_float_round_mode_32 0
		.amdhsa_float_round_mode_16_64 0
		.amdhsa_float_denorm_mode_32 3
		.amdhsa_float_denorm_mode_16_64 3
		.amdhsa_dx10_clamp 1
		.amdhsa_ieee_mode 1
		.amdhsa_fp16_overflow 0
		.amdhsa_tg_split 0
		.amdhsa_exception_fp_ieee_invalid_op 0
		.amdhsa_exception_fp_denorm_src 0
		.amdhsa_exception_fp_ieee_div_zero 0
		.amdhsa_exception_fp_ieee_overflow 0
		.amdhsa_exception_fp_ieee_underflow 0
		.amdhsa_exception_fp_ieee_inexact 0
		.amdhsa_exception_int_div_zero 0
	.end_amdhsa_kernel
	.section	.text._Z16wvSplitK_hf_sml_I14__hip_bfloat16Li32ELi3ELi16ELi8ELi2ELi5EEviiiiiiPKT_S3_S3_PS1_ii,"axG",@progbits,_Z16wvSplitK_hf_sml_I14__hip_bfloat16Li32ELi3ELi16ELi8ELi2ELi5EEviiiiiiPKT_S3_S3_PS1_ii,comdat
.Lfunc_end284:
	.size	_Z16wvSplitK_hf_sml_I14__hip_bfloat16Li32ELi3ELi16ELi8ELi2ELi5EEviiiiiiPKT_S3_S3_PS1_ii, .Lfunc_end284-_Z16wvSplitK_hf_sml_I14__hip_bfloat16Li32ELi3ELi16ELi8ELi2ELi5EEviiiiiiPKT_S3_S3_PS1_ii
                                        ; -- End function
	.section	.AMDGPU.csdata,"",@progbits
; Kernel info:
; codeLenInByte = 6588
; NumSgprs: 43
; NumVgprs: 142
; NumAgprs: 0
; TotalNumVgprs: 142
; ScratchSize: 0
; MemoryBound: 0
; FloatMode: 240
; IeeeMode: 1
; LDSByteSize: 65536 bytes/workgroup (compile time only)
; SGPRBlocks: 5
; VGPRBlocks: 17
; NumSGPRsForWavesPerEU: 43
; NumVGPRsForWavesPerEU: 142
; AccumOffset: 144
; Occupancy: 2
; WaveLimiterHint : 0
; COMPUTE_PGM_RSRC2:SCRATCH_EN: 0
; COMPUTE_PGM_RSRC2:USER_SGPR: 2
; COMPUTE_PGM_RSRC2:TRAP_HANDLER: 0
; COMPUTE_PGM_RSRC2:TGID_X_EN: 1
; COMPUTE_PGM_RSRC2:TGID_Y_EN: 0
; COMPUTE_PGM_RSRC2:TGID_Z_EN: 0
; COMPUTE_PGM_RSRC2:TIDIG_COMP_CNT: 1
; COMPUTE_PGM_RSRC3_GFX90A:ACCUM_OFFSET: 35
; COMPUTE_PGM_RSRC3_GFX90A:TG_SPLIT: 0
	.section	.text._Z12wvSplitK_hf_I14__hip_bfloat16Li32ELi3ELi16ELi8ELi2ELi5EEviiiiiiPKT_S3_S3_PS1_ii,"axG",@progbits,_Z12wvSplitK_hf_I14__hip_bfloat16Li32ELi3ELi16ELi8ELi2ELi5EEviiiiiiPKT_S3_S3_PS1_ii,comdat
	.protected	_Z12wvSplitK_hf_I14__hip_bfloat16Li32ELi3ELi16ELi8ELi2ELi5EEviiiiiiPKT_S3_S3_PS1_ii ; -- Begin function _Z12wvSplitK_hf_I14__hip_bfloat16Li32ELi3ELi16ELi8ELi2ELi5EEviiiiiiPKT_S3_S3_PS1_ii
	.globl	_Z12wvSplitK_hf_I14__hip_bfloat16Li32ELi3ELi16ELi8ELi2ELi5EEviiiiiiPKT_S3_S3_PS1_ii
	.p2align	8
	.type	_Z12wvSplitK_hf_I14__hip_bfloat16Li32ELi3ELi16ELi8ELi2ELi5EEviiiiiiPKT_S3_S3_PS1_ii,@function
_Z12wvSplitK_hf_I14__hip_bfloat16Li32ELi3ELi16ELi8ELi2ELi5EEviiiiiiPKT_S3_S3_PS1_ii: ; @_Z12wvSplitK_hf_I14__hip_bfloat16Li32ELi3ELi16ELi8ELi2ELi5EEviiiiiiPKT_S3_S3_PS1_ii
; %bb.0:
	s_load_dwordx2 s[8:9], s[0:1], 0x38
	s_load_dwordx2 s[10:11], s[0:1], 0x20
	s_load_dwordx4 s[12:15], s[0:1], 0x0
	s_load_dwordx2 s[20:21], s[0:1], 0x10
	v_bfe_u32 v5, v0, 10, 10
	s_waitcnt lgkmcnt(0)
	s_mul_i32 s2, s2, s8
	v_add_u32_e32 v1, s2, v5
	v_lshl_add_u32 v130, v1, 1, v1
	s_mov_b32 s4, 1
	v_add_u32_e32 v1, 3, v130
	s_mov_b32 s6, s4
	v_cmp_gt_u32_e32 vcc, s15, v130
	v_cmp_le_u32_e64 s[2:3], s15, v1
	s_mov_b32 s5, s4
	v_mov_b32_e32 v126, s6
	s_and_b64 s[16:17], vcc, s[2:3]
	v_mov_b32_e32 v125, s5
	v_mov_b32_e32 v124, s4
	s_and_saveexec_b64 s[2:3], s[16:17]
	s_cbranch_execz .LBB285_6
; %bb.1:
	s_add_i32 s7, s15, -3
	v_mov_b32_e32 v126, s6
	v_cmp_ne_u32_e32 vcc, s7, v130
	v_mov_b32_e32 v125, s5
	v_mov_b32_e32 v124, s4
	s_and_saveexec_b64 s[16:17], vcc
	s_cbranch_execz .LBB285_5
; %bb.2:
	v_subrev_u32_e32 v1, s7, v130
	v_cmp_lt_u32_e32 vcc, 1, v1
	s_mov_b64 s[18:19], 0
	s_mov_b64 s[22:23], 0
	v_cndmask_b32_e32 v2, 1, v1, vcc
	s_mov_b32 s5, s4
	s_mov_b32 s6, s4
.LBB285_3:                              ; =>This Inner Loop Header: Depth=1
	s_cmp_lg_u32 s22, 2
	s_cselect_b32 s6, s6, 0
	s_cmp_lg_u32 s22, 1
	s_cselect_b32 s5, s5, 0
	;; [unrolled: 2-line block ×3, first 2 shown]
	s_add_u32 s22, s22, 1
	s_addc_u32 s23, s23, 0
	v_cmp_eq_u32_e32 vcc, s22, v2
	v_mov_b32_e32 v126, s6
	s_or_b64 s[18:19], vcc, s[18:19]
	v_mov_b32_e32 v125, s5
	v_mov_b32_e32 v124, s4
	s_andn2_b64 exec, exec, s[18:19]
	s_cbranch_execnz .LBB285_3
; %bb.4:
	s_or_b64 exec, exec, s[18:19]
	v_mov_b32_e32 v130, s7
.LBB285_5:
	s_or_b64 exec, exec, s[16:17]
.LBB285_6:
	s_or_b64 exec, exec, s[2:3]
	v_and_b32_e32 v4, 0x3ff, v0
	v_lshlrev_b32_e32 v128, 3, v4
	s_mul_i32 s2, s14, 5
	v_lshl_add_u32 v6, v5, 8, v128
	s_min_u32 s4, s2, 0x8000
	v_cmp_gt_u32_e32 vcc, s4, v6
	s_and_saveexec_b64 s[2:3], vcc
	s_cbranch_execz .LBB285_15
; %bb.7:
	v_lshlrev_b32_e32 v0, 1, v6
	global_load_dwordx4 v[8:11], v0, s[10:11]
	v_add_u32_e32 v1, 0x1000, v6
	v_cmp_gt_u32_e32 vcc, s4, v1
	s_waitcnt vmcnt(0)
	ds_write_b128 v0, v[8:11]
	s_and_saveexec_b64 s[6:7], vcc
	s_xor_b64 s[6:7], exec, s[6:7]
	s_cbranch_execz .LBB285_15
; %bb.8:
	v_mov_b32_e32 v1, 0
	v_lshl_add_u64 v[2:3], s[10:11], 0, v[0:1]
	v_add_co_u32_e32 v8, vcc, 0x2000, v2
	v_add_u32_e32 v1, 0x2000, v6
	s_nop 0
	v_addc_co_u32_e32 v9, vcc, 0, v3, vcc
	global_load_dwordx4 v[8:11], v[8:9], off
	v_cmp_gt_u32_e32 vcc, s4, v1
	s_waitcnt vmcnt(0)
	ds_write_b128 v0, v[8:11] offset:8192
	s_and_saveexec_b64 s[6:7], vcc
	s_xor_b64 s[6:7], exec, s[6:7]
	s_cbranch_execz .LBB285_15
; %bb.9:
	v_add_co_u32_e32 v8, vcc, 0x4000, v2
	v_add_u32_e32 v1, 0x3000, v6
	s_nop 0
	v_addc_co_u32_e32 v9, vcc, 0, v3, vcc
	global_load_dwordx4 v[8:11], v[8:9], off
	v_cmp_gt_u32_e32 vcc, s4, v1
	s_waitcnt vmcnt(0)
	ds_write_b128 v0, v[8:11] offset:16384
	s_and_saveexec_b64 s[6:7], vcc
	s_xor_b64 s[6:7], exec, s[6:7]
	s_cbranch_execz .LBB285_15
; %bb.10:
	;; [unrolled: 12-line block ×6, first 2 shown]
	v_add_co_u32_e32 v2, vcc, 0xe000, v2
	s_nop 1
	v_addc_co_u32_e32 v3, vcc, 0, v3, vcc
	global_load_dwordx4 v[6:9], v[2:3], off
	s_waitcnt vmcnt(0)
	ds_write_b128 v0, v[6:9] offset:57344
.LBB285_15:
	s_or_b64 exec, exec, s[2:3]
	v_cmp_gt_u32_e32 vcc, s8, v5
	v_cmp_gt_u32_e64 s[2:3], s15, v130
	s_and_b64 s[2:3], vcc, s[2:3]
	s_waitcnt lgkmcnt(0)
	s_barrier
	s_and_saveexec_b64 s[4:5], s[2:3]
	s_cbranch_execz .LBB285_164
; %bb.16:
	s_load_dwordx4 s[16:19], s[0:1], 0x28
	s_load_dwordx2 s[22:23], s[0:1], 0x18
	s_cmp_lg_u32 s12, 0
	s_cselect_b64 s[2:3], -1, 0
	s_add_i32 s33, s12, -8
	s_add_i32 s38, s15, -1
	s_waitcnt lgkmcnt(0)
	s_cmp_lg_u64 s[16:17], 0
	s_cselect_b64 s[26:27], -1, 0
	s_abs_i32 s4, s21
	v_cvt_f32_u32_e32 v0, s20
	v_cvt_f32_u32_e32 v1, s4
	s_sub_i32 s5, 0, s20
	s_add_i32 s40, s15, -3
	v_rcp_iflag_f32_e32 v0, v0
	v_rcp_iflag_f32_e32 v1, v1
	s_lshl_b32 s21, s14, 1
	v_lshlrev_b32_e32 v129, 4, v4
	v_mul_f32_e32 v0, 0x4f7ffffe, v0
	v_mul_f32_e32 v1, 0x4f7ffffe, v1
	v_cvt_u32_f32_e32 v0, v0
	v_cvt_u32_f32_e32 v1, v1
	s_mul_i32 s39, s8, s9
	v_cmp_eq_u32_e64 s[0:1], 31, v4
	v_mul_lo_u32 v2, s5, v0
	s_sub_i32 s5, 0, s4
	v_readfirstlane_b32 s6, v1
	s_mul_i32 s5, s5, s6
	s_mul_hi_u32 s5, s6, s5
	s_add_i32 s6, s6, s5
	s_sub_i32 s5, 1, s4
	s_cmp_lt_u32 s4, 2
	s_cselect_b32 s5, s5, 1
	s_sub_i32 s7, s5, s4
	s_cmp_ge_u32 s5, s4
	s_cselect_b32 s41, s7, s5
	s_lshr_b32 s5, s6, 31
	s_mul_i32 s5, s5, s4
	s_sub_i32 s5, 2, s5
	s_sub_i32 s7, s5, s4
	s_cmp_ge_u32 s5, s4
	s_cselect_b32 s5, s7, s5
	s_sub_i32 s7, s5, s4
	s_cmp_ge_u32 s5, s4
	s_cselect_b32 s42, s7, s5
	s_mul_hi_u32 s5, s6, 3
	s_mul_i32 s5, s5, s4
	s_sub_i32 s5, 3, s5
	s_sub_i32 s7, s5, s4
	s_cmp_ge_u32 s5, s4
	s_cselect_b32 s5, s7, s5
	s_sub_i32 s7, s5, s4
	s_cmp_ge_u32 s5, s4
	s_cselect_b32 s43, s7, s5
	s_lshr_b32 s5, s6, 30
	s_mul_i32 s5, s5, s4
	s_sub_i32 s5, 4, s5
	s_sub_i32 s6, s5, s4
	s_cmp_ge_u32 s5, s4
	s_cselect_b32 s5, s6, s5
	s_sub_i32 s6, s5, s4
	v_mul_hi_u32 v2, v0, v2
	s_cmp_ge_u32 s5, s4
	v_add_u32_e32 v127, v0, v2
	s_cselect_b32 s44, s6, s5
	s_lshl_b32 s45, s14, 2
	v_mad_u64_u32 v[134:135], s[4:5], s14, 3, v[128:129]
	v_cndmask_b32_e64 v0, 0, 1, s[2:3]
	s_mov_b64 s[24:25], 0
	s_mul_i32 s39, s39, 3
	v_mov_b32_e32 v133, 0
	s_mul_i32 s41, s41, s20
	s_mul_i32 s42, s42, s20
	;; [unrolled: 1-line block ×4, first 2 shown]
	v_add_u32_e32 v154, s21, v128
	s_mul_i32 s46, s14, 6
	s_lshl_b32 s47, s14, 3
	v_add_u32_e32 v135, s45, v128
	v_add_u32_e32 v155, s14, v128
	v_cmp_ne_u32_e64 s[2:3], 1, v0
	s_movk_i32 s14, 0x7fff
	s_mov_b32 s48, 0x7f800000
	s_mov_b32 s28, 0
	s_branch .LBB285_19
.LBB285_17:                             ;   in Loop: Header=BB285_19 Depth=1
	s_or_b64 exec, exec, s[8:9]
	v_mov_b32_e32 v130, s40
.LBB285_18:                             ;   in Loop: Header=BB285_19 Depth=1
	s_or_b64 exec, exec, s[6:7]
	v_cmp_le_u32_e32 vcc, s15, v130
	s_or_b64 s[24:25], vcc, s[24:25]
	s_andn2_b64 exec, exec, s[24:25]
	s_cbranch_execz .LBB285_164
.LBB285_19:                             ; =>This Loop Header: Depth=1
                                        ;     Child Loop BB285_24 Depth 2
                                        ;     Child Loop BB285_162 Depth 2
	s_and_b64 vcc, exec, s[2:3]
	v_add_u32_e32 v138, 1, v130
	v_add_u32_e32 v136, 2, v130
	s_waitcnt vmcnt(2)
	v_mov_b32_e32 v11, v133
	s_waitcnt vmcnt(1)
	v_mov_b32_e32 v10, v133
	v_mov_b32_e32 v9, v133
	s_waitcnt vmcnt(0)
	v_mov_b32_e32 v8, v133
	v_mov_b32_e32 v3, v133
	;; [unrolled: 1-line block ×57, first 2 shown]
	s_cbranch_vccnz .LBB285_66
; %bb.20:                               ;   in Loop: Header=BB285_19 Depth=1
	v_min_u32_e32 v0, s38, v130
	v_mul_lo_u32 v132, v0, s13
	v_min_u32_e32 v0, s38, v138
	v_min_u32_e32 v2, s38, v136
	v_mul_lo_u32 v0, v0, s13
	v_mov_b32_e32 v1, v133
	v_mul_lo_u32 v2, v2, s13
	v_mov_b32_e32 v3, v133
	v_mov_b32_e32 v24, 0
	s_mov_b32 s4, 0
	v_lshlrev_b64 v[140:141], 1, v[132:133]
	v_lshlrev_b64 v[142:143], 1, v[0:1]
	;; [unrolled: 1-line block ×3, first 2 shown]
	v_mov_b32_e32 v131, v129
	s_mov_b32 s34, 0
	v_mov_b32_e32 v25, v24
	v_mov_b32_e32 v26, v24
	;; [unrolled: 1-line block ×59, first 2 shown]
	s_branch .LBB285_24
.LBB285_21:                             ;   in Loop: Header=BB285_24 Depth=2
	s_or_b64 exec, exec, s[30:31]
.LBB285_22:                             ;   in Loop: Header=BB285_24 Depth=2
	s_or_b64 exec, exec, s[8:9]
.LBB285_23:                             ;   in Loop: Header=BB285_24 Depth=2
	s_or_b64 exec, exec, s[6:7]
	s_waitcnt vmcnt(0) lgkmcnt(0)
	v_mfma_f32_4x4x4_16b_bf16 v[56:59], v[84:85], v[68:69], v[56:59]
	s_addk_i32 s34, 0x200
	v_mfma_f32_4x4x4_16b_bf16 v[52:55], v[84:85], v[64:65], v[52:55]
	v_add_u32_e32 v131, 0x400, v131
	v_mfma_f32_4x4x4_16b_bf16 v[48:51], v[84:85], v[76:77], v[48:51]
	s_cmp_ge_u32 s34, s12
	v_mfma_f32_4x4x4_16b_bf16 v[44:47], v[88:89], v[68:69], v[44:47]
	v_mfma_f32_4x4x4_16b_bf16 v[40:43], v[88:89], v[64:65], v[40:43]
	v_mfma_f32_4x4x4_16b_bf16 v[36:39], v[88:89], v[76:77], v[36:39]
	v_mfma_f32_4x4x4_16b_bf16 v[32:35], v[92:93], v[68:69], v[32:35]
	v_mfma_f32_4x4x4_16b_bf16 v[28:31], v[92:93], v[64:65], v[28:31]
	v_mfma_f32_4x4x4_16b_bf16 v[24:27], v[92:93], v[76:77], v[24:27]
	v_mfma_f32_4x4x4_16b_bf16 v[20:23], v[96:97], v[68:69], v[20:23]
	v_mfma_f32_4x4x4_16b_bf16 v[16:19], v[96:97], v[64:65], v[16:19]
	v_mfma_f32_4x4x4_16b_bf16 v[12:15], v[96:97], v[76:77], v[12:15]
	v_mfma_f32_4x4x4_16b_bf16 v[4:7], v[100:101], v[68:69], v[4:7]
	v_mfma_f32_4x4x4_16b_bf16 v[0:3], v[100:101], v[64:65], v[0:3]
	v_mfma_f32_4x4x4_16b_bf16 v[8:11], v[100:101], v[76:77], v[8:11]
	v_mfma_f32_4x4x4_16b_bf16 v[56:59], v[86:87], v[70:71], v[56:59]
	v_mfma_f32_4x4x4_16b_bf16 v[52:55], v[86:87], v[66:67], v[52:55]
	v_mfma_f32_4x4x4_16b_bf16 v[48:51], v[86:87], v[78:79], v[48:51]
	v_mfma_f32_4x4x4_16b_bf16 v[44:47], v[90:91], v[70:71], v[44:47]
	v_mfma_f32_4x4x4_16b_bf16 v[40:43], v[90:91], v[66:67], v[40:43]
	v_mfma_f32_4x4x4_16b_bf16 v[36:39], v[90:91], v[78:79], v[36:39]
	v_mfma_f32_4x4x4_16b_bf16 v[32:35], v[94:95], v[70:71], v[32:35]
	v_mfma_f32_4x4x4_16b_bf16 v[28:31], v[94:95], v[66:67], v[28:31]
	v_mfma_f32_4x4x4_16b_bf16 v[24:27], v[94:95], v[78:79], v[24:27]
	v_mfma_f32_4x4x4_16b_bf16 v[20:23], v[98:99], v[70:71], v[20:23]
	v_mfma_f32_4x4x4_16b_bf16 v[16:19], v[98:99], v[66:67], v[16:19]
	v_mfma_f32_4x4x4_16b_bf16 v[12:15], v[98:99], v[78:79], v[12:15]
	v_mfma_f32_4x4x4_16b_bf16 v[4:7], v[102:103], v[70:71], v[4:7]
	v_mfma_f32_4x4x4_16b_bf16 v[0:3], v[102:103], v[66:67], v[0:3]
	v_mfma_f32_4x4x4_16b_bf16 v[8:11], v[102:103], v[78:79], v[8:11]
	v_mfma_f32_4x4x4_16b_bf16 v[56:59], v[104:105], v[72:73], v[56:59]
	v_mfma_f32_4x4x4_16b_bf16 v[52:55], v[104:105], v[80:81], v[52:55]
	v_mfma_f32_4x4x4_16b_bf16 v[48:51], v[104:105], v[60:61], v[48:51]
	v_mfma_f32_4x4x4_16b_bf16 v[44:47], v[108:109], v[72:73], v[44:47]
	v_mfma_f32_4x4x4_16b_bf16 v[40:43], v[108:109], v[80:81], v[40:43]
	v_mfma_f32_4x4x4_16b_bf16 v[36:39], v[108:109], v[60:61], v[36:39]
	v_mfma_f32_4x4x4_16b_bf16 v[32:35], v[116:117], v[72:73], v[32:35]
	v_mfma_f32_4x4x4_16b_bf16 v[28:31], v[116:117], v[80:81], v[28:31]
	v_mfma_f32_4x4x4_16b_bf16 v[24:27], v[116:117], v[60:61], v[24:27]
	v_mfma_f32_4x4x4_16b_bf16 v[20:23], v[120:121], v[72:73], v[20:23]
	v_mfma_f32_4x4x4_16b_bf16 v[16:19], v[120:121], v[80:81], v[16:19]
	v_mfma_f32_4x4x4_16b_bf16 v[12:15], v[120:121], v[60:61], v[12:15]
	v_mfma_f32_4x4x4_16b_bf16 v[4:7], v[112:113], v[72:73], v[4:7]
	v_mfma_f32_4x4x4_16b_bf16 v[0:3], v[112:113], v[80:81], v[0:3]
	v_mfma_f32_4x4x4_16b_bf16 v[8:11], v[112:113], v[60:61], v[8:11]
	v_mfma_f32_4x4x4_16b_bf16 v[56:59], v[106:107], v[74:75], v[56:59]
	v_mfma_f32_4x4x4_16b_bf16 v[52:55], v[106:107], v[82:83], v[52:55]
	v_mfma_f32_4x4x4_16b_bf16 v[48:51], v[106:107], v[62:63], v[48:51]
	v_mfma_f32_4x4x4_16b_bf16 v[44:47], v[110:111], v[74:75], v[44:47]
	v_mfma_f32_4x4x4_16b_bf16 v[40:43], v[110:111], v[82:83], v[40:43]
	v_mfma_f32_4x4x4_16b_bf16 v[36:39], v[110:111], v[62:63], v[36:39]
	v_mfma_f32_4x4x4_16b_bf16 v[32:35], v[118:119], v[74:75], v[32:35]
	v_mfma_f32_4x4x4_16b_bf16 v[28:31], v[118:119], v[82:83], v[28:31]
	v_mfma_f32_4x4x4_16b_bf16 v[24:27], v[118:119], v[62:63], v[24:27]
	v_mfma_f32_4x4x4_16b_bf16 v[20:23], v[122:123], v[74:75], v[20:23]
	v_mfma_f32_4x4x4_16b_bf16 v[16:19], v[122:123], v[82:83], v[16:19]
	v_mfma_f32_4x4x4_16b_bf16 v[12:15], v[122:123], v[62:63], v[12:15]
	v_mfma_f32_4x4x4_16b_bf16 v[4:7], v[114:115], v[74:75], v[4:7]
	v_mfma_f32_4x4x4_16b_bf16 v[0:3], v[114:115], v[82:83], v[0:3]
	v_mfma_f32_4x4x4_16b_bf16 v[8:11], v[114:115], v[62:63], v[8:11]
	s_cbranch_scc1 .LBB285_66
.LBB285_24:                             ;   Parent Loop BB285_19 Depth=1
                                        ; =>  This Inner Loop Header: Depth=2
	v_add_u32_e32 v148, s34, v128
	v_min_u32_e32 v132, s33, v148
	v_lshl_add_u64 v[60:61], v[132:133], 1, s[22:23]
	v_add_u32_e32 v146, 0x100, v148
	v_lshl_add_u64 v[62:63], v[60:61], 0, v[140:141]
	v_min_u32_e32 v132, s33, v146
	v_lshl_add_u64 v[72:73], v[60:61], 0, v[142:143]
	global_load_dwordx4 v[68:71], v[62:63], off nt
	global_load_dwordx4 v[64:67], v[72:73], off nt
	v_lshl_add_u64 v[62:63], v[132:133], 1, s[22:23]
	v_lshl_add_u64 v[60:61], v[60:61], 0, v[144:145]
	;; [unrolled: 1-line block ×4, first 2 shown]
	global_load_dwordx4 v[76:79], v[60:61], off nt
	global_load_dwordx4 v[72:75], v[80:81], off nt
	v_lshl_add_u64 v[86:87], v[62:63], 0, v[144:145]
	global_load_dwordx4 v[80:83], v[84:85], off nt
	global_load_dwordx4 v[60:63], v[86:87], off nt
	s_mov_b32 s5, s4
	v_cmp_gt_u32_e32 vcc, s12, v148
	v_mov_b64_e32 v[84:85], s[4:5]
	v_mov_b32_e32 v113, 0
	v_mov_b32_e32 v112, 0
	;; [unrolled: 1-line block ×4, first 2 shown]
	v_mov_b64_e32 v[86:87], s[4:5]
	v_mov_b64_e32 v[104:105], s[4:5]
	;; [unrolled: 1-line block ×17, first 2 shown]
	s_and_saveexec_b64 s[6:7], vcc
	s_cbranch_execz .LBB285_23
; %bb.25:                               ;   in Loop: Header=BB285_24 Depth=2
	v_cmp_lt_u32_e32 vcc, s14, v148
                                        ; implicit-def: $vgpr84_vgpr85
	s_and_saveexec_b64 s[8:9], vcc
	s_xor_b64 s[8:9], exec, s[8:9]
	s_cbranch_execz .LBB285_27
; %bb.26:                               ;   in Loop: Header=BB285_24 Depth=2
	v_mov_b32_e32 v149, v133
	v_lshl_add_u64 v[84:85], v[148:149], 1, s[10:11]
	global_load_dwordx4 v[84:87], v[84:85], off
.LBB285_27:                             ;   in Loop: Header=BB285_24 Depth=2
	s_andn2_saveexec_b64 s[8:9], s[8:9]
	s_cbranch_execz .LBB285_29
; %bb.28:                               ;   in Loop: Header=BB285_24 Depth=2
	s_waitcnt vmcnt(0)
	ds_read_b128 v[84:87], v131
.LBB285_29:                             ;   in Loop: Header=BB285_24 Depth=2
	s_or_b64 exec, exec, s[8:9]
	v_add_u32_e32 v132, s34, v155
	v_cmp_lt_u32_e32 vcc, s14, v132
                                        ; implicit-def: $vgpr88_vgpr89
	s_and_saveexec_b64 s[8:9], vcc
	s_xor_b64 s[8:9], exec, s[8:9]
	s_cbranch_execz .LBB285_31
; %bb.30:                               ;   in Loop: Header=BB285_24 Depth=2
	v_lshl_add_u64 v[88:89], v[132:133], 1, s[10:11]
	global_load_dwordx4 v[88:91], v[88:89], off
.LBB285_31:                             ;   in Loop: Header=BB285_24 Depth=2
	s_andn2_saveexec_b64 s[8:9], s[8:9]
	s_cbranch_execz .LBB285_33
; %bb.32:                               ;   in Loop: Header=BB285_24 Depth=2
	s_waitcnt vmcnt(0)
	v_add_u32_e32 v88, s21, v131
	ds_read_b128 v[88:91], v88
.LBB285_33:                             ;   in Loop: Header=BB285_24 Depth=2
	s_or_b64 exec, exec, s[8:9]
	v_add_u32_e32 v152, s34, v154
	v_cmp_lt_u32_e32 vcc, s14, v152
                                        ; implicit-def: $vgpr92_vgpr93
	s_and_saveexec_b64 s[8:9], vcc
	s_xor_b64 s[8:9], exec, s[8:9]
	s_cbranch_execz .LBB285_35
; %bb.34:                               ;   in Loop: Header=BB285_24 Depth=2
	v_mov_b32_e32 v153, v133
	v_lshl_add_u64 v[92:93], v[152:153], 1, s[10:11]
	global_load_dwordx4 v[92:95], v[92:93], off
.LBB285_35:                             ;   in Loop: Header=BB285_24 Depth=2
	s_andn2_saveexec_b64 s[8:9], s[8:9]
	s_cbranch_execz .LBB285_37
; %bb.36:                               ;   in Loop: Header=BB285_24 Depth=2
	s_waitcnt vmcnt(0)
	v_add_u32_e32 v94, s45, v131
	ds_read2_b32 v[92:93], v94 offset1:1
	ds_read2_b32 v[94:95], v94 offset0:2 offset1:3
.LBB285_37:                             ;   in Loop: Header=BB285_24 Depth=2
	s_or_b64 exec, exec, s[8:9]
	v_add_u32_e32 v150, s34, v134
	v_cmp_lt_u32_e32 vcc, s14, v150
                                        ; implicit-def: $vgpr96_vgpr97
	s_and_saveexec_b64 s[8:9], vcc
	s_xor_b64 s[8:9], exec, s[8:9]
	s_cbranch_execz .LBB285_39
; %bb.38:                               ;   in Loop: Header=BB285_24 Depth=2
	v_mov_b32_e32 v151, v133
	v_lshl_add_u64 v[96:97], v[150:151], 1, s[10:11]
	global_load_dwordx4 v[96:99], v[96:97], off
.LBB285_39:                             ;   in Loop: Header=BB285_24 Depth=2
	s_andn2_saveexec_b64 s[8:9], s[8:9]
	s_cbranch_execz .LBB285_41
; %bb.40:                               ;   in Loop: Header=BB285_24 Depth=2
	s_waitcnt vmcnt(0)
	v_add_u32_e32 v96, s46, v131
	ds_read_b128 v[96:99], v96
.LBB285_41:                             ;   in Loop: Header=BB285_24 Depth=2
	s_or_b64 exec, exec, s[8:9]
	v_add_u32_e32 v148, s34, v135
	v_cmp_lt_u32_e32 vcc, s14, v148
                                        ; implicit-def: $vgpr100_vgpr101
	s_and_saveexec_b64 s[8:9], vcc
	s_xor_b64 s[8:9], exec, s[8:9]
	s_cbranch_execz .LBB285_43
; %bb.42:                               ;   in Loop: Header=BB285_24 Depth=2
	v_mov_b32_e32 v149, v133
	v_lshl_add_u64 v[100:101], v[148:149], 1, s[10:11]
	global_load_dwordx4 v[100:103], v[100:101], off
.LBB285_43:                             ;   in Loop: Header=BB285_24 Depth=2
	s_andn2_saveexec_b64 s[8:9], s[8:9]
	s_cbranch_execz .LBB285_45
; %bb.44:                               ;   in Loop: Header=BB285_24 Depth=2
	s_waitcnt vmcnt(0)
	v_add_u32_e32 v100, s47, v131
	ds_read2_b64 v[100:103], v100 offset1:1
.LBB285_45:                             ;   in Loop: Header=BB285_24 Depth=2
	s_or_b64 exec, exec, s[8:9]
	s_mov_b32 s29, s28
	v_cmp_gt_u32_e32 vcc, s12, v146
	v_mov_b32_e32 v113, 0
	v_mov_b64_e32 v[104:105], s[28:29]
	v_mov_b32_e32 v112, 0
	v_mov_b32_e32 v115, 0
	;; [unrolled: 1-line block ×3, first 2 shown]
	v_mov_b64_e32 v[106:107], s[28:29]
	v_mov_b64_e32 v[108:109], s[28:29]
	;; [unrolled: 1-line block ×7, first 2 shown]
	s_and_saveexec_b64 s[8:9], vcc
	s_cbranch_execz .LBB285_22
; %bb.46:                               ;   in Loop: Header=BB285_24 Depth=2
	v_cmp_lt_u32_e32 vcc, s14, v146
                                        ; implicit-def: $vgpr104_vgpr105
	s_and_saveexec_b64 s[30:31], vcc
	s_xor_b64 s[30:31], exec, s[30:31]
	s_cbranch_execz .LBB285_48
; %bb.47:                               ;   in Loop: Header=BB285_24 Depth=2
	v_mov_b32_e32 v147, v133
	v_lshl_add_u64 v[104:105], v[146:147], 1, s[10:11]
	global_load_dwordx4 v[104:107], v[104:105], off
.LBB285_48:                             ;   in Loop: Header=BB285_24 Depth=2
	s_andn2_saveexec_b64 s[30:31], s[30:31]
	s_cbranch_execz .LBB285_50
; %bb.49:                               ;   in Loop: Header=BB285_24 Depth=2
	s_waitcnt vmcnt(0)
	ds_read_b128 v[104:107], v131 offset:512
.LBB285_50:                             ;   in Loop: Header=BB285_24 Depth=2
	s_or_b64 exec, exec, s[30:31]
	v_add_u32_e32 v132, 0x100, v132
	v_cmp_lt_u32_e32 vcc, s14, v132
                                        ; implicit-def: $vgpr108_vgpr109
	s_and_saveexec_b64 s[30:31], vcc
	s_xor_b64 s[30:31], exec, s[30:31]
	s_cbranch_execz .LBB285_52
; %bb.51:                               ;   in Loop: Header=BB285_24 Depth=2
	v_lshl_add_u64 v[108:109], v[132:133], 1, s[10:11]
	global_load_dwordx4 v[108:111], v[108:109], off
.LBB285_52:                             ;   in Loop: Header=BB285_24 Depth=2
	s_andn2_saveexec_b64 s[30:31], s[30:31]
	s_cbranch_execz .LBB285_54
; %bb.53:                               ;   in Loop: Header=BB285_24 Depth=2
	s_waitcnt vmcnt(0)
	v_add_u32_e32 v108, s21, v131
	ds_read_b128 v[108:111], v108 offset:512
.LBB285_54:                             ;   in Loop: Header=BB285_24 Depth=2
	s_or_b64 exec, exec, s[30:31]
	v_add_u32_e32 v132, 0x100, v152
	v_cmp_lt_u32_e32 vcc, s14, v132
                                        ; implicit-def: $vgpr116_vgpr117
	s_and_saveexec_b64 s[30:31], vcc
	s_xor_b64 s[30:31], exec, s[30:31]
	s_cbranch_execz .LBB285_56
; %bb.55:                               ;   in Loop: Header=BB285_24 Depth=2
	v_lshl_add_u64 v[112:113], v[132:133], 1, s[10:11]
	global_load_dwordx4 v[116:119], v[112:113], off
.LBB285_56:                             ;   in Loop: Header=BB285_24 Depth=2
	s_andn2_saveexec_b64 s[30:31], s[30:31]
	s_cbranch_execz .LBB285_58
; %bb.57:                               ;   in Loop: Header=BB285_24 Depth=2
	v_add_u32_e32 v112, s45, v131
	s_waitcnt vmcnt(0)
	ds_read2_b32 v[116:117], v112 offset0:128 offset1:129
	ds_read2_b32 v[118:119], v112 offset0:130 offset1:131
.LBB285_58:                             ;   in Loop: Header=BB285_24 Depth=2
	s_or_b64 exec, exec, s[30:31]
	v_add_u32_e32 v132, 0x100, v150
	v_cmp_lt_u32_e32 vcc, s14, v132
                                        ; implicit-def: $vgpr120_vgpr121
	s_and_saveexec_b64 s[30:31], vcc
	s_xor_b64 s[30:31], exec, s[30:31]
	s_cbranch_execz .LBB285_60
; %bb.59:                               ;   in Loop: Header=BB285_24 Depth=2
	v_lshl_add_u64 v[112:113], v[132:133], 1, s[10:11]
	global_load_dwordx4 v[120:123], v[112:113], off
.LBB285_60:                             ;   in Loop: Header=BB285_24 Depth=2
	s_andn2_saveexec_b64 s[30:31], s[30:31]
	s_cbranch_execz .LBB285_62
; %bb.61:                               ;   in Loop: Header=BB285_24 Depth=2
	v_add_u32_e32 v112, s46, v131
	s_waitcnt vmcnt(0)
	ds_read_b128 v[120:123], v112 offset:512
.LBB285_62:                             ;   in Loop: Header=BB285_24 Depth=2
	s_or_b64 exec, exec, s[30:31]
	v_add_u32_e32 v132, 0x100, v148
	v_cmp_lt_u32_e32 vcc, s14, v132
                                        ; implicit-def: $vgpr113
	s_and_saveexec_b64 s[30:31], vcc
	s_xor_b64 s[30:31], exec, s[30:31]
	s_cbranch_execz .LBB285_64
; %bb.63:                               ;   in Loop: Header=BB285_24 Depth=2
	v_lshl_add_u64 v[112:113], v[132:133], 1, s[10:11]
	global_load_dwordx4 v[112:115], v[112:113], off
.LBB285_64:                             ;   in Loop: Header=BB285_24 Depth=2
	s_andn2_saveexec_b64 s[30:31], s[30:31]
	s_cbranch_execz .LBB285_21
; %bb.65:                               ;   in Loop: Header=BB285_24 Depth=2
	s_waitcnt vmcnt(0)
	v_add_u32_e32 v112, s47, v131
	ds_read2_b64 v[112:115], v112 offset0:64 offset1:65
	s_branch .LBB285_21
.LBB285_66:                             ;   in Loop: Header=BB285_19 Depth=1
	v_cvt_i32_f32_e32 v57, v57
	v_cvt_i32_f32_e32 v58, v58
	;; [unrolled: 1-line block ×4, first 2 shown]
	v_cvt_f32_i32_dpp v57, v57 row_shl:1 row_mask:0xf bank_mask:0xf bound_ctrl:1
	v_cvt_f32_i32_dpp v58, v58 row_shl:2 row_mask:0xf bank_mask:0xf bound_ctrl:1
	;; [unrolled: 1-line block ×3, first 2 shown]
	v_cvt_i32_f32_e32 v54, v54
	v_add_f32_e32 v56, v56, v57
	v_add_f32_e32 v56, v56, v58
	v_cvt_i32_f32_e32 v55, v55
	v_add_f32_e32 v56, v56, v59
	v_cvt_i32_f32_e32 v57, v56
	v_cvt_f32_i32_dpp v53, v53 row_shl:1 row_mask:0xf bank_mask:0xf bound_ctrl:1
	v_cvt_f32_i32_dpp v54, v54 row_shl:2 row_mask:0xf bank_mask:0xf bound_ctrl:1
	;; [unrolled: 1-line block ×4, first 2 shown]
	v_add_f32_e32 v52, v52, v53
	v_add_f32_e32 v52, v52, v54
	;; [unrolled: 1-line block ×3, first 2 shown]
	v_cvt_i32_f32_e32 v54, v52
	v_add_f32_e32 v53, v56, v57
	v_cvt_i32_f32_e32 v56, v53
	v_cvt_i32_f32_e32 v49, v49
	v_cvt_f32_i32_dpp v54, v54 row_shl:4 row_mask:0xf bank_mask:0xf bound_ctrl:1
	v_cvt_i32_f32_e32 v50, v50
	v_cvt_f32_i32_dpp v55, v56 row_shl:8 row_mask:0xf bank_mask:0xf bound_ctrl:1
	v_cvt_i32_f32_e32 v51, v51
	v_add_f32_e32 v52, v52, v54
	v_cvt_i32_f32_e32 v54, v52
	v_add_f32_e32 v53, v53, v55
	v_cvt_f32_i32_dpp v49, v49 row_shl:1 row_mask:0xf bank_mask:0xf bound_ctrl:1
	v_cvt_i32_f32_e32 v53, v53
	v_cvt_f32_i32_dpp v50, v50 row_shl:2 row_mask:0xf bank_mask:0xf bound_ctrl:1
	v_cvt_f32_i32_dpp v51, v51 row_shl:3 row_mask:0xf bank_mask:0xf bound_ctrl:1
	;; [unrolled: 1-line block ×3, first 2 shown]
	v_add_f32_e32 v48, v48, v49
	v_cvt_f32_i32_dpp v53, v53 row_shr:15 row_mask:0xf bank_mask:0xf bound_ctrl:1
	v_add_f32_e32 v48, v48, v50
	v_add_f32_e32 v51, v48, v51
	;; [unrolled: 1-line block ×3, first 2 shown]
	v_cvt_i32_f32_e32 v52, v51
	v_cvt_i32_f32_e32 v55, v53
	;; [unrolled: 1-line block ×4, first 2 shown]
	v_cvt_f32_i32_dpp v52, v52 row_shl:4 row_mask:0xf bank_mask:0xf bound_ctrl:1
	v_cvt_i32_f32_e32 v47, v47
	v_cvt_f32_i32_dpp v50, v55 row_bcast:15 row_mask:0xf bank_mask:0xf bound_ctrl:1
	v_cvt_i32_f32_e32 v49, v49
	v_cvt_f32_i32_dpp v45, v45 row_shl:1 row_mask:0xf bank_mask:0xf bound_ctrl:1
	v_cvt_f32_i32_dpp v46, v46 row_shl:2 row_mask:0xf bank_mask:0xf bound_ctrl:1
	v_add_f32_e32 v51, v51, v52
	v_cvt_f32_i32_dpp v47, v47 row_shl:3 row_mask:0xf bank_mask:0xf bound_ctrl:1
	v_cvt_i32_f32_e32 v52, v51
	v_add_f32_e32 v48, v53, v50
	v_cvt_f32_i32_dpp v50, v49 row_shr:15 row_mask:0xf bank_mask:0xf bound_ctrl:1
	v_add_f32_e32 v44, v44, v45
	v_add_f32_e32 v44, v44, v46
	v_add_f32_e32 v45, v44, v47
	v_cvt_f32_i32_dpp v52, v52 row_shl:8 row_mask:0xf bank_mask:0xf bound_ctrl:1
	v_cvt_i32_f32_e32 v44, v45
	v_cvt_i32_f32_e32 v53, v50
	;; [unrolled: 1-line block ×4, first 2 shown]
	v_add_f32_e32 v47, v51, v52
	v_cvt_f32_i32_dpp v51, v44 row_shl:4 row_mask:0xf bank_mask:0xf bound_ctrl:1
	v_cvt_i32_f32_e32 v43, v43
	v_cvt_f32_i32_dpp v46, v53 row_bcast:15 row_mask:0xf bank_mask:0xf bound_ctrl:1
	v_cvt_f32_i32_dpp v41, v41 row_shl:1 row_mask:0xf bank_mask:0xf bound_ctrl:1
	v_cvt_f32_i32_dpp v42, v42 row_shl:2 row_mask:0xf bank_mask:0xf bound_ctrl:1
	v_add_f32_e32 v45, v45, v51
	v_cvt_f32_i32_dpp v43, v43 row_shl:3 row_mask:0xf bank_mask:0xf bound_ctrl:1
	v_add_f32_e32 v44, v50, v46
	v_cvt_i32_f32_e32 v50, v45
	v_add_f32_e32 v40, v40, v41
	v_add_f32_e32 v40, v40, v42
	;; [unrolled: 1-line block ×3, first 2 shown]
	v_cvt_f32_i32_dpp v50, v50 row_shl:8 row_mask:0xf bank_mask:0xf bound_ctrl:1
	v_cvt_i32_f32_e32 v41, v40
	v_cvt_i32_f32_e32 v47, v47
	;; [unrolled: 1-line block ×3, first 2 shown]
	v_add_f32_e32 v43, v45, v50
	v_cvt_f32_i32_dpp v45, v41 row_shl:4 row_mask:0xf bank_mask:0xf bound_ctrl:1
	v_cvt_f32_i32_dpp v47, v47 row_shr:15 row_mask:0xf bank_mask:0xf bound_ctrl:1
	v_cvt_i32_f32_e32 v37, v37
	v_cvt_i32_f32_e32 v38, v38
	v_add_f32_e32 v45, v40, v45
	v_cvt_i32_f32_e32 v42, v47
	v_mov_b32_dpp v41, v46 row_bcast:31 row_mask:0xf bank_mask:0xf bound_ctrl:1
	v_cvt_i32_f32_e32 v46, v45
	v_cvt_i32_f32_e32 v39, v39
	v_cvt_f32_i32_dpp v37, v37 row_shl:1 row_mask:0xf bank_mask:0xf bound_ctrl:1
	v_cvt_f32_i32_dpp v38, v38 row_shl:2 row_mask:0xf bank_mask:0xf bound_ctrl:1
	v_cvt_f32_i32_dpp v42, v42 row_bcast:15 row_mask:0xf bank_mask:0xf bound_ctrl:1
	v_cvt_f32_i32_dpp v46, v46 row_shl:8 row_mask:0xf bank_mask:0xf bound_ctrl:1
	v_cvt_f32_i32_dpp v39, v39 row_shl:3 row_mask:0xf bank_mask:0xf bound_ctrl:1
	v_cvt_i32_f32_e32 v43, v43
	v_add_f32_e32 v36, v36, v37
	v_add_f32_e32 v36, v36, v38
	;; [unrolled: 1-line block ×5, first 2 shown]
	v_cvt_i32_f32_e32 v42, v40
	v_cvt_i32_f32_e32 v45, v45
	;; [unrolled: 1-line block ×3, first 2 shown]
	v_cvt_f32_i32_dpp v43, v43 row_shr:15 row_mask:0xf bank_mask:0xf bound_ctrl:1
	v_cvt_i32_f32_e32 v33, v33
	v_cvt_i32_f32_e32 v34, v34
	v_mov_b32_dpp v37, v42 row_bcast:31 row_mask:0xf bank_mask:0xf bound_ctrl:1
	v_cvt_f32_i32_dpp v42, v45 row_shr:15 row_mask:0xf bank_mask:0xf bound_ctrl:1
	v_cvt_f32_i32_dpp v45, v36 row_shl:4 row_mask:0xf bank_mask:0xf bound_ctrl:1
	v_cvt_i32_f32_e32 v35, v35
	v_cvt_i32_f32_e32 v47, v43
	v_cvt_f32_i32_dpp v33, v33 row_shl:1 row_mask:0xf bank_mask:0xf bound_ctrl:1
	v_cvt_f32_i32_dpp v34, v34 row_shl:2 row_mask:0xf bank_mask:0xf bound_ctrl:1
	v_add_f32_e32 v38, v38, v45
	v_cvt_f32_i32_dpp v35, v35 row_shl:3 row_mask:0xf bank_mask:0xf bound_ctrl:1
	v_cvt_f32_i32_dpp v39, v47 row_bcast:15 row_mask:0xf bank_mask:0xf bound_ctrl:1
	v_cvt_i32_f32_e32 v45, v38
	v_add_f32_e32 v32, v32, v33
	v_add_f32_e32 v32, v32, v34
	;; [unrolled: 1-line block ×3, first 2 shown]
	v_cvt_i32_f32_e32 v29, v29
	v_add_f32_e32 v36, v43, v39
	v_cvt_i32_f32_e32 v43, v42
	v_cvt_f32_i32_dpp v45, v45 row_shl:8 row_mask:0xf bank_mask:0xf bound_ctrl:1
	v_cvt_i32_f32_e32 v32, v34
	v_cvt_i32_f32_e32 v30, v30
	;; [unrolled: 1-line block ×3, first 2 shown]
	v_cvt_f32_i32_dpp v29, v29 row_shl:1 row_mask:0xf bank_mask:0xf bound_ctrl:1
	v_cvt_f32_i32_dpp v35, v43 row_bcast:15 row_mask:0xf bank_mask:0xf bound_ctrl:1
	v_add_f32_e32 v33, v38, v45
	v_cvt_f32_i32_dpp v43, v32 row_shl:4 row_mask:0xf bank_mask:0xf bound_ctrl:1
	v_cvt_f32_i32_dpp v30, v30 row_shl:2 row_mask:0xf bank_mask:0xf bound_ctrl:1
	v_cvt_i32_f32_e32 v38, v33
	v_cvt_f32_i32_dpp v31, v31 row_shl:3 row_mask:0xf bank_mask:0xf bound_ctrl:1
	v_add_f32_e32 v28, v28, v29
	v_add_f32_e32 v34, v34, v43
	;; [unrolled: 1-line block ×4, first 2 shown]
	v_cvt_f32_i32_dpp v35, v38 row_shr:15 row_mask:0xf bank_mask:0xf bound_ctrl:1
	v_cvt_i32_f32_e32 v38, v34
	v_add_f32_e32 v28, v28, v31
	v_cvt_i32_f32_e32 v29, v28
	v_cvt_i32_f32_e32 v30, v35
	v_cvt_f32_i32_dpp v38, v38 row_shl:8 row_mask:0xf bank_mask:0xf bound_ctrl:1
	v_cvt_i32_f32_e32 v25, v25
	v_cvt_f32_i32_dpp v29, v29 row_shl:4 row_mask:0xf bank_mask:0xf bound_ctrl:1
	v_cvt_i32_f32_e32 v26, v26
	v_add_f32_e32 v31, v34, v38
	v_cvt_i32_f32_e32 v31, v31
	v_cvt_f32_i32_dpp v30, v30 row_bcast:15 row_mask:0xf bank_mask:0xf bound_ctrl:1
	v_add_f32_e32 v38, v28, v29
	v_cvt_i32_f32_e32 v27, v27
	v_cvt_i32_f32_e32 v29, v38
	v_cvt_f32_i32_dpp v25, v25 row_shl:1 row_mask:0xf bank_mask:0xf bound_ctrl:1
	v_cvt_f32_i32_dpp v26, v26 row_shl:2 row_mask:0xf bank_mask:0xf bound_ctrl:1
	v_cvt_i32_f32_e32 v39, v36
	v_cvt_f32_i32_dpp v31, v31 row_shr:15 row_mask:0xf bank_mask:0xf bound_ctrl:1
	v_add_f32_e32 v28, v35, v30
	v_cvt_f32_i32_dpp v27, v27 row_shl:3 row_mask:0xf bank_mask:0xf bound_ctrl:1
	v_cvt_i32_f32_e32 v35, v28
	v_cvt_f32_i32_dpp v42, v29 row_shl:8 row_mask:0xf bank_mask:0xf bound_ctrl:1
	v_add_f32_e32 v24, v24, v25
	v_cvt_i32_f32_e32 v21, v21
	v_add_f32_e32 v24, v24, v26
	v_cvt_i32_f32_e32 v22, v22
	v_mov_b32_dpp v33, v39 row_bcast:31 row_mask:0xf bank_mask:0xf bound_ctrl:1
	v_cvt_i32_f32_e32 v34, v32
	v_cvt_i32_f32_e32 v39, v31
	v_add_f32_e32 v25, v24, v27
	v_cvt_i32_f32_e32 v23, v23
	v_mov_b32_dpp v29, v35 row_bcast:31 row_mask:0xf bank_mask:0xf bound_ctrl:1
	v_add_f32_e32 v35, v38, v42
	v_cvt_i32_f32_e32 v26, v25
	v_cvt_i32_f32_e32 v35, v35
	v_cvt_f32_i32_dpp v21, v21 row_shl:1 row_mask:0xf bank_mask:0xf bound_ctrl:1
	v_cvt_f32_i32_dpp v22, v22 row_shl:2 row_mask:0xf bank_mask:0xf bound_ctrl:1
	v_mov_b32_dpp v30, v34 row_bcast:31 row_mask:0xf bank_mask:0xf bound_ctrl:1
	v_cvt_f32_i32_dpp v34, v39 row_bcast:15 row_mask:0xf bank_mask:0xf bound_ctrl:1
	v_cvt_f32_i32_dpp v23, v23 row_shl:3 row_mask:0xf bank_mask:0xf bound_ctrl:1
	v_cvt_f32_i32_dpp v26, v26 row_shl:4 row_mask:0xf bank_mask:0xf bound_ctrl:1
	v_cvt_f32_i32_dpp v35, v35 row_shr:15 row_mask:0xf bank_mask:0xf bound_ctrl:1
	v_add_f32_e32 v20, v20, v21
	v_add_f32_e32 v20, v20, v22
	v_cvt_i32_f32_e32 v17, v17
	v_add_f32_e32 v24, v31, v34
	v_add_f32_e32 v22, v20, v23
	v_cvt_i32_f32_e32 v18, v18
	v_cvt_i32_f32_e32 v27, v24
	v_add_f32_e32 v25, v25, v26
	v_cvt_i32_f32_e32 v20, v22
	v_cvt_i32_f32_e32 v19, v19
	;; [unrolled: 1-line block ×4, first 2 shown]
	v_cvt_f32_i32_dpp v17, v17 row_shl:1 row_mask:0xf bank_mask:0xf bound_ctrl:1
	v_cvt_f32_i32_dpp v18, v18 row_shl:2 row_mask:0xf bank_mask:0xf bound_ctrl:1
	v_mov_b32_dpp v21, v27 row_bcast:31 row_mask:0xf bank_mask:0xf bound_ctrl:1
	v_cvt_f32_i32_dpp v27, v20 row_shl:4 row_mask:0xf bank_mask:0xf bound_ctrl:1
	v_cvt_f32_i32_dpp v19, v19 row_shl:3 row_mask:0xf bank_mask:0xf bound_ctrl:1
	v_cvt_f32_i32_dpp v23, v31 row_bcast:15 row_mask:0xf bank_mask:0xf bound_ctrl:1
	v_cvt_f32_i32_dpp v26, v26 row_shl:8 row_mask:0xf bank_mask:0xf bound_ctrl:1
	v_add_f32_e32 v16, v16, v17
	v_add_f32_e32 v16, v16, v18
	;; [unrolled: 1-line block ×6, first 2 shown]
	v_cvt_i32_f32_e32 v25, v22
	v_cvt_i32_f32_e32 v17, v16
	;; [unrolled: 1-line block ×4, first 2 shown]
	v_cvt_f32_i32_dpp v25, v25 row_shl:8 row_mask:0xf bank_mask:0xf bound_ctrl:1
	v_cvt_f32_i32_dpp v17, v17 row_shl:4 row_mask:0xf bank_mask:0xf bound_ctrl:1
	v_cvt_f32_i32_dpp v18, v23 row_shr:15 row_mask:0xf bank_mask:0xf bound_ctrl:1
	v_cvt_i32_f32_e32 v1, v1
	v_add_f32_e32 v19, v22, v25
	v_add_f32_e32 v25, v16, v17
	v_cvt_i32_f32_e32 v19, v19
	v_cvt_i32_f32_e32 v23, v18
	;; [unrolled: 1-line block ×10, first 2 shown]
	v_cvt_f32_i32_dpp v19, v19 row_shr:15 row_mask:0xf bank_mask:0xf bound_ctrl:1
	v_cvt_f32_i32_dpp v23, v23 row_bcast:15 row_mask:0xf bank_mask:0xf bound_ctrl:1
	v_cvt_f32_i32_dpp v26, v16 row_shl:8 row_mask:0xf bank_mask:0xf bound_ctrl:1
	v_cvt_f32_i32_dpp v5, v5 row_shl:1 row_mask:0xf bank_mask:0xf bound_ctrl:1
	;; [unrolled: 1-line block ×6, first 2 shown]
	v_cvt_i32_f32_e32 v3, v3
	v_cvt_f32_i32_dpp v14, v14 row_shl:2 row_mask:0xf bank_mask:0xf bound_ctrl:1
	v_cvt_f32_i32_dpp v7, v7 row_shl:3 row_mask:0xf bank_mask:0xf bound_ctrl:1
	;; [unrolled: 1-line block ×3, first 2 shown]
	v_mov_b32_dpp v17, v22 row_bcast:31 row_mask:0xf bank_mask:0xf bound_ctrl:1
	v_cvt_i32_f32_e32 v22, v19
	v_add_f32_e32 v16, v18, v23
	v_add_f32_e32 v23, v25, v26
	;; [unrolled: 1-line block ×4, first 2 shown]
	v_cvt_i32_f32_e32 v23, v23
	v_add_f32_e32 v12, v12, v13
	v_add_f32_e32 v4, v4, v6
	v_add_f32_e32 v0, v0, v2
	v_cvt_f32_i32_dpp v1, v3 row_shl:3 row_mask:0xf bank_mask:0xf bound_ctrl:1
	v_cvt_i32_f32_e32 v2, v9
	v_add_f32_e32 v12, v12, v14
	v_add_f32_e32 v4, v4, v7
	v_cvt_i32_f32_e32 v3, v10
	v_add_f32_e32 v14, v12, v15
	v_cvt_i32_f32_e32 v5, v4
	v_cvt_i32_f32_e32 v9, v11
	v_cvt_f32_i32_dpp v22, v22 row_bcast:15 row_mask:0xf bank_mask:0xf bound_ctrl:1
	v_cvt_i32_f32_e32 v12, v14
	v_cvt_f32_i32_dpp v23, v23 row_shr:15 row_mask:0xf bank_mask:0xf bound_ctrl:1
	v_add_f32_e32 v0, v0, v1
	v_cvt_f32_i32_dpp v1, v2 row_shl:1 row_mask:0xf bank_mask:0xf bound_ctrl:1
	v_cvt_f32_i32_dpp v2, v3 row_shl:2 row_mask:0xf bank_mask:0xf bound_ctrl:1
	v_cvt_f32_i32_dpp v5, v5 row_shl:4 row_mask:0xf bank_mask:0xf bound_ctrl:1
	v_cvt_f32_i32_dpp v3, v9 row_shl:3 row_mask:0xf bank_mask:0xf bound_ctrl:1
	v_add_f32_e32 v13, v19, v22
	v_cvt_f32_i32_dpp v19, v12 row_shl:4 row_mask:0xf bank_mask:0xf bound_ctrl:1
	v_cvt_i32_f32_e32 v18, v16
	v_cvt_i32_f32_e32 v25, v23
	v_add_f32_e32 v1, v8, v1
	v_add_f32_e32 v1, v1, v2
	;; [unrolled: 1-line block ×5, first 2 shown]
	v_cvt_i32_f32_e32 v5, v4
	v_cvt_i32_f32_e32 v9, v0
	;; [unrolled: 1-line block ×3, first 2 shown]
	v_mov_b32_dpp v15, v18 row_bcast:31 row_mask:0xf bank_mask:0xf bound_ctrl:1
	v_cvt_f32_i32_dpp v18, v25 row_bcast:15 row_mask:0xf bank_mask:0xf bound_ctrl:1
	v_cvt_i32_f32_e32 v14, v19
	v_cvt_f32_i32_dpp v3, v5 row_shl:8 row_mask:0xf bank_mask:0xf bound_ctrl:1
	v_cvt_f32_i32_dpp v5, v9 row_shl:4 row_mask:0xf bank_mask:0xf bound_ctrl:1
	;; [unrolled: 1-line block ×3, first 2 shown]
	v_add_f32_e32 v12, v23, v18
	v_cvt_f32_i32_dpp v23, v14 row_shl:8 row_mask:0xf bank_mask:0xf bound_ctrl:1
	v_add_f32_e32 v0, v0, v5
	v_add_f32_e32 v1, v1, v2
	v_add_f32_e32 v3, v4, v3
	v_add_f32_e32 v7, v19, v23
	v_cvt_i32_f32_e32 v4, v0
	v_cvt_i32_f32_e32 v2, v1
	;; [unrolled: 1-line block ×4, first 2 shown]
	v_cvt_f32_i32_dpp v4, v4 row_shl:8 row_mask:0xf bank_mask:0xf bound_ctrl:1
	v_cvt_f32_i32_dpp v2, v2 row_shl:8 row_mask:0xf bank_mask:0xf bound_ctrl:1
	v_cvt_f32_i32_dpp v7, v7 row_shr:15 row_mask:0xf bank_mask:0xf bound_ctrl:1
	v_cvt_f32_i32_dpp v3, v3 row_shr:15 row_mask:0xf bank_mask:0xf bound_ctrl:1
	v_add_f32_e32 v0, v0, v4
	v_add_f32_e32 v1, v1, v2
	v_cvt_i32_f32_e32 v5, v7
	v_cvt_i32_f32_e32 v0, v0
	v_cvt_i32_f32_e32 v1, v1
	v_cvt_i32_f32_e32 v4, v3
	v_cvt_f32_i32_dpp v2, v5 row_bcast:15 row_mask:0xf bank_mask:0xf bound_ctrl:1
	v_cvt_f32_i32_dpp v0, v0 row_shr:15 row_mask:0xf bank_mask:0xf bound_ctrl:1
	v_cvt_f32_i32_dpp v1, v1 row_shr:15 row_mask:0xf bank_mask:0xf bound_ctrl:1
	v_cvt_f32_i32_dpp v4, v4 row_bcast:15 row_mask:0xf bank_mask:0xf bound_ctrl:1
	v_add_f32_e32 v7, v7, v2
	v_cvt_i32_f32_e32 v2, v0
	v_cvt_i32_f32_e32 v5, v1
	v_add_f32_e32 v4, v3, v4
	v_cvt_i32_f32_e32 v49, v48
	v_cvt_f32_i32_dpp v2, v2 row_bcast:15 row_mask:0xf bank_mask:0xf bound_ctrl:1
	v_cvt_f32_i32_dpp v3, v5 row_bcast:15 row_mask:0xf bank_mask:0xf bound_ctrl:1
	v_cvt_i32_f32_e32 v22, v13
	v_cvt_i32_f32_e32 v18, v12
	v_add_f32_e32 v2, v0, v2
	v_add_f32_e32 v0, v1, v3
	v_cvt_i32_f32_e32 v8, v7
	v_cvt_i32_f32_e32 v5, v4
	;; [unrolled: 1-line block ×4, first 2 shown]
	v_mov_b32_dpp v49, v49 row_bcast:31 row_mask:0xf bank_mask:0xf bound_ctrl:1
	v_mov_b32_dpp v14, v22 row_bcast:31 row_mask:0xf bank_mask:0xf bound_ctrl:1
	;; [unrolled: 1-line block ×7, first 2 shown]
	s_and_saveexec_b64 s[30:31], s[0:1]
	s_cbranch_execz .LBB285_159
; %bb.67:                               ;   in Loop: Header=BB285_19 Depth=1
	s_andn2_b64 vcc, exec, s[26:27]
	v_mov_b32_e32 v39, 0
	v_mov_b32_e32 v38, 0
	;; [unrolled: 1-line block ×15, first 2 shown]
	s_cbranch_vccnz .LBB285_69
; %bb.68:                               ;   in Loop: Header=BB285_19 Depth=1
	v_mul_hi_u32 v8, v130, v127
	v_mul_lo_u32 v8, v8, s20
	v_sub_u32_e32 v8, v130, v8
	v_subrev_u32_e32 v10, s20, v8
	v_cmp_le_u32_e32 vcc, s20, v8
	v_mov_b32_e32 v19, v133
	v_mov_b32_e32 v27, v133
	v_cndmask_b32_e32 v8, v8, v10, vcc
	v_subrev_u32_e32 v10, s20, v8
	v_cmp_le_u32_e32 vcc, s20, v8
	v_mov_b32_e32 v43, v133
	s_nop 0
	v_cndmask_b32_e32 v132, v8, v10, vcc
	v_mul_hi_u32 v8, v138, v127
	v_mul_lo_u32 v8, v8, s20
	v_sub_u32_e32 v8, v138, v8
	v_subrev_u32_e32 v18, s20, v8
	v_cmp_le_u32_e32 vcc, s20, v8
	v_add_u32_e32 v26, s41, v132
	v_lshl_add_u64 v[50:51], v[26:27], 1, s[16:17]
	v_cndmask_b32_e32 v8, v8, v18, vcc
	v_subrev_u32_e32 v18, s20, v8
	v_cmp_le_u32_e32 vcc, s20, v8
	v_lshl_add_u64 v[10:11], v[132:133], 1, s[16:17]
	s_nop 0
	v_cndmask_b32_e32 v18, v8, v18, vcc
	v_mul_hi_u32 v8, v136, v127
	v_mul_lo_u32 v8, v8, s20
	v_sub_u32_e32 v8, v136, v8
	v_lshl_add_u64 v[22:23], v[18:19], 1, s[16:17]
	v_subrev_u32_e32 v19, s20, v8
	v_cmp_le_u32_e32 vcc, s20, v8
	v_add_u32_e32 v26, s41, v18
	v_lshl_add_u64 v[52:53], v[26:27], 1, s[16:17]
	v_cndmask_b32_e32 v8, v8, v19, vcc
	v_subrev_u32_e32 v19, s20, v8
	v_cmp_le_u32_e32 vcc, s20, v8
	s_nop 1
	v_cndmask_b32_e32 v42, v8, v19, vcc
	v_add_u32_e32 v26, s41, v42
	v_lshl_add_u64 v[54:55], v[26:27], 1, s[16:17]
	v_add_u32_e32 v26, s42, v132
	v_lshl_add_u64 v[56:57], v[26:27], 1, s[16:17]
	;; [unrolled: 2-line block ×3, first 2 shown]
	v_lshl_add_u64 v[58:59], v[26:27], 1, s[16:17]
	global_load_ushort v39, v[10:11], off
	global_load_ushort v38, v[22:23], off
	;; [unrolled: 1-line block ×8, first 2 shown]
	v_add_u32_e32 v10, s42, v42
	v_mov_b32_e32 v11, v133
	v_lshl_add_u64 v[46:47], v[10:11], 1, s[16:17]
	v_add_u32_e32 v10, s43, v132
	v_add_u32_e32 v132, s44, v132
	v_lshl_add_u64 v[50:51], v[10:11], 1, s[16:17]
	v_add_u32_e32 v10, s43, v18
	v_lshl_add_u64 v[56:57], v[132:133], 1, s[16:17]
	;; [unrolled: 2-line block ×5, first 2 shown]
	v_lshl_add_u64 v[42:43], v[132:133], 1, s[16:17]
	global_load_ushort v23, v[46:47], off
	global_load_ushort v22, v[50:51], off
	global_load_ushort v19, v[52:53], off
	global_load_ushort v18, v[54:55], off
	global_load_ushort v11, v[56:57], off
	global_load_ushort v10, v[58:59], off
	global_load_ushort v8, v[42:43], off
.LBB285_69:                             ;   in Loop: Header=BB285_19 Depth=1
	v_cmp_ne_u32_e32 vcc, 0, v124
	s_and_saveexec_b64 s[6:7], vcc
	s_cbranch_execnz .LBB285_84
; %bb.70:                               ;   in Loop: Header=BB285_19 Depth=1
	s_or_b64 exec, exec, s[6:7]
	v_cmp_ne_u32_e64 s[4:5], 0, v125
	s_and_saveexec_b64 s[8:9], s[4:5]
	s_cbranch_execnz .LBB285_89
.LBB285_71:                             ;   in Loop: Header=BB285_19 Depth=1
	s_or_b64 exec, exec, s[8:9]
	v_cmp_ne_u32_e64 s[6:7], 0, v126
	s_and_saveexec_b64 s[34:35], s[6:7]
	s_cbranch_execnz .LBB285_94
.LBB285_72:                             ;   in Loop: Header=BB285_19 Depth=1
	s_or_b64 exec, exec, s[34:35]
	v_add_u32_e32 v132, s15, v130
	s_and_saveexec_b64 s[34:35], vcc
	s_cbranch_execnz .LBB285_99
.LBB285_73:                             ;   in Loop: Header=BB285_19 Depth=1
	s_or_b64 exec, exec, s[34:35]
	s_and_saveexec_b64 s[34:35], s[4:5]
	s_cbranch_execnz .LBB285_104
.LBB285_74:                             ;   in Loop: Header=BB285_19 Depth=1
	s_or_b64 exec, exec, s[34:35]
	s_and_saveexec_b64 s[34:35], s[6:7]
	s_cbranch_execnz .LBB285_109
.LBB285_75:                             ;   in Loop: Header=BB285_19 Depth=1
	s_or_b64 exec, exec, s[34:35]
	v_add_u32_e32 v132, s15, v132
	s_and_saveexec_b64 s[34:35], vcc
	s_cbranch_execnz .LBB285_114
.LBB285_76:                             ;   in Loop: Header=BB285_19 Depth=1
	s_or_b64 exec, exec, s[34:35]
	s_and_saveexec_b64 s[34:35], s[4:5]
	s_cbranch_execnz .LBB285_119
.LBB285_77:                             ;   in Loop: Header=BB285_19 Depth=1
	s_or_b64 exec, exec, s[34:35]
	s_and_saveexec_b64 s[34:35], s[6:7]
	s_cbranch_execnz .LBB285_124
.LBB285_78:                             ;   in Loop: Header=BB285_19 Depth=1
	s_or_b64 exec, exec, s[34:35]
	v_add_u32_e32 v132, s15, v132
	s_and_saveexec_b64 s[34:35], vcc
	s_cbranch_execnz .LBB285_129
.LBB285_79:                             ;   in Loop: Header=BB285_19 Depth=1
	s_or_b64 exec, exec, s[34:35]
	s_and_saveexec_b64 s[34:35], s[4:5]
	s_cbranch_execnz .LBB285_134
.LBB285_80:                             ;   in Loop: Header=BB285_19 Depth=1
	s_or_b64 exec, exec, s[34:35]
	s_and_saveexec_b64 s[34:35], s[6:7]
	s_cbranch_execnz .LBB285_139
.LBB285_81:                             ;   in Loop: Header=BB285_19 Depth=1
	s_or_b64 exec, exec, s[34:35]
	v_add_u32_e32 v132, s15, v132
	s_and_saveexec_b64 s[8:9], vcc
	s_cbranch_execnz .LBB285_144
.LBB285_82:                             ;   in Loop: Header=BB285_19 Depth=1
	s_or_b64 exec, exec, s[8:9]
	s_and_saveexec_b64 s[8:9], s[4:5]
	s_cbranch_execnz .LBB285_149
.LBB285_83:                             ;   in Loop: Header=BB285_19 Depth=1
	s_or_b64 exec, exec, s[8:9]
	s_and_b64 exec, exec, s[6:7]
	s_cbranch_execnz .LBB285_154
	s_branch .LBB285_159
.LBB285_84:                             ;   in Loop: Header=BB285_19 Depth=1
	v_cvt_f32_i32_e32 v42, v49
	s_waitcnt vmcnt(14)
	v_lshlrev_b32_e32 v39, 16, v39
	v_add_f32_e32 v42, v48, v42
	v_add_f32_e32 v42, v42, v39
	v_and_b32_e32 v39, 0x7f800000, v42
	v_cmp_ne_u32_e64 s[4:5], s48, v39
                                        ; implicit-def: $vgpr39
	s_and_saveexec_b64 s[8:9], s[4:5]
	s_xor_b64 s[4:5], exec, s[8:9]
; %bb.85:                               ;   in Loop: Header=BB285_19 Depth=1
	v_bfe_u32 v39, v42, 16, 1
	v_add3_u32 v39, v42, v39, s14
                                        ; implicit-def: $vgpr42
; %bb.86:                               ;   in Loop: Header=BB285_19 Depth=1
	s_andn2_saveexec_b64 s[8:9], s[4:5]
; %bb.87:                               ;   in Loop: Header=BB285_19 Depth=1
	v_or_b32_e32 v39, 0x10000, v42
	v_cmp_eq_u32_sdwa s[4:5], v42, v133 src0_sel:WORD_0 src1_sel:DWORD
	s_nop 1
	v_cndmask_b32_e64 v39, v39, v42, s[4:5]
; %bb.88:                               ;   in Loop: Header=BB285_19 Depth=1
	s_or_b64 exec, exec, s[8:9]
	v_mov_b32_e32 v131, v133
	v_lshl_add_u64 v[42:43], v[130:131], 1, s[18:19]
	global_store_short_d16_hi v[42:43], v39, off
	s_or_b64 exec, exec, s[6:7]
	v_cmp_ne_u32_e64 s[4:5], 0, v125
	s_and_saveexec_b64 s[8:9], s[4:5]
	s_cbranch_execz .LBB285_71
.LBB285_89:                             ;   in Loop: Header=BB285_19 Depth=1
	s_waitcnt vmcnt(14)
	v_cvt_f32_i32_e32 v39, v41
	s_waitcnt vmcnt(13)
	v_lshlrev_b32_e32 v38, 16, v38
	v_add_f32_e32 v39, v44, v39
	v_add_f32_e32 v39, v39, v38
	v_and_b32_e32 v38, 0x7f800000, v39
	v_cmp_ne_u32_e64 s[6:7], s48, v38
                                        ; implicit-def: $vgpr38
	s_and_saveexec_b64 s[34:35], s[6:7]
	s_xor_b64 s[6:7], exec, s[34:35]
; %bb.90:                               ;   in Loop: Header=BB285_19 Depth=1
	v_bfe_u32 v38, v39, 16, 1
	v_add3_u32 v38, v39, v38, s14
                                        ; implicit-def: $vgpr39
; %bb.91:                               ;   in Loop: Header=BB285_19 Depth=1
	s_andn2_saveexec_b64 s[34:35], s[6:7]
; %bb.92:                               ;   in Loop: Header=BB285_19 Depth=1
	v_or_b32_e32 v38, 0x10000, v39
	v_cmp_eq_u32_sdwa s[6:7], v39, v133 src0_sel:WORD_0 src1_sel:DWORD
	s_nop 1
	v_cndmask_b32_e64 v38, v38, v39, s[6:7]
; %bb.93:                               ;   in Loop: Header=BB285_19 Depth=1
	s_or_b64 exec, exec, s[34:35]
	v_mov_b32_e32 v139, v133
	v_lshl_add_u64 v[42:43], v[138:139], 1, s[18:19]
	global_store_short_d16_hi v[42:43], v38, off
	s_or_b64 exec, exec, s[8:9]
	v_cmp_ne_u32_e64 s[6:7], 0, v126
	s_and_saveexec_b64 s[34:35], s[6:7]
	s_cbranch_execz .LBB285_72
.LBB285_94:                             ;   in Loop: Header=BB285_19 Depth=1
	v_cvt_f32_i32_e32 v37, v37
	s_waitcnt vmcnt(12)
	v_lshlrev_b32_e32 v35, 16, v35
	v_add_f32_e32 v37, v40, v37
	v_add_f32_e32 v37, v37, v35
	v_and_b32_e32 v35, 0x7f800000, v37
	v_cmp_ne_u32_e64 s[8:9], s48, v35
                                        ; implicit-def: $vgpr35
	s_and_saveexec_b64 s[36:37], s[8:9]
	s_xor_b64 s[8:9], exec, s[36:37]
; %bb.95:                               ;   in Loop: Header=BB285_19 Depth=1
	v_bfe_u32 v35, v37, 16, 1
	v_add3_u32 v35, v37, v35, s14
                                        ; implicit-def: $vgpr37
; %bb.96:                               ;   in Loop: Header=BB285_19 Depth=1
	s_andn2_saveexec_b64 s[36:37], s[8:9]
; %bb.97:                               ;   in Loop: Header=BB285_19 Depth=1
	v_or_b32_e32 v35, 0x10000, v37
	v_cmp_eq_u32_sdwa s[8:9], v37, v133 src0_sel:WORD_0 src1_sel:DWORD
	s_nop 1
	v_cndmask_b32_e64 v35, v35, v37, s[8:9]
; %bb.98:                               ;   in Loop: Header=BB285_19 Depth=1
	s_or_b64 exec, exec, s[36:37]
	v_mov_b32_e32 v137, v133
	v_lshl_add_u64 v[38:39], v[136:137], 1, s[18:19]
	global_store_short_d16_hi v[38:39], v35, off
	s_or_b64 exec, exec, s[34:35]
	v_add_u32_e32 v132, s15, v130
	s_and_saveexec_b64 s[34:35], vcc
	s_cbranch_execz .LBB285_73
.LBB285_99:                             ;   in Loop: Header=BB285_19 Depth=1
	v_cvt_f32_i32_e32 v33, v33
	s_waitcnt vmcnt(11)
	v_lshlrev_b32_e32 v34, 16, v34
	v_add_f32_e32 v33, v36, v33
	v_add_f32_e32 v34, v33, v34
	v_and_b32_e32 v33, 0x7f800000, v34
	v_cmp_ne_u32_e64 s[8:9], s48, v33
                                        ; implicit-def: $vgpr33
	s_and_saveexec_b64 s[36:37], s[8:9]
	s_xor_b64 s[8:9], exec, s[36:37]
; %bb.100:                              ;   in Loop: Header=BB285_19 Depth=1
	v_bfe_u32 v33, v34, 16, 1
	v_add3_u32 v33, v34, v33, s14
                                        ; implicit-def: $vgpr34
; %bb.101:                              ;   in Loop: Header=BB285_19 Depth=1
	s_andn2_saveexec_b64 s[36:37], s[8:9]
; %bb.102:                              ;   in Loop: Header=BB285_19 Depth=1
	v_or_b32_e32 v33, 0x10000, v34
	v_cmp_eq_u32_sdwa s[8:9], v34, v133 src0_sel:WORD_0 src1_sel:DWORD
	s_nop 1
	v_cndmask_b32_e64 v33, v33, v34, s[8:9]
; %bb.103:                              ;   in Loop: Header=BB285_19 Depth=1
	s_or_b64 exec, exec, s[36:37]
	v_lshl_add_u64 v[34:35], v[132:133], 1, s[18:19]
	global_store_short_d16_hi v[34:35], v33, off
	s_or_b64 exec, exec, s[34:35]
	s_and_saveexec_b64 s[34:35], s[4:5]
	s_cbranch_execz .LBB285_74
.LBB285_104:                            ;   in Loop: Header=BB285_19 Depth=1
	v_cvt_f32_i32_e32 v30, v30
	s_waitcnt vmcnt(10)
	v_lshlrev_b32_e32 v31, 16, v31
	v_add_f32_e32 v30, v32, v30
	v_add_f32_e32 v31, v30, v31
	v_and_b32_e32 v30, 0x7f800000, v31
	v_cmp_ne_u32_e64 s[8:9], s48, v30
                                        ; implicit-def: $vgpr30
	s_and_saveexec_b64 s[36:37], s[8:9]
	s_xor_b64 s[8:9], exec, s[36:37]
; %bb.105:                              ;   in Loop: Header=BB285_19 Depth=1
	v_bfe_u32 v30, v31, 16, 1
	v_add3_u32 v30, v31, v30, s14
                                        ; implicit-def: $vgpr31
; %bb.106:                              ;   in Loop: Header=BB285_19 Depth=1
	s_andn2_saveexec_b64 s[36:37], s[8:9]
; %bb.107:                              ;   in Loop: Header=BB285_19 Depth=1
	v_or_b32_e32 v30, 0x10000, v31
	v_cmp_eq_u32_sdwa s[8:9], v31, v133 src0_sel:WORD_0 src1_sel:DWORD
	s_nop 1
	v_cndmask_b32_e64 v30, v30, v31, s[8:9]
; %bb.108:                              ;   in Loop: Header=BB285_19 Depth=1
	s_or_b64 exec, exec, s[36:37]
	v_add_u32_e32 v32, 1, v132
	v_mov_b32_e32 v33, v133
	v_lshl_add_u64 v[32:33], v[32:33], 1, s[18:19]
	global_store_short_d16_hi v[32:33], v30, off
	s_or_b64 exec, exec, s[34:35]
	s_and_saveexec_b64 s[34:35], s[6:7]
	s_cbranch_execz .LBB285_75
.LBB285_109:                            ;   in Loop: Header=BB285_19 Depth=1
	v_cvt_f32_i32_e32 v29, v29
	s_waitcnt vmcnt(9)
	v_lshlrev_b32_e32 v27, 16, v27
	v_add_f32_e32 v28, v28, v29
	v_add_f32_e32 v28, v28, v27
	v_and_b32_e32 v27, 0x7f800000, v28
	v_cmp_ne_u32_e64 s[8:9], s48, v27
                                        ; implicit-def: $vgpr27
	s_and_saveexec_b64 s[36:37], s[8:9]
	s_xor_b64 s[8:9], exec, s[36:37]
; %bb.110:                              ;   in Loop: Header=BB285_19 Depth=1
	v_bfe_u32 v27, v28, 16, 1
	v_add3_u32 v27, v28, v27, s14
                                        ; implicit-def: $vgpr28
; %bb.111:                              ;   in Loop: Header=BB285_19 Depth=1
	s_andn2_saveexec_b64 s[36:37], s[8:9]
; %bb.112:                              ;   in Loop: Header=BB285_19 Depth=1
	v_or_b32_e32 v27, 0x10000, v28
	v_cmp_eq_u32_sdwa s[8:9], v28, v133 src0_sel:WORD_0 src1_sel:DWORD
	s_nop 1
	v_cndmask_b32_e64 v27, v27, v28, s[8:9]
; %bb.113:                              ;   in Loop: Header=BB285_19 Depth=1
	s_or_b64 exec, exec, s[36:37]
	v_add_u32_e32 v28, 2, v132
	v_mov_b32_e32 v29, v133
	v_lshl_add_u64 v[28:29], v[28:29], 1, s[18:19]
	global_store_short_d16_hi v[28:29], v27, off
	s_or_b64 exec, exec, s[34:35]
	v_add_u32_e32 v132, s15, v132
	s_and_saveexec_b64 s[34:35], vcc
	s_cbranch_execz .LBB285_76
.LBB285_114:                            ;   in Loop: Header=BB285_19 Depth=1
	v_cvt_f32_i32_e32 v21, v21
	v_add_f32_e32 v21, v24, v21
	s_waitcnt vmcnt(8)
	v_lshlrev_b32_e32 v24, 16, v26
	v_add_f32_e32 v24, v21, v24
	v_and_b32_e32 v21, 0x7f800000, v24
	v_cmp_ne_u32_e64 s[8:9], s48, v21
                                        ; implicit-def: $vgpr21
	s_and_saveexec_b64 s[36:37], s[8:9]
	s_xor_b64 s[8:9], exec, s[36:37]
; %bb.115:                              ;   in Loop: Header=BB285_19 Depth=1
	v_bfe_u32 v21, v24, 16, 1
	v_add3_u32 v21, v24, v21, s14
                                        ; implicit-def: $vgpr24
; %bb.116:                              ;   in Loop: Header=BB285_19 Depth=1
	s_andn2_saveexec_b64 s[36:37], s[8:9]
; %bb.117:                              ;   in Loop: Header=BB285_19 Depth=1
	v_or_b32_e32 v21, 0x10000, v24
	v_cmp_eq_u32_sdwa s[8:9], v24, v133 src0_sel:WORD_0 src1_sel:DWORD
	s_nop 1
	v_cndmask_b32_e64 v21, v21, v24, s[8:9]
; %bb.118:                              ;   in Loop: Header=BB285_19 Depth=1
	s_or_b64 exec, exec, s[36:37]
	v_lshl_add_u64 v[26:27], v[132:133], 1, s[18:19]
	global_store_short_d16_hi v[26:27], v21, off
	s_or_b64 exec, exec, s[34:35]
	s_and_saveexec_b64 s[34:35], s[4:5]
	s_cbranch_execz .LBB285_77
.LBB285_119:                            ;   in Loop: Header=BB285_19 Depth=1
	v_cvt_f32_i32_e32 v17, v17
	v_add_f32_e32 v17, v20, v17
	s_waitcnt vmcnt(7)
	v_lshlrev_b32_e32 v20, 16, v25
	v_add_f32_e32 v20, v17, v20
	v_and_b32_e32 v17, 0x7f800000, v20
	v_cmp_ne_u32_e64 s[8:9], s48, v17
                                        ; implicit-def: $vgpr17
	s_and_saveexec_b64 s[36:37], s[8:9]
	s_xor_b64 s[8:9], exec, s[36:37]
; %bb.120:                              ;   in Loop: Header=BB285_19 Depth=1
	v_bfe_u32 v17, v20, 16, 1
	v_add3_u32 v17, v20, v17, s14
                                        ; implicit-def: $vgpr20
; %bb.121:                              ;   in Loop: Header=BB285_19 Depth=1
	s_andn2_saveexec_b64 s[36:37], s[8:9]
; %bb.122:                              ;   in Loop: Header=BB285_19 Depth=1
	v_or_b32_e32 v17, 0x10000, v20
	v_cmp_eq_u32_sdwa s[8:9], v20, v133 src0_sel:WORD_0 src1_sel:DWORD
	s_nop 1
	v_cndmask_b32_e64 v17, v17, v20, s[8:9]
; %bb.123:                              ;   in Loop: Header=BB285_19 Depth=1
	s_or_b64 exec, exec, s[36:37]
	v_add_u32_e32 v20, 1, v132
	v_mov_b32_e32 v21, v133
	v_lshl_add_u64 v[20:21], v[20:21], 1, s[18:19]
	global_store_short_d16_hi v[20:21], v17, off
	s_or_b64 exec, exec, s[34:35]
	s_and_saveexec_b64 s[34:35], s[6:7]
	s_cbranch_execz .LBB285_78
.LBB285_124:                            ;   in Loop: Header=BB285_19 Depth=1
	v_cvt_f32_i32_e32 v15, v15
	v_add_f32_e32 v15, v16, v15
	s_waitcnt vmcnt(6)
	v_lshlrev_b32_e32 v16, 16, v23
	v_add_f32_e32 v16, v15, v16
	v_and_b32_e32 v15, 0x7f800000, v16
	v_cmp_ne_u32_e64 s[8:9], s48, v15
                                        ; implicit-def: $vgpr15
	s_and_saveexec_b64 s[36:37], s[8:9]
	s_xor_b64 s[8:9], exec, s[36:37]
; %bb.125:                              ;   in Loop: Header=BB285_19 Depth=1
	v_bfe_u32 v15, v16, 16, 1
	v_add3_u32 v15, v16, v15, s14
                                        ; implicit-def: $vgpr16
; %bb.126:                              ;   in Loop: Header=BB285_19 Depth=1
	s_andn2_saveexec_b64 s[36:37], s[8:9]
; %bb.127:                              ;   in Loop: Header=BB285_19 Depth=1
	v_or_b32_e32 v15, 0x10000, v16
	v_cmp_eq_u32_sdwa s[8:9], v16, v133 src0_sel:WORD_0 src1_sel:DWORD
	s_nop 1
	v_cndmask_b32_e64 v15, v15, v16, s[8:9]
; %bb.128:                              ;   in Loop: Header=BB285_19 Depth=1
	s_or_b64 exec, exec, s[36:37]
	v_add_u32_e32 v16, 2, v132
	v_mov_b32_e32 v17, v133
	v_lshl_add_u64 v[16:17], v[16:17], 1, s[18:19]
	global_store_short_d16_hi v[16:17], v15, off
	s_or_b64 exec, exec, s[34:35]
	v_add_u32_e32 v132, s15, v132
	s_and_saveexec_b64 s[34:35], vcc
	s_cbranch_execz .LBB285_79
.LBB285_129:                            ;   in Loop: Header=BB285_19 Depth=1
	v_cvt_f32_i32_e32 v14, v14
	v_add_f32_e32 v13, v13, v14
	s_waitcnt vmcnt(5)
	v_lshlrev_b32_e32 v14, 16, v22
	v_add_f32_e32 v14, v13, v14
	v_and_b32_e32 v13, 0x7f800000, v14
	v_cmp_ne_u32_e64 s[8:9], s48, v13
                                        ; implicit-def: $vgpr13
	s_and_saveexec_b64 s[36:37], s[8:9]
	s_xor_b64 s[8:9], exec, s[36:37]
; %bb.130:                              ;   in Loop: Header=BB285_19 Depth=1
	v_bfe_u32 v13, v14, 16, 1
	v_add3_u32 v13, v14, v13, s14
                                        ; implicit-def: $vgpr14
; %bb.131:                              ;   in Loop: Header=BB285_19 Depth=1
	s_andn2_saveexec_b64 s[36:37], s[8:9]
; %bb.132:                              ;   in Loop: Header=BB285_19 Depth=1
	v_or_b32_e32 v13, 0x10000, v14
	v_cmp_eq_u32_sdwa s[8:9], v14, v133 src0_sel:WORD_0 src1_sel:DWORD
	s_nop 1
	v_cndmask_b32_e64 v13, v13, v14, s[8:9]
; %bb.133:                              ;   in Loop: Header=BB285_19 Depth=1
	s_or_b64 exec, exec, s[36:37]
	v_lshl_add_u64 v[14:15], v[132:133], 1, s[18:19]
	global_store_short_d16_hi v[14:15], v13, off
	s_or_b64 exec, exec, s[34:35]
	s_and_saveexec_b64 s[34:35], s[4:5]
	s_cbranch_execz .LBB285_80
.LBB285_134:                            ;   in Loop: Header=BB285_19 Depth=1
	v_cvt_f32_i32_e32 v6, v6
	v_add_f32_e32 v6, v12, v6
	s_waitcnt vmcnt(4)
	v_lshlrev_b32_e32 v12, 16, v19
	v_add_f32_e32 v12, v6, v12
	v_and_b32_e32 v6, 0x7f800000, v12
	v_cmp_ne_u32_e64 s[8:9], s48, v6
                                        ; implicit-def: $vgpr6
	s_and_saveexec_b64 s[36:37], s[8:9]
	s_xor_b64 s[8:9], exec, s[36:37]
; %bb.135:                              ;   in Loop: Header=BB285_19 Depth=1
	v_bfe_u32 v6, v12, 16, 1
	v_add3_u32 v6, v12, v6, s14
                                        ; implicit-def: $vgpr12
; %bb.136:                              ;   in Loop: Header=BB285_19 Depth=1
	s_andn2_saveexec_b64 s[36:37], s[8:9]
; %bb.137:                              ;   in Loop: Header=BB285_19 Depth=1
	v_or_b32_e32 v6, 0x10000, v12
	v_cmp_eq_u32_sdwa s[8:9], v12, v133 src0_sel:WORD_0 src1_sel:DWORD
	s_nop 1
	v_cndmask_b32_e64 v6, v6, v12, s[8:9]
; %bb.138:                              ;   in Loop: Header=BB285_19 Depth=1
	s_or_b64 exec, exec, s[36:37]
	v_add_u32_e32 v12, 1, v132
	v_mov_b32_e32 v13, v133
	v_lshl_add_u64 v[12:13], v[12:13], 1, s[18:19]
	global_store_short_d16_hi v[12:13], v6, off
	s_or_b64 exec, exec, s[34:35]
	s_and_saveexec_b64 s[34:35], s[6:7]
	s_cbranch_execz .LBB285_81
.LBB285_139:                            ;   in Loop: Header=BB285_19 Depth=1
	v_cvt_f32_i32_e32 v6, v9
	v_add_f32_e32 v6, v7, v6
	s_waitcnt vmcnt(3)
	v_lshlrev_b32_e32 v7, 16, v18
	v_add_f32_e32 v7, v6, v7
	v_and_b32_e32 v6, 0x7f800000, v7
	v_cmp_ne_u32_e64 s[8:9], s48, v6
                                        ; implicit-def: $vgpr6
	s_and_saveexec_b64 s[36:37], s[8:9]
	s_xor_b64 s[8:9], exec, s[36:37]
; %bb.140:                              ;   in Loop: Header=BB285_19 Depth=1
	v_bfe_u32 v6, v7, 16, 1
	v_add3_u32 v6, v7, v6, s14
                                        ; implicit-def: $vgpr7
; %bb.141:                              ;   in Loop: Header=BB285_19 Depth=1
	s_andn2_saveexec_b64 s[36:37], s[8:9]
; %bb.142:                              ;   in Loop: Header=BB285_19 Depth=1
	v_or_b32_e32 v6, 0x10000, v7
	v_cmp_eq_u32_sdwa s[8:9], v7, v133 src0_sel:WORD_0 src1_sel:DWORD
	s_nop 1
	v_cndmask_b32_e64 v6, v6, v7, s[8:9]
; %bb.143:                              ;   in Loop: Header=BB285_19 Depth=1
	s_or_b64 exec, exec, s[36:37]
	v_add_u32_e32 v12, 2, v132
	v_mov_b32_e32 v13, v133
	v_lshl_add_u64 v[12:13], v[12:13], 1, s[18:19]
	global_store_short_d16_hi v[12:13], v6, off
	s_or_b64 exec, exec, s[34:35]
	v_add_u32_e32 v132, s15, v132
	s_and_saveexec_b64 s[8:9], vcc
	s_cbranch_execz .LBB285_82
.LBB285_144:                            ;   in Loop: Header=BB285_19 Depth=1
	v_cvt_f32_i32_e32 v5, v5
	v_add_f32_e32 v4, v4, v5
	s_waitcnt vmcnt(2)
	v_lshlrev_b32_e32 v5, 16, v11
	v_add_f32_e32 v5, v4, v5
	v_and_b32_e32 v4, 0x7f800000, v5
	v_cmp_ne_u32_e32 vcc, s48, v4
                                        ; implicit-def: $vgpr4
	s_and_saveexec_b64 s[34:35], vcc
	s_xor_b64 s[34:35], exec, s[34:35]
; %bb.145:                              ;   in Loop: Header=BB285_19 Depth=1
	v_bfe_u32 v4, v5, 16, 1
	v_add3_u32 v4, v5, v4, s14
                                        ; implicit-def: $vgpr5
; %bb.146:                              ;   in Loop: Header=BB285_19 Depth=1
	s_andn2_saveexec_b64 s[34:35], s[34:35]
; %bb.147:                              ;   in Loop: Header=BB285_19 Depth=1
	v_or_b32_e32 v4, 0x10000, v5
	v_cmp_eq_u32_sdwa vcc, v5, v133 src0_sel:WORD_0 src1_sel:DWORD
	s_nop 1
	v_cndmask_b32_e32 v4, v4, v5, vcc
; %bb.148:                              ;   in Loop: Header=BB285_19 Depth=1
	s_or_b64 exec, exec, s[34:35]
	v_lshl_add_u64 v[6:7], v[132:133], 1, s[18:19]
	global_store_short_d16_hi v[6:7], v4, off
	s_or_b64 exec, exec, s[8:9]
	s_and_saveexec_b64 s[8:9], s[4:5]
	s_cbranch_execz .LBB285_83
.LBB285_149:                            ;   in Loop: Header=BB285_19 Depth=1
	v_cvt_f32_i32_e32 v3, v3
	v_add_f32_e32 v2, v2, v3
	s_waitcnt vmcnt(1)
	v_lshlrev_b32_e32 v3, 16, v10
	v_add_f32_e32 v3, v2, v3
	v_and_b32_e32 v2, 0x7f800000, v3
	v_cmp_ne_u32_e32 vcc, s48, v2
                                        ; implicit-def: $vgpr2
	s_and_saveexec_b64 s[4:5], vcc
	s_xor_b64 s[4:5], exec, s[4:5]
; %bb.150:                              ;   in Loop: Header=BB285_19 Depth=1
	v_bfe_u32 v2, v3, 16, 1
	v_add3_u32 v2, v3, v2, s14
                                        ; implicit-def: $vgpr3
; %bb.151:                              ;   in Loop: Header=BB285_19 Depth=1
	s_andn2_saveexec_b64 s[4:5], s[4:5]
; %bb.152:                              ;   in Loop: Header=BB285_19 Depth=1
	v_or_b32_e32 v2, 0x10000, v3
	v_cmp_eq_u32_sdwa vcc, v3, v133 src0_sel:WORD_0 src1_sel:DWORD
	s_nop 1
	v_cndmask_b32_e32 v2, v2, v3, vcc
; %bb.153:                              ;   in Loop: Header=BB285_19 Depth=1
	s_or_b64 exec, exec, s[4:5]
	v_add_u32_e32 v4, 1, v132
	v_mov_b32_e32 v5, v133
	v_lshl_add_u64 v[4:5], v[4:5], 1, s[18:19]
	global_store_short_d16_hi v[4:5], v2, off
	s_or_b64 exec, exec, s[8:9]
	s_and_b64 exec, exec, s[6:7]
	s_cbranch_execz .LBB285_159
.LBB285_154:                            ;   in Loop: Header=BB285_19 Depth=1
	v_cvt_f32_i32_e32 v1, v1
	v_add_f32_e32 v0, v0, v1
	s_waitcnt vmcnt(0)
	v_lshlrev_b32_e32 v1, 16, v8
	v_add_f32_e32 v1, v0, v1
	v_and_b32_e32 v0, 0x7f800000, v1
	v_cmp_ne_u32_e32 vcc, s48, v0
                                        ; implicit-def: $vgpr0
	s_and_saveexec_b64 s[4:5], vcc
	s_xor_b64 s[4:5], exec, s[4:5]
; %bb.155:                              ;   in Loop: Header=BB285_19 Depth=1
	v_bfe_u32 v0, v1, 16, 1
	v_add3_u32 v0, v1, v0, s14
                                        ; implicit-def: $vgpr1
; %bb.156:                              ;   in Loop: Header=BB285_19 Depth=1
	s_andn2_saveexec_b64 s[4:5], s[4:5]
; %bb.157:                              ;   in Loop: Header=BB285_19 Depth=1
	v_or_b32_e32 v0, 0x10000, v1
	v_cmp_eq_u32_sdwa vcc, v1, v133 src0_sel:WORD_0 src1_sel:DWORD
	s_nop 1
	v_cndmask_b32_e32 v0, v0, v1, vcc
; %bb.158:                              ;   in Loop: Header=BB285_19 Depth=1
	s_or_b64 exec, exec, s[4:5]
	v_add_u32_e32 v132, 2, v132
	v_lshl_add_u64 v[2:3], v[132:133], 1, s[18:19]
	global_store_short_d16_hi v[2:3], v0, off
.LBB285_159:                            ;   in Loop: Header=BB285_19 Depth=1
	s_or_b64 exec, exec, s[30:31]
	v_add_u32_e32 v130, s39, v130
	v_add_u32_e32 v0, 3, v130
	v_cmp_gt_u32_e32 vcc, s15, v130
	v_cmp_le_u32_e64 s[4:5], s15, v0
	s_and_b64 s[4:5], vcc, s[4:5]
	s_and_saveexec_b64 s[6:7], s[4:5]
	s_cbranch_execz .LBB285_18
; %bb.160:                              ;   in Loop: Header=BB285_19 Depth=1
	v_cmp_ne_u32_e32 vcc, s40, v130
	s_and_saveexec_b64 s[8:9], vcc
	s_cbranch_execz .LBB285_17
; %bb.161:                              ;   in Loop: Header=BB285_19 Depth=1
	v_subrev_u32_e32 v0, s40, v130
	v_cmp_lt_u32_e32 vcc, 1, v0
	s_mov_b64 s[30:31], 0
	s_mov_b64 s[34:35], 0
	v_cndmask_b32_e32 v0, 1, v0, vcc
.LBB285_162:                            ;   Parent Loop BB285_19 Depth=1
                                        ; =>  This Inner Loop Header: Depth=2
	s_cmp_lg_u32 s34, 2
	s_cselect_b64 vcc, -1, 0
	s_cmp_lg_u32 s34, 1
	v_cndmask_b32_e32 v126, 0, v126, vcc
	s_cselect_b64 vcc, -1, 0
	s_cmp_lg_u32 s34, 0
	v_cndmask_b32_e32 v125, 0, v125, vcc
	s_cselect_b64 vcc, -1, 0
	s_add_u32 s34, s34, 1
	s_addc_u32 s35, s35, 0
	v_cmp_eq_u32_e64 s[4:5], s34, v0
	s_or_b64 s[30:31], s[4:5], s[30:31]
	v_cndmask_b32_e32 v124, 0, v124, vcc
	s_andn2_b64 exec, exec, s[30:31]
	s_cbranch_execnz .LBB285_162
; %bb.163:                              ;   in Loop: Header=BB285_19 Depth=1
	s_or_b64 exec, exec, s[30:31]
	s_branch .LBB285_17
.LBB285_164:
	s_endpgm
	.section	.rodata,"a",@progbits
	.p2align	6, 0x0
	.amdhsa_kernel _Z12wvSplitK_hf_I14__hip_bfloat16Li32ELi3ELi16ELi8ELi2ELi5EEviiiiiiPKT_S3_S3_PS1_ii
		.amdhsa_group_segment_fixed_size 65536
		.amdhsa_private_segment_fixed_size 0
		.amdhsa_kernarg_size 64
		.amdhsa_user_sgpr_count 2
		.amdhsa_user_sgpr_dispatch_ptr 0
		.amdhsa_user_sgpr_queue_ptr 0
		.amdhsa_user_sgpr_kernarg_segment_ptr 1
		.amdhsa_user_sgpr_dispatch_id 0
		.amdhsa_user_sgpr_kernarg_preload_length 0
		.amdhsa_user_sgpr_kernarg_preload_offset 0
		.amdhsa_user_sgpr_private_segment_size 0
		.amdhsa_uses_dynamic_stack 0
		.amdhsa_enable_private_segment 0
		.amdhsa_system_sgpr_workgroup_id_x 1
		.amdhsa_system_sgpr_workgroup_id_y 0
		.amdhsa_system_sgpr_workgroup_id_z 0
		.amdhsa_system_sgpr_workgroup_info 0
		.amdhsa_system_vgpr_workitem_id 1
		.amdhsa_next_free_vgpr 156
		.amdhsa_next_free_sgpr 49
		.amdhsa_accum_offset 156
		.amdhsa_reserve_vcc 1
		.amdhsa_float_round_mode_32 0
		.amdhsa_float_round_mode_16_64 0
		.amdhsa_float_denorm_mode_32 3
		.amdhsa_float_denorm_mode_16_64 3
		.amdhsa_dx10_clamp 1
		.amdhsa_ieee_mode 1
		.amdhsa_fp16_overflow 0
		.amdhsa_tg_split 0
		.amdhsa_exception_fp_ieee_invalid_op 0
		.amdhsa_exception_fp_denorm_src 0
		.amdhsa_exception_fp_ieee_div_zero 0
		.amdhsa_exception_fp_ieee_overflow 0
		.amdhsa_exception_fp_ieee_underflow 0
		.amdhsa_exception_fp_ieee_inexact 0
		.amdhsa_exception_int_div_zero 0
	.end_amdhsa_kernel
	.section	.text._Z12wvSplitK_hf_I14__hip_bfloat16Li32ELi3ELi16ELi8ELi2ELi5EEviiiiiiPKT_S3_S3_PS1_ii,"axG",@progbits,_Z12wvSplitK_hf_I14__hip_bfloat16Li32ELi3ELi16ELi8ELi2ELi5EEviiiiiiPKT_S3_S3_PS1_ii,comdat
.Lfunc_end285:
	.size	_Z12wvSplitK_hf_I14__hip_bfloat16Li32ELi3ELi16ELi8ELi2ELi5EEviiiiiiPKT_S3_S3_PS1_ii, .Lfunc_end285-_Z12wvSplitK_hf_I14__hip_bfloat16Li32ELi3ELi16ELi8ELi2ELi5EEviiiiiiPKT_S3_S3_PS1_ii
                                        ; -- End function
	.section	.AMDGPU.csdata,"",@progbits
; Kernel info:
; codeLenInByte = 7892
; NumSgprs: 55
; NumVgprs: 156
; NumAgprs: 0
; TotalNumVgprs: 156
; ScratchSize: 0
; MemoryBound: 1
; FloatMode: 240
; IeeeMode: 1
; LDSByteSize: 65536 bytes/workgroup (compile time only)
; SGPRBlocks: 6
; VGPRBlocks: 19
; NumSGPRsForWavesPerEU: 55
; NumVGPRsForWavesPerEU: 156
; AccumOffset: 156
; Occupancy: 2
; WaveLimiterHint : 0
; COMPUTE_PGM_RSRC2:SCRATCH_EN: 0
; COMPUTE_PGM_RSRC2:USER_SGPR: 2
; COMPUTE_PGM_RSRC2:TRAP_HANDLER: 0
; COMPUTE_PGM_RSRC2:TGID_X_EN: 1
; COMPUTE_PGM_RSRC2:TGID_Y_EN: 0
; COMPUTE_PGM_RSRC2:TGID_Z_EN: 0
; COMPUTE_PGM_RSRC2:TIDIG_COMP_CNT: 1
; COMPUTE_PGM_RSRC3_GFX90A:ACCUM_OFFSET: 38
; COMPUTE_PGM_RSRC3_GFX90A:TG_SPLIT: 0
	.section	.text._Z16wvSplitK_hf_big_I14__hip_bfloat16Li32ELi3ELi16ELi8ELi2ELi5EEviiiiiiPKT_S3_S3_PS1_ii,"axG",@progbits,_Z16wvSplitK_hf_big_I14__hip_bfloat16Li32ELi3ELi16ELi8ELi2ELi5EEviiiiiiPKT_S3_S3_PS1_ii,comdat
	.protected	_Z16wvSplitK_hf_big_I14__hip_bfloat16Li32ELi3ELi16ELi8ELi2ELi5EEviiiiiiPKT_S3_S3_PS1_ii ; -- Begin function _Z16wvSplitK_hf_big_I14__hip_bfloat16Li32ELi3ELi16ELi8ELi2ELi5EEviiiiiiPKT_S3_S3_PS1_ii
	.globl	_Z16wvSplitK_hf_big_I14__hip_bfloat16Li32ELi3ELi16ELi8ELi2ELi5EEviiiiiiPKT_S3_S3_PS1_ii
	.p2align	8
	.type	_Z16wvSplitK_hf_big_I14__hip_bfloat16Li32ELi3ELi16ELi8ELi2ELi5EEviiiiiiPKT_S3_S3_PS1_ii,@function
_Z16wvSplitK_hf_big_I14__hip_bfloat16Li32ELi3ELi16ELi8ELi2ELi5EEviiiiiiPKT_S3_S3_PS1_ii: ; @_Z16wvSplitK_hf_big_I14__hip_bfloat16Li32ELi3ELi16ELi8ELi2ELi5EEviiiiiiPKT_S3_S3_PS1_ii
; %bb.0:
	s_load_dwordx2 s[8:9], s[0:1], 0x38
	v_bfe_u32 v1, v0, 10, 10
	s_waitcnt lgkmcnt(0)
	v_cmp_gt_u32_e32 vcc, s8, v1
	s_and_saveexec_b64 s[4:5], vcc
	s_cbranch_execz .LBB286_130
; %bb.1:
	s_load_dwordx4 s[20:23], s[0:1], 0x0
	s_mul_i32 s2, s2, s8
	v_add_u32_e32 v2, s2, v1
	v_lshl_add_u32 v128, v2, 1, v2
	s_mov_b32 s4, 1
	v_add_u32_e32 v2, 3, v128
	s_mov_b32 s6, s4
	s_waitcnt lgkmcnt(0)
	v_cmp_gt_u32_e32 vcc, s23, v128
	v_cmp_le_u32_e64 s[2:3], s23, v2
	s_mov_b32 s5, s4
	v_mov_b32_e32 v126, s6
	s_and_b64 s[10:11], vcc, s[2:3]
	v_mov_b32_e32 v125, s5
	v_mov_b32_e32 v124, s4
	s_and_saveexec_b64 s[2:3], s[10:11]
	s_cbranch_execz .LBB286_7
; %bb.2:
	s_add_i32 s7, s23, -3
	v_mov_b32_e32 v126, s6
	v_cmp_ne_u32_e32 vcc, s7, v128
	v_mov_b32_e32 v125, s5
	v_mov_b32_e32 v124, s4
	s_and_saveexec_b64 s[10:11], vcc
	s_cbranch_execz .LBB286_6
; %bb.3:
	v_subrev_u32_e32 v2, s7, v128
	v_cmp_lt_u32_e32 vcc, 1, v2
	s_mov_b64 s[12:13], 0
	s_mov_b64 s[14:15], 0
	v_cndmask_b32_e32 v2, 1, v2, vcc
	s_mov_b32 s5, s4
	s_mov_b32 s6, s4
.LBB286_4:                              ; =>This Inner Loop Header: Depth=1
	s_cmp_lg_u32 s14, 2
	s_cselect_b32 s6, s6, 0
	s_cmp_lg_u32 s14, 1
	s_cselect_b32 s5, s5, 0
	;; [unrolled: 2-line block ×3, first 2 shown]
	s_add_u32 s14, s14, 1
	s_addc_u32 s15, s15, 0
	v_cmp_eq_u32_e32 vcc, s14, v2
	v_mov_b32_e32 v126, s6
	s_or_b64 s[12:13], vcc, s[12:13]
	v_mov_b32_e32 v125, s5
	v_mov_b32_e32 v124, s4
	s_andn2_b64 exec, exec, s[12:13]
	s_cbranch_execnz .LBB286_4
; %bb.5:
	s_or_b64 exec, exec, s[12:13]
	v_mov_b32_e32 v128, s7
.LBB286_6:
	s_or_b64 exec, exec, s[10:11]
.LBB286_7:
	s_or_b64 exec, exec, s[2:3]
	s_mul_i32 s46, s8, 3
	s_abs_i32 s2, s46
	v_cvt_f32_u32_e32 v2, s2
	s_sub_i32 s5, 0, s2
	s_abs_i32 s4, s23
	s_ashr_i32 s3, s23, 31
	v_rcp_iflag_f32_e32 v2, v2
	s_nop 0
	v_mul_f32_e32 v2, 0x4f7ffffe, v2
	v_cvt_u32_f32_e32 v2, v2
	s_nop 0
	v_readfirstlane_b32 s6, v2
	s_mul_i32 s5, s5, s6
	s_mul_hi_u32 s5, s6, s5
	s_add_i32 s6, s6, s5
	s_mul_hi_u32 s5, s4, s6
	s_mul_i32 s5, s5, s2
	s_sub_i32 s4, s4, s5
	s_sub_i32 s5, s4, s2
	s_cmp_ge_u32 s4, s2
	s_cselect_b32 s4, s5, s4
	s_sub_i32 s5, s4, s2
	s_cmp_ge_u32 s4, s2
	s_cselect_b32 s2, s5, s4
	s_xor_b32 s2, s2, s3
	s_sub_i32 s2, s2, s3
	s_add_i32 s3, s46, s23
	s_sub_i32 s3, s3, s2
	s_cmp_eq_u32 s2, 0
	s_cselect_b32 s33, s23, s3
	v_cmp_gt_u32_e32 vcc, s33, v128
	s_and_b64 exec, exec, vcc
	s_cbranch_execz .LBB286_130
; %bb.8:
	s_load_dwordx8 s[12:19], s[0:1], 0x10
	s_min_u32 s42, s22, 0x1800
	s_cmp_lg_u32 s20, 0
	s_cselect_b64 s[2:3], -1, 0
	s_cmp_lg_u32 s22, 0
	s_cselect_b64 s[4:5], -1, 0
	s_lshl_b32 s43, s8, 8
	s_add_i32 s44, s20, -8
	s_add_i32 s45, s23, -1
	s_waitcnt lgkmcnt(0)
	s_cmp_lg_u64 s[18:19], 0
	s_cselect_b64 s[28:29], -1, 0
	s_abs_i32 s6, s13
	v_cvt_f32_u32_e32 v2, s12
	v_cvt_f32_u32_e32 v3, s6
	s_sub_i32 s7, 0, s12
	s_mul_i32 s46, s46, s9
	v_rcp_iflag_f32_e32 v2, v2
	v_rcp_iflag_f32_e32 v3, v3
	s_add_i32 s13, s23, -3
	s_load_dwordx2 s[24:25], s[0:1], 0x30
	v_mul_f32_e32 v2, 0x4f7ffffe, v2
	v_mul_f32_e32 v3, 0x4f7ffffe, v3
	v_cvt_u32_f32_e32 v2, v2
	v_cvt_u32_f32_e32 v3, v3
	v_and_b32_e32 v0, 0x3ff, v0
	v_lshlrev_b32_e32 v127, 3, v0
	v_mul_lo_u32 v4, s7, v2
	s_sub_i32 s7, 0, s6
	v_readfirstlane_b32 s9, v3
	s_mul_i32 s7, s7, s9
	s_mul_hi_u32 s7, s9, s7
	s_add_i32 s9, s9, s7
	s_sub_i32 s7, 1, s6
	s_cmp_lt_u32 s6, 2
	s_cselect_b32 s7, s7, 1
	s_sub_i32 s10, s7, s6
	s_cmp_ge_u32 s7, s6
	s_cselect_b32 s47, s10, s7
	s_lshr_b32 s7, s9, 31
	s_mul_i32 s7, s7, s6
	s_sub_i32 s7, 2, s7
	s_sub_i32 s10, s7, s6
	s_cmp_ge_u32 s7, s6
	s_cselect_b32 s7, s10, s7
	s_sub_i32 s10, s7, s6
	s_cmp_ge_u32 s7, s6
	s_cselect_b32 s48, s10, s7
	s_mul_hi_u32 s7, s9, 3
	s_mul_i32 s7, s7, s6
	s_sub_i32 s7, 3, s7
	s_sub_i32 s10, s7, s6
	s_cmp_ge_u32 s7, s6
	s_cselect_b32 s7, s10, s7
	s_sub_i32 s10, s7, s6
	s_cmp_ge_u32 s7, s6
	s_cselect_b32 s49, s10, s7
	s_lshr_b32 s7, s9, 30
	s_mul_i32 s7, s7, s6
	s_sub_i32 s7, 4, s7
	s_sub_i32 s9, s7, s6
	s_cmp_ge_u32 s7, s6
	s_cselect_b32 s7, s9, s7
	v_cmp_eq_u32_e64 s[0:1], 31, v0
	v_mul_hi_u32 v4, v2, v4
	s_sub_i32 s9, s7, s6
	v_lshlrev_b32_e32 v0, 4, v0
	v_add_u32_e32 v133, v2, v4
	s_cmp_ge_u32 s7, s6
	v_lshl_add_u32 v142, v1, 9, v0
	v_lshl_add_u32 v132, v1, 8, v127
	v_cndmask_b32_e64 v0, 0, 1, s[2:3]
	s_cselect_b32 s50, s9, s7
	s_waitcnt lgkmcnt(0)
	s_add_u32 s30, s24, 2
	v_mad_u64_u32 v[134:135], s[6:7], s22, 3, v[132:133]
	v_cmp_ne_u32_e64 s[2:3], 1, v0
	v_cndmask_b32_e64 v0, 0, 1, s[4:5]
	s_mov_b64 s[26:27], 0
	v_mov_b32_e32 v131, 0
	s_mul_i32 s47, s47, s12
	s_mul_i32 s48, s48, s12
	;; [unrolled: 1-line block ×4, first 2 shown]
	s_addc_u32 s31, s25, 0
	s_lshl_b32 s51, s42, 3
	s_lshl_b32 s52, s8, 9
	s_mul_i32 s53, s42, 6
	s_lshl_b32 s54, s42, 2
	s_lshl_b32 s55, s42, 1
	v_lshl_add_u32 v143, s22, 1, v132
	v_lshl_add_u32 v135, s22, 2, v132
	v_add_u32_e32 v144, s22, v132
	v_cmp_ne_u32_e64 s[4:5], 1, v0
	s_mov_b32 s56, 0x7f800000
	s_movk_i32 s57, 0x7fff
	s_branch .LBB286_12
.LBB286_9:                              ;   in Loop: Header=BB286_12 Depth=1
	s_or_b64 exec, exec, s[10:11]
	v_mov_b32_e32 v128, s13
.LBB286_10:                             ;   in Loop: Header=BB286_12 Depth=1
	s_or_b64 exec, exec, s[8:9]
.LBB286_11:                             ;   in Loop: Header=BB286_12 Depth=1
	s_or_b64 exec, exec, s[34:35]
	v_cmp_le_u32_e32 vcc, s33, v128
	s_or_b64 s[26:27], vcc, s[26:27]
	s_andn2_b64 exec, exec, s[26:27]
	s_cbranch_execz .LBB286_130
.LBB286_12:                             ; =>This Loop Header: Depth=1
                                        ;     Child Loop BB286_17 Depth 2
                                        ;       Child Loop BB286_22 Depth 3
                                        ;     Child Loop BB286_128 Depth 2
	s_and_b64 vcc, exec, s[2:3]
	v_mov_b32_e32 v3, v131
	v_mov_b32_e32 v2, v131
	;; [unrolled: 1-line block ×4, first 2 shown]
	s_waitcnt vmcnt(0)
	v_mov_b32_e32 v7, v131
	v_mov_b32_e32 v6, v131
	;; [unrolled: 1-line block ×56, first 2 shown]
	s_cbranch_vccnz .LBB286_29
; %bb.13:                               ;   in Loop: Header=BB286_12 Depth=1
	v_min_u32_e32 v0, s45, v128
	v_mul_lo_u32 v130, v0, s21
	v_add_u32_e32 v0, 1, v128
	v_add_u32_e32 v2, 2, v128
	v_min_u32_e32 v0, s45, v0
	v_min_u32_e32 v2, s45, v2
	v_mul_lo_u32 v0, v0, s21
	v_mov_b32_e32 v1, v131
	v_mul_lo_u32 v2, v2, s21
	v_mov_b32_e32 v3, v131
	v_mov_b32_e32 v24, 0
	v_cmp_gt_u32_e64 s[6:7], s23, v128
	s_mov_b32 s36, 0
	v_lshlrev_b64 v[136:137], 1, v[130:131]
	v_lshlrev_b64 v[138:139], 1, v[0:1]
	;; [unrolled: 1-line block ×3, first 2 shown]
	s_mov_b32 s37, 0
	v_mov_b32_e32 v25, v24
	v_mov_b32_e32 v26, v24
	;; [unrolled: 1-line block ×59, first 2 shown]
	s_branch .LBB286_17
.LBB286_14:                             ;   in Loop: Header=BB286_17 Depth=2
	s_or_b64 exec, exec, s[34:35]
.LBB286_15:                             ;   in Loop: Header=BB286_17 Depth=2
	s_or_b64 exec, exec, s[10:11]
	s_waitcnt vmcnt(5) lgkmcnt(4)
	v_mfma_f32_4x4x4_16b_bf16 v[56:59], v[120:121], v[76:77], v[56:59]
	s_waitcnt vmcnt(4)
	v_mfma_f32_4x4x4_16b_bf16 v[52:55], v[120:121], v[72:73], v[52:55]
	s_waitcnt vmcnt(3)
	v_mfma_f32_4x4x4_16b_bf16 v[48:51], v[120:121], v[80:81], v[48:51]
	s_waitcnt lgkmcnt(3)
	v_mfma_f32_4x4x4_16b_bf16 v[44:47], v[116:117], v[76:77], v[44:47]
	v_mfma_f32_4x4x4_16b_bf16 v[40:43], v[116:117], v[72:73], v[40:43]
	v_mfma_f32_4x4x4_16b_bf16 v[36:39], v[116:117], v[80:81], v[36:39]
	s_waitcnt lgkmcnt(2)
	v_mfma_f32_4x4x4_16b_bf16 v[32:35], v[112:113], v[76:77], v[32:35]
	v_mfma_f32_4x4x4_16b_bf16 v[28:31], v[112:113], v[72:73], v[28:31]
	;; [unrolled: 4-line block ×4, first 2 shown]
	v_mfma_f32_4x4x4_16b_bf16 v[0:3], v[100:101], v[80:81], v[0:3]
	v_mfma_f32_4x4x4_16b_bf16 v[56:59], v[122:123], v[78:79], v[56:59]
	;; [unrolled: 1-line block ×16, first 2 shown]
	s_waitcnt vmcnt(2)
	v_mfma_f32_4x4x4_16b_bf16 v[56:59], v[104:105], v[60:61], v[56:59]
	s_waitcnt vmcnt(1)
	v_mfma_f32_4x4x4_16b_bf16 v[52:55], v[104:105], v[68:69], v[52:55]
	;; [unrolled: 2-line block ×3, first 2 shown]
	v_mfma_f32_4x4x4_16b_bf16 v[44:47], v[96:97], v[60:61], v[44:47]
	v_mfma_f32_4x4x4_16b_bf16 v[40:43], v[96:97], v[68:69], v[40:43]
	;; [unrolled: 1-line block ×27, first 2 shown]
.LBB286_16:                             ;   in Loop: Header=BB286_17 Depth=2
	s_or_b64 exec, exec, s[8:9]
	s_addk_i32 s37, 0x200
	s_cmp_ge_u32 s37, s20
	s_cbranch_scc1 .LBB286_29
.LBB286_17:                             ;   Parent Loop BB286_12 Depth=1
                                        ; =>  This Loop Header: Depth=2
                                        ;       Child Loop BB286_22 Depth 3
	s_cmp_eq_u32 s37, 0
	s_cselect_b64 s[8:9], -1, 0
	s_add_i32 s10, s36, s42
	s_cmp_eq_u32 s37, s10
	s_cselect_b64 s[34:35], -1, 0
	s_or_b64 s[34:35], s[8:9], s[34:35]
	s_andn2_b64 vcc, exec, s[34:35]
	s_cbranch_vccz .LBB286_19
; %bb.18:                               ;   in Loop: Header=BB286_17 Depth=2
	s_and_saveexec_b64 s[8:9], s[6:7]
	s_cbranch_execz .LBB286_16
	s_branch .LBB286_26
.LBB286_19:                             ;   in Loop: Header=BB286_17 Depth=2
	s_and_b64 s[8:9], s[8:9], exec
	s_cselect_b32 s36, s36, s10
	s_and_b64 vcc, exec, s[4:5]
	s_barrier
	s_cbranch_vccnz .LBB286_25
; %bb.20:                               ;   in Loop: Header=BB286_17 Depth=2
	v_add_u32_e32 v60, s36, v143
	v_add_u32_e32 v61, s36, v134
	;; [unrolled: 1-line block ×5, first 2 shown]
	s_mov_b32 s38, 0
	s_mov_b64 s[10:11], 0
	v_mov_b32_e32 v65, v142
                                        ; implicit-def: $sgpr34_sgpr35
	s_branch .LBB286_22
.LBB286_21:                             ;   in Loop: Header=BB286_22 Depth=3
	s_or_b64 exec, exec, s[8:9]
	s_and_b64 s[8:9], exec, s[34:35]
	s_or_b64 s[10:11], s[8:9], s[10:11]
	s_andn2_b64 exec, exec, s[10:11]
	s_cbranch_execz .LBB286_24
.LBB286_22:                             ;   Parent Loop BB286_12 Depth=1
                                        ;     Parent Loop BB286_17 Depth=2
                                        ; =>    This Inner Loop Header: Depth=3
	v_add_u32_e32 v66, s38, v132
	v_add_u32_e32 v130, s38, v64
	v_cmp_gt_u32_e32 vcc, s22, v130
	v_cmp_gt_u32_e64 s[8:9], s42, v66
	s_and_b64 s[40:41], s[8:9], vcc
	s_or_b64 s[34:35], s[34:35], exec
	s_and_saveexec_b64 s[8:9], s[40:41]
	s_cbranch_execz .LBB286_21
; %bb.23:                               ;   in Loop: Header=BB286_22 Depth=3
	v_lshl_add_u64 v[66:67], v[130:131], 1, s[16:17]
	v_add_u32_e32 v130, s38, v63
	v_lshl_add_u64 v[70:71], v[130:131], 1, s[16:17]
	v_add_u32_e32 v130, s38, v60
	v_lshl_add_u64 v[74:75], v[130:131], 1, s[16:17]
	v_add_u32_e32 v130, s38, v61
	v_lshl_add_u64 v[78:79], v[130:131], 1, s[16:17]
	global_load_dwordx4 v[66:69], v[66:67], off
	s_nop 0
	global_load_dwordx4 v[70:73], v[70:71], off
	s_nop 0
	;; [unrolled: 2-line block ×3, first 2 shown]
	global_load_dwordx4 v[78:81], v[78:79], off
	v_add_u32_e32 v130, s38, v62
	v_lshl_add_u64 v[82:83], v[130:131], 1, s[16:17]
	global_load_dwordx4 v[82:85], v[82:83], off
	s_add_i32 s38, s38, s43
	s_cmp_ge_u32 s38, s42
	s_cselect_b64 s[40:41], -1, 0
	s_andn2_b64 s[34:35], s[34:35], exec
	s_and_b64 s[40:41], s[40:41], exec
	v_add_u32_e32 v86, s55, v65
	v_add_u32_e32 v87, s54, v65
	;; [unrolled: 1-line block ×4, first 2 shown]
	s_or_b64 s[34:35], s[34:35], s[40:41]
	s_waitcnt vmcnt(4)
	ds_write_b128 v65, v[66:69]
	v_add_u32_e32 v65, s52, v65
	s_waitcnt vmcnt(3)
	ds_write2_b64 v86, v[70:71], v[72:73] offset1:1
	s_waitcnt vmcnt(2)
	ds_write2_b32 v87, v74, v75 offset1:1
	ds_write2_b32 v87, v76, v77 offset0:2 offset1:3
	s_waitcnt vmcnt(1)
	ds_write2_b64 v88, v[78:79], v[80:81] offset1:1
	s_waitcnt vmcnt(0)
	ds_write2_b64 v89, v[82:83], v[84:85] offset1:1
	s_branch .LBB286_21
.LBB286_24:                             ;   in Loop: Header=BB286_17 Depth=2
	s_or_b64 exec, exec, s[10:11]
.LBB286_25:                             ;   in Loop: Header=BB286_17 Depth=2
	s_waitcnt lgkmcnt(0)
	s_barrier
	s_and_saveexec_b64 s[8:9], s[6:7]
	s_cbranch_execz .LBB286_16
.LBB286_26:                             ;   in Loop: Header=BB286_17 Depth=2
	v_add_u32_e32 v129, s37, v127
	v_min_u32_e32 v130, s44, v129
	v_add_u32_e32 v145, 0x100, v129
	v_lshl_add_u64 v[60:61], v[130:131], 1, s[14:15]
	v_min_u32_e32 v130, s44, v145
	v_lshl_add_u64 v[62:63], v[60:61], 0, v[136:137]
	v_lshl_add_u64 v[64:65], v[60:61], 0, v[138:139]
	;; [unrolled: 1-line block ×3, first 2 shown]
	global_load_dwordx4 v[76:79], v[62:63], off nt
	global_load_dwordx4 v[72:75], v[64:65], off nt
	v_lshl_add_u64 v[64:65], v[60:61], 0, v[140:141]
	v_lshl_add_u64 v[68:69], v[66:67], 0, v[136:137]
	;; [unrolled: 1-line block ×3, first 2 shown]
	global_load_dwordx4 v[80:83], v[64:65], off nt
	global_load_dwordx4 v[60:63], v[68:69], off nt
	v_lshl_add_u64 v[86:87], v[66:67], 0, v[140:141]
	global_load_dwordx4 v[68:71], v[84:85], off nt
	global_load_dwordx4 v[64:67], v[86:87], off nt
	v_cmp_gt_u32_e32 vcc, s20, v129
	v_mov_b32_e32 v86, 0
	v_mov_b32_e32 v87, 0
	;; [unrolled: 1-line block ×40, first 2 shown]
	s_and_saveexec_b64 s[10:11], vcc
	s_cbranch_execz .LBB286_15
; %bb.27:                               ;   in Loop: Header=BB286_17 Depth=2
	v_subrev_u32_e32 v84, s36, v129
	v_lshlrev_b32_e32 v148, 1, v84
	v_add_u32_e32 v147, s55, v148
	v_add_u32_e32 v146, s55, v147
	;; [unrolled: 1-line block ×4, first 2 shown]
	ds_read_b128 v[120:123], v148
	ds_read_b128 v[116:119], v147
	;; [unrolled: 1-line block ×5, first 2 shown]
	v_cmp_gt_u32_e32 vcc, s20, v145
	v_mov_b32_e32 v105, 0
	v_mov_b32_e32 v104, 0
	v_mov_b32_e32 v107, 0
	v_mov_b32_e32 v106, 0
	v_mov_b32_e32 v97, 0
	v_mov_b32_e32 v96, 0
	v_mov_b32_e32 v99, 0
	v_mov_b32_e32 v98, 0
	v_mov_b32_e32 v93, 0
	v_mov_b32_e32 v92, 0
	v_mov_b32_e32 v95, 0
	v_mov_b32_e32 v94, 0
	v_mov_b32_e32 v89, 0
	v_mov_b32_e32 v88, 0
	v_mov_b32_e32 v91, 0
	v_mov_b32_e32 v90, 0
	v_mov_b32_e32 v85, 0
	v_mov_b32_e32 v84, 0
	v_mov_b32_e32 v87, 0
	v_mov_b32_e32 v86, 0
	s_and_saveexec_b64 s[34:35], vcc
	s_cbranch_execz .LBB286_14
; %bb.28:                               ;   in Loop: Header=BB286_17 Depth=2
	ds_read_b128 v[104:107], v148 offset:512
	ds_read_b128 v[96:99], v147 offset:512
	;; [unrolled: 1-line block ×4, first 2 shown]
	ds_read2_b64 v[84:87], v129 offset0:64 offset1:65
	s_branch .LBB286_14
.LBB286_29:                             ;   in Loop: Header=BB286_12 Depth=1
	v_cmp_le_u32_e32 vcc, s23, v128
	s_and_saveexec_b64 s[6:7], vcc
	s_xor_b64 s[6:7], exec, s[6:7]
; %bb.30:                               ;   in Loop: Header=BB286_12 Depth=1
	v_add_u32_e32 v128, s46, v128
                                        ; implicit-def: $vgpr3
                                        ; implicit-def: $vgpr7
                                        ; implicit-def: $vgpr11
                                        ; implicit-def: $vgpr15
                                        ; implicit-def: $vgpr19
                                        ; implicit-def: $vgpr23
                                        ; implicit-def: $vgpr59
                                        ; implicit-def: $vgpr55
                                        ; implicit-def: $vgpr51
                                        ; implicit-def: $vgpr47
                                        ; implicit-def: $vgpr43
                                        ; implicit-def: $vgpr39
                                        ; implicit-def: $vgpr35
                                        ; implicit-def: $vgpr31
                                        ; implicit-def: $vgpr27
; %bb.31:                               ;   in Loop: Header=BB286_12 Depth=1
	s_andn2_saveexec_b64 s[34:35], s[6:7]
	s_cbranch_execz .LBB286_11
; %bb.32:                               ;   in Loop: Header=BB286_12 Depth=1
	v_cvt_i32_f32_e32 v57, v57
	v_cvt_i32_f32_e32 v58, v58
	v_cvt_i32_f32_e32 v59, v59
	v_cvt_i32_f32_e32 v53, v53
	v_cvt_f32_i32_dpp v57, v57 row_shl:1 row_mask:0xf bank_mask:0xf bound_ctrl:1
	v_cvt_f32_i32_dpp v58, v58 row_shl:2 row_mask:0xf bank_mask:0xf bound_ctrl:1
	;; [unrolled: 1-line block ×3, first 2 shown]
	v_cvt_i32_f32_e32 v54, v54
	v_add_f32_e32 v56, v56, v57
	v_add_f32_e32 v56, v56, v58
	v_cvt_i32_f32_e32 v55, v55
	v_add_f32_e32 v56, v56, v59
	v_cvt_i32_f32_e32 v57, v56
	v_cvt_f32_i32_dpp v53, v53 row_shl:1 row_mask:0xf bank_mask:0xf bound_ctrl:1
	v_cvt_f32_i32_dpp v54, v54 row_shl:2 row_mask:0xf bank_mask:0xf bound_ctrl:1
	;; [unrolled: 1-line block ×4, first 2 shown]
	v_add_f32_e32 v52, v52, v53
	v_add_f32_e32 v52, v52, v54
	;; [unrolled: 1-line block ×3, first 2 shown]
	v_cvt_i32_f32_e32 v54, v52
	v_add_f32_e32 v53, v56, v57
	v_cvt_i32_f32_e32 v56, v53
	v_cvt_i32_f32_e32 v49, v49
	v_cvt_f32_i32_dpp v54, v54 row_shl:4 row_mask:0xf bank_mask:0xf bound_ctrl:1
	v_cvt_i32_f32_e32 v50, v50
	v_cvt_f32_i32_dpp v55, v56 row_shl:8 row_mask:0xf bank_mask:0xf bound_ctrl:1
	v_cvt_i32_f32_e32 v51, v51
	v_add_f32_e32 v52, v52, v54
	v_cvt_i32_f32_e32 v54, v52
	v_add_f32_e32 v53, v53, v55
	v_cvt_f32_i32_dpp v49, v49 row_shl:1 row_mask:0xf bank_mask:0xf bound_ctrl:1
	v_cvt_i32_f32_e32 v53, v53
	v_cvt_f32_i32_dpp v50, v50 row_shl:2 row_mask:0xf bank_mask:0xf bound_ctrl:1
	v_cvt_f32_i32_dpp v51, v51 row_shl:3 row_mask:0xf bank_mask:0xf bound_ctrl:1
	;; [unrolled: 1-line block ×3, first 2 shown]
	v_add_f32_e32 v48, v48, v49
	v_cvt_f32_i32_dpp v53, v53 row_shr:15 row_mask:0xf bank_mask:0xf bound_ctrl:1
	v_add_f32_e32 v48, v48, v50
	v_add_f32_e32 v51, v48, v51
	;; [unrolled: 1-line block ×3, first 2 shown]
	v_cvt_i32_f32_e32 v52, v51
	v_cvt_i32_f32_e32 v55, v53
	v_cvt_i32_f32_e32 v45, v45
	v_cvt_i32_f32_e32 v46, v46
	v_cvt_f32_i32_dpp v52, v52 row_shl:4 row_mask:0xf bank_mask:0xf bound_ctrl:1
	v_cvt_i32_f32_e32 v47, v47
	v_cvt_f32_i32_dpp v50, v55 row_bcast:15 row_mask:0xf bank_mask:0xf bound_ctrl:1
	v_cvt_i32_f32_e32 v49, v49
	v_cvt_f32_i32_dpp v45, v45 row_shl:1 row_mask:0xf bank_mask:0xf bound_ctrl:1
	v_cvt_f32_i32_dpp v46, v46 row_shl:2 row_mask:0xf bank_mask:0xf bound_ctrl:1
	v_add_f32_e32 v51, v51, v52
	v_cvt_f32_i32_dpp v47, v47 row_shl:3 row_mask:0xf bank_mask:0xf bound_ctrl:1
	v_cvt_i32_f32_e32 v52, v51
	v_add_f32_e32 v48, v53, v50
	v_cvt_f32_i32_dpp v50, v49 row_shr:15 row_mask:0xf bank_mask:0xf bound_ctrl:1
	v_add_f32_e32 v44, v44, v45
	v_add_f32_e32 v44, v44, v46
	;; [unrolled: 1-line block ×3, first 2 shown]
	v_cvt_f32_i32_dpp v52, v52 row_shl:8 row_mask:0xf bank_mask:0xf bound_ctrl:1
	v_cvt_i32_f32_e32 v44, v45
	v_cvt_i32_f32_e32 v53, v50
	;; [unrolled: 1-line block ×4, first 2 shown]
	v_add_f32_e32 v47, v51, v52
	v_cvt_f32_i32_dpp v51, v44 row_shl:4 row_mask:0xf bank_mask:0xf bound_ctrl:1
	v_cvt_i32_f32_e32 v43, v43
	v_cvt_f32_i32_dpp v46, v53 row_bcast:15 row_mask:0xf bank_mask:0xf bound_ctrl:1
	v_cvt_f32_i32_dpp v41, v41 row_shl:1 row_mask:0xf bank_mask:0xf bound_ctrl:1
	v_cvt_f32_i32_dpp v42, v42 row_shl:2 row_mask:0xf bank_mask:0xf bound_ctrl:1
	v_add_f32_e32 v45, v45, v51
	v_cvt_f32_i32_dpp v43, v43 row_shl:3 row_mask:0xf bank_mask:0xf bound_ctrl:1
	v_add_f32_e32 v44, v50, v46
	v_cvt_i32_f32_e32 v50, v45
	v_add_f32_e32 v40, v40, v41
	v_add_f32_e32 v40, v40, v42
	v_add_f32_e32 v40, v40, v43
	v_cvt_f32_i32_dpp v50, v50 row_shl:8 row_mask:0xf bank_mask:0xf bound_ctrl:1
	v_cvt_i32_f32_e32 v41, v40
	v_cvt_i32_f32_e32 v47, v47
	;; [unrolled: 1-line block ×3, first 2 shown]
	v_add_f32_e32 v43, v45, v50
	v_cvt_f32_i32_dpp v45, v41 row_shl:4 row_mask:0xf bank_mask:0xf bound_ctrl:1
	v_cvt_f32_i32_dpp v47, v47 row_shr:15 row_mask:0xf bank_mask:0xf bound_ctrl:1
	v_cvt_i32_f32_e32 v37, v37
	v_cvt_i32_f32_e32 v38, v38
	v_add_f32_e32 v45, v40, v45
	v_cvt_i32_f32_e32 v42, v47
	v_mov_b32_dpp v41, v46 row_bcast:31 row_mask:0xf bank_mask:0xf bound_ctrl:1
	v_cvt_i32_f32_e32 v46, v45
	v_cvt_i32_f32_e32 v39, v39
	v_cvt_f32_i32_dpp v37, v37 row_shl:1 row_mask:0xf bank_mask:0xf bound_ctrl:1
	v_cvt_f32_i32_dpp v38, v38 row_shl:2 row_mask:0xf bank_mask:0xf bound_ctrl:1
	v_cvt_f32_i32_dpp v42, v42 row_bcast:15 row_mask:0xf bank_mask:0xf bound_ctrl:1
	v_cvt_f32_i32_dpp v46, v46 row_shl:8 row_mask:0xf bank_mask:0xf bound_ctrl:1
	v_cvt_f32_i32_dpp v39, v39 row_shl:3 row_mask:0xf bank_mask:0xf bound_ctrl:1
	v_cvt_i32_f32_e32 v43, v43
	v_add_f32_e32 v36, v36, v37
	v_add_f32_e32 v36, v36, v38
	v_add_f32_e32 v40, v47, v42
	v_add_f32_e32 v45, v45, v46
	v_add_f32_e32 v38, v36, v39
	v_cvt_i32_f32_e32 v42, v40
	v_cvt_i32_f32_e32 v45, v45
	;; [unrolled: 1-line block ×3, first 2 shown]
	v_cvt_f32_i32_dpp v43, v43 row_shr:15 row_mask:0xf bank_mask:0xf bound_ctrl:1
	v_cvt_i32_f32_e32 v33, v33
	v_cvt_i32_f32_e32 v34, v34
	v_mov_b32_dpp v37, v42 row_bcast:31 row_mask:0xf bank_mask:0xf bound_ctrl:1
	v_cvt_f32_i32_dpp v42, v45 row_shr:15 row_mask:0xf bank_mask:0xf bound_ctrl:1
	v_cvt_f32_i32_dpp v45, v36 row_shl:4 row_mask:0xf bank_mask:0xf bound_ctrl:1
	v_cvt_i32_f32_e32 v35, v35
	v_cvt_i32_f32_e32 v47, v43
	v_cvt_f32_i32_dpp v33, v33 row_shl:1 row_mask:0xf bank_mask:0xf bound_ctrl:1
	v_cvt_f32_i32_dpp v34, v34 row_shl:2 row_mask:0xf bank_mask:0xf bound_ctrl:1
	v_add_f32_e32 v38, v38, v45
	v_cvt_f32_i32_dpp v35, v35 row_shl:3 row_mask:0xf bank_mask:0xf bound_ctrl:1
	v_cvt_f32_i32_dpp v39, v47 row_bcast:15 row_mask:0xf bank_mask:0xf bound_ctrl:1
	v_cvt_i32_f32_e32 v45, v38
	v_add_f32_e32 v32, v32, v33
	v_add_f32_e32 v32, v32, v34
	v_add_f32_e32 v34, v32, v35
	v_cvt_i32_f32_e32 v29, v29
	v_add_f32_e32 v36, v43, v39
	v_cvt_i32_f32_e32 v43, v42
	v_cvt_f32_i32_dpp v45, v45 row_shl:8 row_mask:0xf bank_mask:0xf bound_ctrl:1
	v_cvt_i32_f32_e32 v32, v34
	v_cvt_i32_f32_e32 v30, v30
	;; [unrolled: 1-line block ×3, first 2 shown]
	v_cvt_f32_i32_dpp v29, v29 row_shl:1 row_mask:0xf bank_mask:0xf bound_ctrl:1
	v_cvt_f32_i32_dpp v35, v43 row_bcast:15 row_mask:0xf bank_mask:0xf bound_ctrl:1
	v_add_f32_e32 v33, v38, v45
	v_cvt_f32_i32_dpp v43, v32 row_shl:4 row_mask:0xf bank_mask:0xf bound_ctrl:1
	v_cvt_f32_i32_dpp v30, v30 row_shl:2 row_mask:0xf bank_mask:0xf bound_ctrl:1
	v_cvt_i32_f32_e32 v38, v33
	v_cvt_f32_i32_dpp v31, v31 row_shl:3 row_mask:0xf bank_mask:0xf bound_ctrl:1
	v_add_f32_e32 v28, v28, v29
	v_add_f32_e32 v34, v34, v43
	;; [unrolled: 1-line block ×4, first 2 shown]
	v_cvt_f32_i32_dpp v35, v38 row_shr:15 row_mask:0xf bank_mask:0xf bound_ctrl:1
	v_cvt_i32_f32_e32 v38, v34
	v_add_f32_e32 v28, v28, v31
	v_cvt_i32_f32_e32 v29, v28
	v_cvt_i32_f32_e32 v30, v35
	v_cvt_f32_i32_dpp v38, v38 row_shl:8 row_mask:0xf bank_mask:0xf bound_ctrl:1
	v_cvt_i32_f32_e32 v25, v25
	v_cvt_f32_i32_dpp v29, v29 row_shl:4 row_mask:0xf bank_mask:0xf bound_ctrl:1
	v_cvt_i32_f32_e32 v26, v26
	v_add_f32_e32 v31, v34, v38
	v_cvt_i32_f32_e32 v31, v31
	v_cvt_f32_i32_dpp v30, v30 row_bcast:15 row_mask:0xf bank_mask:0xf bound_ctrl:1
	v_add_f32_e32 v38, v28, v29
	v_cvt_i32_f32_e32 v27, v27
	v_cvt_i32_f32_e32 v29, v38
	v_cvt_f32_i32_dpp v25, v25 row_shl:1 row_mask:0xf bank_mask:0xf bound_ctrl:1
	v_cvt_f32_i32_dpp v26, v26 row_shl:2 row_mask:0xf bank_mask:0xf bound_ctrl:1
	v_cvt_i32_f32_e32 v39, v36
	v_cvt_f32_i32_dpp v31, v31 row_shr:15 row_mask:0xf bank_mask:0xf bound_ctrl:1
	v_add_f32_e32 v28, v35, v30
	v_cvt_f32_i32_dpp v27, v27 row_shl:3 row_mask:0xf bank_mask:0xf bound_ctrl:1
	v_cvt_i32_f32_e32 v35, v28
	v_cvt_f32_i32_dpp v42, v29 row_shl:8 row_mask:0xf bank_mask:0xf bound_ctrl:1
	v_add_f32_e32 v24, v24, v25
	v_cvt_i32_f32_e32 v21, v21
	v_add_f32_e32 v24, v24, v26
	v_cvt_i32_f32_e32 v22, v22
	v_mov_b32_dpp v33, v39 row_bcast:31 row_mask:0xf bank_mask:0xf bound_ctrl:1
	v_cvt_i32_f32_e32 v34, v32
	v_cvt_i32_f32_e32 v39, v31
	v_add_f32_e32 v25, v24, v27
	v_cvt_i32_f32_e32 v23, v23
	v_mov_b32_dpp v29, v35 row_bcast:31 row_mask:0xf bank_mask:0xf bound_ctrl:1
	v_add_f32_e32 v35, v38, v42
	v_cvt_i32_f32_e32 v26, v25
	v_cvt_i32_f32_e32 v35, v35
	v_cvt_f32_i32_dpp v21, v21 row_shl:1 row_mask:0xf bank_mask:0xf bound_ctrl:1
	v_cvt_f32_i32_dpp v22, v22 row_shl:2 row_mask:0xf bank_mask:0xf bound_ctrl:1
	v_mov_b32_dpp v30, v34 row_bcast:31 row_mask:0xf bank_mask:0xf bound_ctrl:1
	v_cvt_f32_i32_dpp v34, v39 row_bcast:15 row_mask:0xf bank_mask:0xf bound_ctrl:1
	v_cvt_f32_i32_dpp v23, v23 row_shl:3 row_mask:0xf bank_mask:0xf bound_ctrl:1
	v_cvt_f32_i32_dpp v26, v26 row_shl:4 row_mask:0xf bank_mask:0xf bound_ctrl:1
	v_cvt_f32_i32_dpp v35, v35 row_shr:15 row_mask:0xf bank_mask:0xf bound_ctrl:1
	v_add_f32_e32 v20, v20, v21
	v_add_f32_e32 v20, v20, v22
	;; [unrolled: 1-line block ×4, first 2 shown]
	v_cvt_i32_f32_e32 v27, v24
	v_add_f32_e32 v25, v25, v26
	v_cvt_i32_f32_e32 v20, v22
	v_cvt_i32_f32_e32 v31, v35
	;; [unrolled: 1-line block ×3, first 2 shown]
	v_mov_b32_dpp v21, v27 row_bcast:31 row_mask:0xf bank_mask:0xf bound_ctrl:1
	v_cvt_f32_i32_dpp v27, v20 row_shl:4 row_mask:0xf bank_mask:0xf bound_ctrl:1
	v_cvt_f32_i32_dpp v23, v31 row_bcast:15 row_mask:0xf bank_mask:0xf bound_ctrl:1
	v_cvt_f32_i32_dpp v26, v26 row_shl:8 row_mask:0xf bank_mask:0xf bound_ctrl:1
	v_cvt_i32_f32_e32 v17, v17
	v_add_f32_e32 v22, v22, v27
	v_cvt_i32_f32_e32 v18, v18
	v_add_f32_e32 v20, v35, v23
	v_add_f32_e32 v23, v25, v26
	v_cvt_i32_f32_e32 v19, v19
	v_cvt_i32_f32_e32 v25, v22
	v_cvt_f32_i32_dpp v17, v17 row_shl:1 row_mask:0xf bank_mask:0xf bound_ctrl:1
	v_cvt_f32_i32_dpp v18, v18 row_shl:2 row_mask:0xf bank_mask:0xf bound_ctrl:1
	;; [unrolled: 1-line block ×4, first 2 shown]
	v_add_f32_e32 v16, v16, v17
	v_add_f32_e32 v16, v16, v18
	v_add_f32_e32 v16, v16, v19
	v_add_f32_e32 v19, v22, v25
	v_cvt_i32_f32_e32 v17, v16
	v_cvt_i32_f32_e32 v19, v19
	;; [unrolled: 1-line block ×5, first 2 shown]
	v_cvt_f32_i32_dpp v17, v17 row_shl:4 row_mask:0xf bank_mask:0xf bound_ctrl:1
	v_cvt_i32_f32_e32 v22, v20
	v_cvt_f32_i32_dpp v19, v19 row_shr:15 row_mask:0xf bank_mask:0xf bound_ctrl:1
	v_cvt_f32_i32_dpp v13, v13 row_shl:1 row_mask:0xf bank_mask:0xf bound_ctrl:1
	v_cvt_f32_i32_dpp v14, v14 row_shl:2 row_mask:0xf bank_mask:0xf bound_ctrl:1
	;; [unrolled: 1-line block ×3, first 2 shown]
	v_cvt_i32_f32_e32 v5, v5
	v_add_f32_e32 v25, v16, v17
	v_mov_b32_dpp v17, v22 row_bcast:31 row_mask:0xf bank_mask:0xf bound_ctrl:1
	v_cvt_i32_f32_e32 v22, v19
	v_add_f32_e32 v12, v12, v13
	v_cvt_i32_f32_e32 v9, v9
	v_cvt_i32_f32_e32 v1, v1
	v_add_f32_e32 v12, v12, v14
	v_cvt_i32_f32_e32 v10, v10
	v_cvt_i32_f32_e32 v6, v6
	;; [unrolled: 1-line block ×3, first 2 shown]
	v_add_f32_e32 v15, v12, v15
	v_cvt_i32_f32_e32 v11, v11
	v_cvt_f32_i32_dpp v5, v5 row_shl:1 row_mask:0xf bank_mask:0xf bound_ctrl:1
	v_cvt_i32_f32_e32 v7, v7
	v_cvt_i32_f32_e32 v3, v3
	v_cvt_f32_i32_dpp v22, v22 row_bcast:15 row_mask:0xf bank_mask:0xf bound_ctrl:1
	v_cvt_i32_f32_e32 v12, v15
	v_cvt_f32_i32_dpp v9, v9 row_shl:1 row_mask:0xf bank_mask:0xf bound_ctrl:1
	v_cvt_f32_i32_dpp v1, v1 row_shl:1 row_mask:0xf bank_mask:0xf bound_ctrl:1
	;; [unrolled: 1-line block ×6, first 2 shown]
	v_add_f32_e32 v4, v4, v5
	v_cvt_f32_i32_dpp v5, v7 row_shl:3 row_mask:0xf bank_mask:0xf bound_ctrl:1
	v_cvt_f32_i32_dpp v3, v3 row_shl:3 row_mask:0xf bank_mask:0xf bound_ctrl:1
	v_add_f32_e32 v13, v19, v22
	v_cvt_f32_i32_dpp v19, v12 row_shl:4 row_mask:0xf bank_mask:0xf bound_ctrl:1
	v_add_f32_e32 v8, v8, v9
	v_add_f32_e32 v0, v0, v1
	;; [unrolled: 1-line block ×9, first 2 shown]
	v_cvt_i32_f32_e32 v11, v9
	v_cvt_i32_f32_e32 v5, v4
	;; [unrolled: 1-line block ×5, first 2 shown]
	v_cvt_f32_i32_dpp v11, v11 row_shl:4 row_mask:0xf bank_mask:0xf bound_ctrl:1
	v_cvt_f32_i32_dpp v3, v5 row_shl:4 row_mask:0xf bank_mask:0xf bound_ctrl:1
	;; [unrolled: 1-line block ×3, first 2 shown]
	v_cvt_f32_i32_dpp v18, v23 row_shr:15 row_mask:0xf bank_mask:0xf bound_ctrl:1
	v_cvt_f32_i32_dpp v19, v19 row_shl:8 row_mask:0xf bank_mask:0xf bound_ctrl:1
	v_add_f32_e32 v9, v9, v11
	v_add_f32_e32 v3, v4, v3
	;; [unrolled: 1-line block ×3, first 2 shown]
	v_cvt_i32_f32_e32 v23, v18
	v_cvt_i32_f32_e32 v16, v25
	v_add_f32_e32 v15, v15, v19
	v_cvt_i32_f32_e32 v11, v9
	v_cvt_i32_f32_e32 v4, v3
	;; [unrolled: 1-line block ×4, first 2 shown]
	v_cvt_f32_i32_dpp v23, v23 row_bcast:15 row_mask:0xf bank_mask:0xf bound_ctrl:1
	v_cvt_f32_i32_dpp v26, v16 row_shl:8 row_mask:0xf bank_mask:0xf bound_ctrl:1
	v_cvt_f32_i32_dpp v2, v11 row_shl:8 row_mask:0xf bank_mask:0xf bound_ctrl:1
	;; [unrolled: 1-line block ×4, first 2 shown]
	v_cvt_f32_i32_dpp v5, v15 row_shr:15 row_mask:0xf bank_mask:0xf bound_ctrl:1
	v_add_f32_e32 v16, v18, v23
	v_add_f32_e32 v23, v25, v26
	;; [unrolled: 1-line block ×5, first 2 shown]
	v_cvt_i32_f32_e32 v23, v23
	v_cvt_i32_f32_e32 v2, v2
	v_cvt_i32_f32_e32 v6, v5
	v_cvt_i32_f32_e32 v3, v3
	v_cvt_i32_f32_e32 v0, v0
	v_cvt_f32_i32_dpp v23, v23 row_shr:15 row_mask:0xf bank_mask:0xf bound_ctrl:1
	v_cvt_f32_i32_dpp v2, v2 row_shr:15 row_mask:0xf bank_mask:0xf bound_ctrl:1
	v_cvt_f32_i32_dpp v1, v6 row_bcast:15 row_mask:0xf bank_mask:0xf bound_ctrl:1
	v_cvt_f32_i32_dpp v3, v3 row_shr:15 row_mask:0xf bank_mask:0xf bound_ctrl:1
	v_cvt_f32_i32_dpp v0, v0 row_shr:15 row_mask:0xf bank_mask:0xf bound_ctrl:1
	v_cvt_i32_f32_e32 v18, v16
	v_cvt_i32_f32_e32 v25, v23
	;; [unrolled: 1-line block ×3, first 2 shown]
	v_add_f32_e32 v6, v5, v1
	v_cvt_i32_f32_e32 v1, v3
	v_cvt_i32_f32_e32 v5, v0
	v_mov_b32_dpp v14, v18 row_bcast:31 row_mask:0xf bank_mask:0xf bound_ctrl:1
	v_cvt_f32_i32_dpp v18, v25 row_bcast:15 row_mask:0xf bank_mask:0xf bound_ctrl:1
	v_cvt_f32_i32_dpp v4, v4 row_bcast:15 row_mask:0xf bank_mask:0xf bound_ctrl:1
	;; [unrolled: 1-line block ×4, first 2 shown]
	v_add_f32_e32 v12, v23, v18
	v_add_f32_e32 v4, v2, v4
	;; [unrolled: 1-line block ×4, first 2 shown]
	v_cvt_i32_f32_e32 v49, v48
	v_cvt_i32_f32_e32 v22, v13
	;; [unrolled: 1-line block ×7, first 2 shown]
	v_mov_b32_dpp v49, v49 row_bcast:31 row_mask:0xf bank_mask:0xf bound_ctrl:1
	v_mov_b32_dpp v10, v22 row_bcast:31 row_mask:0xf bank_mask:0xf bound_ctrl:1
	;; [unrolled: 1-line block ×7, first 2 shown]
	s_and_saveexec_b64 s[36:37], s[0:1]
	s_cbranch_execz .LBB286_125
; %bb.33:                               ;   in Loop: Header=BB286_12 Depth=1
	s_andn2_b64 vcc, exec, s[28:29]
	v_mov_b32_e32 v39, 0
	v_add_u32_e32 v130, 2, v128
	v_mov_b32_e32 v38, 0
	v_mov_b32_e32 v35, 0
	;; [unrolled: 1-line block ×14, first 2 shown]
	s_cbranch_vccnz .LBB286_35
; %bb.34:                               ;   in Loop: Header=BB286_12 Depth=1
	v_mul_hi_u32 v7, v128, v133
	v_mul_lo_u32 v7, v7, s12
	v_sub_u32_e32 v7, v128, v7
	v_subrev_u32_e32 v11, s12, v7
	v_cmp_le_u32_e32 vcc, s12, v7
	v_mov_b32_e32 v27, v131
	v_mov_b32_e32 v19, v131
	v_cndmask_b32_e32 v7, v7, v11, vcc
	v_subrev_u32_e32 v11, s12, v7
	v_cmp_le_u32_e32 vcc, s12, v7
	v_mov_b32_e32 v43, v131
	v_mov_b32_e32 v51, v131
	v_cndmask_b32_e32 v18, v7, v11, vcc
	v_add_u32_e32 v7, 1, v128
	v_mul_hi_u32 v11, v7, v133
	v_mul_lo_u32 v11, v11, s12
	v_sub_u32_e32 v7, v7, v11
	v_subrev_u32_e32 v11, s12, v7
	v_cmp_le_u32_e32 vcc, s12, v7
	v_add_u32_e32 v26, s47, v18
	v_lshl_add_u64 v[54:55], v[26:27], 1, s[18:19]
	v_cndmask_b32_e32 v7, v7, v11, vcc
	v_subrev_u32_e32 v11, s12, v7
	v_cmp_le_u32_e32 vcc, s12, v7
	v_lshl_add_u64 v[22:23], v[18:19], 1, s[18:19]
	s_nop 0
	v_cndmask_b32_e32 v42, v7, v11, vcc
	v_mul_hi_u32 v7, v130, v133
	v_mul_lo_u32 v7, v7, s12
	v_sub_u32_e32 v7, v130, v7
	v_subrev_u32_e32 v11, s12, v7
	v_cmp_le_u32_e32 vcc, s12, v7
	v_add_u32_e32 v26, s47, v42
	v_lshl_add_u64 v[56:57], v[26:27], 1, s[18:19]
	v_cndmask_b32_e32 v7, v7, v11, vcc
	v_subrev_u32_e32 v11, s12, v7
	v_cmp_le_u32_e32 vcc, s12, v7
	v_lshl_add_u64 v[46:47], v[42:43], 1, s[18:19]
	s_nop 0
	v_cndmask_b32_e32 v50, v7, v11, vcc
	v_add_u32_e32 v26, s47, v50
	v_lshl_add_u64 v[58:59], v[26:27], 1, s[18:19]
	v_add_u32_e32 v26, s48, v18
	v_lshl_add_u64 v[60:61], v[26:27], 1, s[18:19]
	;; [unrolled: 2-line block ×3, first 2 shown]
	v_lshl_add_u64 v[62:63], v[26:27], 1, s[18:19]
	global_load_ushort v39, v[22:23], off
	global_load_ushort v38, v[46:47], off
	;; [unrolled: 1-line block ×8, first 2 shown]
	v_add_u32_e32 v22, s48, v50
	v_mov_b32_e32 v23, v131
	v_lshl_add_u64 v[46:47], v[22:23], 1, s[18:19]
	v_add_u32_e32 v22, s49, v18
	v_add_u32_e32 v18, s50, v18
	v_lshl_add_u64 v[52:53], v[22:23], 1, s[18:19]
	v_add_u32_e32 v22, s49, v42
	v_lshl_add_u64 v[58:59], v[18:19], 1, s[18:19]
	;; [unrolled: 2-line block ×5, first 2 shown]
	v_lshl_add_u64 v[50:51], v[18:19], 1, s[18:19]
	global_load_ushort v23, v[46:47], off
	global_load_ushort v22, v[52:53], off
	;; [unrolled: 1-line block ×7, first 2 shown]
.LBB286_35:                             ;   in Loop: Header=BB286_12 Depth=1
	v_cmp_ne_u32_e32 vcc, 0, v124
	s_and_saveexec_b64 s[8:9], vcc
	s_cbranch_execnz .LBB286_50
; %bb.36:                               ;   in Loop: Header=BB286_12 Depth=1
	s_or_b64 exec, exec, s[8:9]
	v_cmp_ne_u32_e64 s[6:7], 0, v125
	s_and_saveexec_b64 s[10:11], s[6:7]
	s_cbranch_execnz .LBB286_55
.LBB286_37:                             ;   in Loop: Header=BB286_12 Depth=1
	s_or_b64 exec, exec, s[10:11]
	v_cmp_ne_u32_e64 s[8:9], 0, v126
	s_and_saveexec_b64 s[38:39], s[8:9]
	s_cbranch_execnz .LBB286_60
.LBB286_38:                             ;   in Loop: Header=BB286_12 Depth=1
	s_or_b64 exec, exec, s[38:39]
	v_add_u32_e32 v130, s23, v128
	s_and_saveexec_b64 s[38:39], vcc
	s_cbranch_execnz .LBB286_65
.LBB286_39:                             ;   in Loop: Header=BB286_12 Depth=1
	s_or_b64 exec, exec, s[38:39]
	s_and_saveexec_b64 s[38:39], s[6:7]
	s_cbranch_execnz .LBB286_70
.LBB286_40:                             ;   in Loop: Header=BB286_12 Depth=1
	s_or_b64 exec, exec, s[38:39]
	s_and_saveexec_b64 s[38:39], s[8:9]
	s_cbranch_execnz .LBB286_75
.LBB286_41:                             ;   in Loop: Header=BB286_12 Depth=1
	s_or_b64 exec, exec, s[38:39]
	v_add_u32_e32 v130, s23, v130
	s_and_saveexec_b64 s[38:39], vcc
	s_cbranch_execnz .LBB286_80
.LBB286_42:                             ;   in Loop: Header=BB286_12 Depth=1
	s_or_b64 exec, exec, s[38:39]
	s_and_saveexec_b64 s[38:39], s[6:7]
	s_cbranch_execnz .LBB286_85
.LBB286_43:                             ;   in Loop: Header=BB286_12 Depth=1
	s_or_b64 exec, exec, s[38:39]
	s_and_saveexec_b64 s[38:39], s[8:9]
	s_cbranch_execnz .LBB286_90
.LBB286_44:                             ;   in Loop: Header=BB286_12 Depth=1
	s_or_b64 exec, exec, s[38:39]
	v_add_u32_e32 v130, s23, v130
	s_and_saveexec_b64 s[38:39], vcc
	s_cbranch_execnz .LBB286_95
.LBB286_45:                             ;   in Loop: Header=BB286_12 Depth=1
	s_or_b64 exec, exec, s[38:39]
	s_and_saveexec_b64 s[38:39], s[6:7]
	s_cbranch_execnz .LBB286_100
.LBB286_46:                             ;   in Loop: Header=BB286_12 Depth=1
	s_or_b64 exec, exec, s[38:39]
	s_and_saveexec_b64 s[38:39], s[8:9]
	s_cbranch_execnz .LBB286_105
.LBB286_47:                             ;   in Loop: Header=BB286_12 Depth=1
	s_or_b64 exec, exec, s[38:39]
	v_add_u32_e32 v130, s23, v130
	s_and_saveexec_b64 s[10:11], vcc
	s_cbranch_execnz .LBB286_110
.LBB286_48:                             ;   in Loop: Header=BB286_12 Depth=1
	s_or_b64 exec, exec, s[10:11]
	s_and_saveexec_b64 s[10:11], s[6:7]
	s_cbranch_execnz .LBB286_115
.LBB286_49:                             ;   in Loop: Header=BB286_12 Depth=1
	s_or_b64 exec, exec, s[10:11]
	s_and_b64 exec, exec, s[8:9]
	s_cbranch_execnz .LBB286_120
	s_branch .LBB286_125
.LBB286_50:                             ;   in Loop: Header=BB286_12 Depth=1
	v_cvt_f32_i32_e32 v42, v49
	s_waitcnt vmcnt(14)
	v_lshlrev_b32_e32 v39, 16, v39
	v_add_f32_e32 v42, v48, v42
	v_add_f32_e32 v42, v42, v39
	v_and_b32_e32 v39, 0x7f800000, v42
	v_cmp_ne_u32_e64 s[6:7], s56, v39
                                        ; implicit-def: $vgpr39
	s_and_saveexec_b64 s[10:11], s[6:7]
	s_xor_b64 s[6:7], exec, s[10:11]
; %bb.51:                               ;   in Loop: Header=BB286_12 Depth=1
	v_bfe_u32 v39, v42, 16, 1
	v_add3_u32 v39, v42, v39, s57
                                        ; implicit-def: $vgpr42
; %bb.52:                               ;   in Loop: Header=BB286_12 Depth=1
	s_andn2_saveexec_b64 s[10:11], s[6:7]
; %bb.53:                               ;   in Loop: Header=BB286_12 Depth=1
	v_or_b32_e32 v39, 0x10000, v42
	v_cmp_eq_u32_sdwa s[6:7], v42, v131 src0_sel:WORD_0 src1_sel:DWORD
	s_nop 1
	v_cndmask_b32_e64 v39, v39, v42, s[6:7]
; %bb.54:                               ;   in Loop: Header=BB286_12 Depth=1
	s_or_b64 exec, exec, s[10:11]
	v_mov_b32_e32 v129, v131
	v_lshl_add_u64 v[42:43], v[128:129], 1, s[24:25]
	global_store_short_d16_hi v[42:43], v39, off
	s_or_b64 exec, exec, s[8:9]
	v_cmp_ne_u32_e64 s[6:7], 0, v125
	s_and_saveexec_b64 s[10:11], s[6:7]
	s_cbranch_execz .LBB286_37
.LBB286_55:                             ;   in Loop: Header=BB286_12 Depth=1
	s_waitcnt vmcnt(14)
	v_cvt_f32_i32_e32 v39, v41
	s_waitcnt vmcnt(13)
	v_lshlrev_b32_e32 v38, 16, v38
	v_add_f32_e32 v39, v44, v39
	v_add_f32_e32 v39, v39, v38
	v_and_b32_e32 v38, 0x7f800000, v39
	v_cmp_ne_u32_e64 s[8:9], s56, v38
                                        ; implicit-def: $vgpr38
	s_and_saveexec_b64 s[38:39], s[8:9]
	s_xor_b64 s[8:9], exec, s[38:39]
; %bb.56:                               ;   in Loop: Header=BB286_12 Depth=1
	v_bfe_u32 v38, v39, 16, 1
	v_add3_u32 v38, v39, v38, s57
                                        ; implicit-def: $vgpr39
; %bb.57:                               ;   in Loop: Header=BB286_12 Depth=1
	s_andn2_saveexec_b64 s[38:39], s[8:9]
; %bb.58:                               ;   in Loop: Header=BB286_12 Depth=1
	v_or_b32_e32 v38, 0x10000, v39
	v_cmp_eq_u32_sdwa s[8:9], v39, v131 src0_sel:WORD_0 src1_sel:DWORD
	s_nop 1
	v_cndmask_b32_e64 v38, v38, v39, s[8:9]
; %bb.59:                               ;   in Loop: Header=BB286_12 Depth=1
	s_or_b64 exec, exec, s[38:39]
	v_mov_b32_e32 v129, v131
	v_lshl_add_u64 v[42:43], v[128:129], 1, s[30:31]
	global_store_short_d16_hi v[42:43], v38, off
	s_or_b64 exec, exec, s[10:11]
	v_cmp_ne_u32_e64 s[8:9], 0, v126
	s_and_saveexec_b64 s[38:39], s[8:9]
	s_cbranch_execz .LBB286_38
.LBB286_60:                             ;   in Loop: Header=BB286_12 Depth=1
	v_cvt_f32_i32_e32 v37, v37
	s_waitcnt vmcnt(12)
	v_lshlrev_b32_e32 v35, 16, v35
	v_add_f32_e32 v37, v40, v37
	v_add_f32_e32 v37, v37, v35
	v_and_b32_e32 v35, 0x7f800000, v37
	v_cmp_ne_u32_e64 s[10:11], s56, v35
                                        ; implicit-def: $vgpr35
	s_and_saveexec_b64 s[40:41], s[10:11]
	s_xor_b64 s[10:11], exec, s[40:41]
; %bb.61:                               ;   in Loop: Header=BB286_12 Depth=1
	v_bfe_u32 v35, v37, 16, 1
	v_add3_u32 v35, v37, v35, s57
                                        ; implicit-def: $vgpr37
; %bb.62:                               ;   in Loop: Header=BB286_12 Depth=1
	s_andn2_saveexec_b64 s[40:41], s[10:11]
; %bb.63:                               ;   in Loop: Header=BB286_12 Depth=1
	v_or_b32_e32 v35, 0x10000, v37
	v_cmp_eq_u32_sdwa s[10:11], v37, v131 src0_sel:WORD_0 src1_sel:DWORD
	s_nop 1
	v_cndmask_b32_e64 v35, v35, v37, s[10:11]
; %bb.64:                               ;   in Loop: Header=BB286_12 Depth=1
	s_or_b64 exec, exec, s[40:41]
	v_lshl_add_u64 v[38:39], v[130:131], 1, s[24:25]
	global_store_short_d16_hi v[38:39], v35, off
	s_or_b64 exec, exec, s[38:39]
	v_add_u32_e32 v130, s23, v128
	s_and_saveexec_b64 s[38:39], vcc
	s_cbranch_execz .LBB286_39
.LBB286_65:                             ;   in Loop: Header=BB286_12 Depth=1
	v_cvt_f32_i32_e32 v33, v33
	s_waitcnt vmcnt(11)
	v_lshlrev_b32_e32 v34, 16, v34
	v_add_f32_e32 v33, v36, v33
	v_add_f32_e32 v34, v33, v34
	v_and_b32_e32 v33, 0x7f800000, v34
	v_cmp_ne_u32_e64 s[10:11], s56, v33
                                        ; implicit-def: $vgpr33
	s_and_saveexec_b64 s[40:41], s[10:11]
	s_xor_b64 s[10:11], exec, s[40:41]
; %bb.66:                               ;   in Loop: Header=BB286_12 Depth=1
	v_bfe_u32 v33, v34, 16, 1
	v_add3_u32 v33, v34, v33, s57
                                        ; implicit-def: $vgpr34
; %bb.67:                               ;   in Loop: Header=BB286_12 Depth=1
	s_andn2_saveexec_b64 s[40:41], s[10:11]
; %bb.68:                               ;   in Loop: Header=BB286_12 Depth=1
	v_or_b32_e32 v33, 0x10000, v34
	v_cmp_eq_u32_sdwa s[10:11], v34, v131 src0_sel:WORD_0 src1_sel:DWORD
	s_nop 1
	v_cndmask_b32_e64 v33, v33, v34, s[10:11]
; %bb.69:                               ;   in Loop: Header=BB286_12 Depth=1
	s_or_b64 exec, exec, s[40:41]
	v_lshl_add_u64 v[34:35], v[130:131], 1, s[24:25]
	global_store_short_d16_hi v[34:35], v33, off
	s_or_b64 exec, exec, s[38:39]
	s_and_saveexec_b64 s[38:39], s[6:7]
	s_cbranch_execz .LBB286_40
.LBB286_70:                             ;   in Loop: Header=BB286_12 Depth=1
	v_cvt_f32_i32_e32 v30, v30
	s_waitcnt vmcnt(10)
	v_lshlrev_b32_e32 v31, 16, v31
	v_add_f32_e32 v30, v32, v30
	v_add_f32_e32 v31, v30, v31
	v_and_b32_e32 v30, 0x7f800000, v31
	v_cmp_ne_u32_e64 s[10:11], s56, v30
                                        ; implicit-def: $vgpr30
	s_and_saveexec_b64 s[40:41], s[10:11]
	s_xor_b64 s[10:11], exec, s[40:41]
; %bb.71:                               ;   in Loop: Header=BB286_12 Depth=1
	v_bfe_u32 v30, v31, 16, 1
	v_add3_u32 v30, v31, v30, s57
                                        ; implicit-def: $vgpr31
; %bb.72:                               ;   in Loop: Header=BB286_12 Depth=1
	s_andn2_saveexec_b64 s[40:41], s[10:11]
; %bb.73:                               ;   in Loop: Header=BB286_12 Depth=1
	v_or_b32_e32 v30, 0x10000, v31
	v_cmp_eq_u32_sdwa s[10:11], v31, v131 src0_sel:WORD_0 src1_sel:DWORD
	s_nop 1
	v_cndmask_b32_e64 v30, v30, v31, s[10:11]
; %bb.74:                               ;   in Loop: Header=BB286_12 Depth=1
	s_or_b64 exec, exec, s[40:41]
	v_add_u32_e32 v32, 1, v130
	v_mov_b32_e32 v33, v131
	v_lshl_add_u64 v[32:33], v[32:33], 1, s[24:25]
	global_store_short_d16_hi v[32:33], v30, off
	s_or_b64 exec, exec, s[38:39]
	s_and_saveexec_b64 s[38:39], s[8:9]
	s_cbranch_execz .LBB286_41
.LBB286_75:                             ;   in Loop: Header=BB286_12 Depth=1
	v_cvt_f32_i32_e32 v29, v29
	s_waitcnt vmcnt(9)
	v_lshlrev_b32_e32 v27, 16, v27
	v_add_f32_e32 v28, v28, v29
	v_add_f32_e32 v28, v28, v27
	v_and_b32_e32 v27, 0x7f800000, v28
	v_cmp_ne_u32_e64 s[10:11], s56, v27
                                        ; implicit-def: $vgpr27
	s_and_saveexec_b64 s[40:41], s[10:11]
	s_xor_b64 s[10:11], exec, s[40:41]
; %bb.76:                               ;   in Loop: Header=BB286_12 Depth=1
	v_bfe_u32 v27, v28, 16, 1
	v_add3_u32 v27, v28, v27, s57
                                        ; implicit-def: $vgpr28
; %bb.77:                               ;   in Loop: Header=BB286_12 Depth=1
	s_andn2_saveexec_b64 s[40:41], s[10:11]
; %bb.78:                               ;   in Loop: Header=BB286_12 Depth=1
	v_or_b32_e32 v27, 0x10000, v28
	v_cmp_eq_u32_sdwa s[10:11], v28, v131 src0_sel:WORD_0 src1_sel:DWORD
	s_nop 1
	v_cndmask_b32_e64 v27, v27, v28, s[10:11]
; %bb.79:                               ;   in Loop: Header=BB286_12 Depth=1
	s_or_b64 exec, exec, s[40:41]
	v_add_u32_e32 v28, 2, v130
	v_mov_b32_e32 v29, v131
	v_lshl_add_u64 v[28:29], v[28:29], 1, s[24:25]
	global_store_short_d16_hi v[28:29], v27, off
	s_or_b64 exec, exec, s[38:39]
	v_add_u32_e32 v130, s23, v130
	s_and_saveexec_b64 s[38:39], vcc
	s_cbranch_execz .LBB286_42
.LBB286_80:                             ;   in Loop: Header=BB286_12 Depth=1
	v_cvt_f32_i32_e32 v21, v21
	v_add_f32_e32 v21, v24, v21
	s_waitcnt vmcnt(8)
	v_lshlrev_b32_e32 v24, 16, v26
	v_add_f32_e32 v24, v21, v24
	v_and_b32_e32 v21, 0x7f800000, v24
	v_cmp_ne_u32_e64 s[10:11], s56, v21
                                        ; implicit-def: $vgpr21
	s_and_saveexec_b64 s[40:41], s[10:11]
	s_xor_b64 s[10:11], exec, s[40:41]
; %bb.81:                               ;   in Loop: Header=BB286_12 Depth=1
	v_bfe_u32 v21, v24, 16, 1
	v_add3_u32 v21, v24, v21, s57
                                        ; implicit-def: $vgpr24
; %bb.82:                               ;   in Loop: Header=BB286_12 Depth=1
	s_andn2_saveexec_b64 s[40:41], s[10:11]
; %bb.83:                               ;   in Loop: Header=BB286_12 Depth=1
	v_or_b32_e32 v21, 0x10000, v24
	v_cmp_eq_u32_sdwa s[10:11], v24, v131 src0_sel:WORD_0 src1_sel:DWORD
	s_nop 1
	v_cndmask_b32_e64 v21, v21, v24, s[10:11]
; %bb.84:                               ;   in Loop: Header=BB286_12 Depth=1
	s_or_b64 exec, exec, s[40:41]
	v_lshl_add_u64 v[26:27], v[130:131], 1, s[24:25]
	global_store_short_d16_hi v[26:27], v21, off
	s_or_b64 exec, exec, s[38:39]
	s_and_saveexec_b64 s[38:39], s[6:7]
	s_cbranch_execz .LBB286_43
.LBB286_85:                             ;   in Loop: Header=BB286_12 Depth=1
	v_cvt_f32_i32_e32 v17, v17
	v_add_f32_e32 v17, v20, v17
	s_waitcnt vmcnt(7)
	v_lshlrev_b32_e32 v20, 16, v25
	v_add_f32_e32 v20, v17, v20
	v_and_b32_e32 v17, 0x7f800000, v20
	v_cmp_ne_u32_e64 s[10:11], s56, v17
                                        ; implicit-def: $vgpr17
	s_and_saveexec_b64 s[40:41], s[10:11]
	s_xor_b64 s[10:11], exec, s[40:41]
; %bb.86:                               ;   in Loop: Header=BB286_12 Depth=1
	v_bfe_u32 v17, v20, 16, 1
	v_add3_u32 v17, v20, v17, s57
                                        ; implicit-def: $vgpr20
; %bb.87:                               ;   in Loop: Header=BB286_12 Depth=1
	s_andn2_saveexec_b64 s[40:41], s[10:11]
; %bb.88:                               ;   in Loop: Header=BB286_12 Depth=1
	v_or_b32_e32 v17, 0x10000, v20
	v_cmp_eq_u32_sdwa s[10:11], v20, v131 src0_sel:WORD_0 src1_sel:DWORD
	s_nop 1
	v_cndmask_b32_e64 v17, v17, v20, s[10:11]
; %bb.89:                               ;   in Loop: Header=BB286_12 Depth=1
	s_or_b64 exec, exec, s[40:41]
	v_add_u32_e32 v20, 1, v130
	v_mov_b32_e32 v21, v131
	v_lshl_add_u64 v[20:21], v[20:21], 1, s[24:25]
	global_store_short_d16_hi v[20:21], v17, off
	s_or_b64 exec, exec, s[38:39]
	s_and_saveexec_b64 s[38:39], s[8:9]
	s_cbranch_execz .LBB286_44
.LBB286_90:                             ;   in Loop: Header=BB286_12 Depth=1
	v_cvt_f32_i32_e32 v14, v14
	v_add_f32_e32 v14, v16, v14
	s_waitcnt vmcnt(6)
	v_lshlrev_b32_e32 v16, 16, v23
	v_add_f32_e32 v16, v14, v16
	v_and_b32_e32 v14, 0x7f800000, v16
	v_cmp_ne_u32_e64 s[10:11], s56, v14
                                        ; implicit-def: $vgpr14
	s_and_saveexec_b64 s[40:41], s[10:11]
	s_xor_b64 s[10:11], exec, s[40:41]
; %bb.91:                               ;   in Loop: Header=BB286_12 Depth=1
	v_bfe_u32 v14, v16, 16, 1
	v_add3_u32 v14, v16, v14, s57
                                        ; implicit-def: $vgpr16
; %bb.92:                               ;   in Loop: Header=BB286_12 Depth=1
	s_andn2_saveexec_b64 s[40:41], s[10:11]
; %bb.93:                               ;   in Loop: Header=BB286_12 Depth=1
	v_or_b32_e32 v14, 0x10000, v16
	v_cmp_eq_u32_sdwa s[10:11], v16, v131 src0_sel:WORD_0 src1_sel:DWORD
	s_nop 1
	v_cndmask_b32_e64 v14, v14, v16, s[10:11]
; %bb.94:                               ;   in Loop: Header=BB286_12 Depth=1
	s_or_b64 exec, exec, s[40:41]
	v_add_u32_e32 v16, 2, v130
	v_mov_b32_e32 v17, v131
	v_lshl_add_u64 v[16:17], v[16:17], 1, s[24:25]
	global_store_short_d16_hi v[16:17], v14, off
	s_or_b64 exec, exec, s[38:39]
	v_add_u32_e32 v130, s23, v130
	s_and_saveexec_b64 s[38:39], vcc
	s_cbranch_execz .LBB286_45
.LBB286_95:                             ;   in Loop: Header=BB286_12 Depth=1
	v_cvt_f32_i32_e32 v10, v10
	v_add_f32_e32 v10, v13, v10
	s_waitcnt vmcnt(5)
	v_lshlrev_b32_e32 v13, 16, v22
	v_add_f32_e32 v13, v10, v13
	v_and_b32_e32 v10, 0x7f800000, v13
	v_cmp_ne_u32_e64 s[10:11], s56, v10
                                        ; implicit-def: $vgpr10
	s_and_saveexec_b64 s[40:41], s[10:11]
	s_xor_b64 s[10:11], exec, s[40:41]
; %bb.96:                               ;   in Loop: Header=BB286_12 Depth=1
	v_bfe_u32 v10, v13, 16, 1
	v_add3_u32 v10, v13, v10, s57
                                        ; implicit-def: $vgpr13
; %bb.97:                               ;   in Loop: Header=BB286_12 Depth=1
	s_andn2_saveexec_b64 s[40:41], s[10:11]
; %bb.98:                               ;   in Loop: Header=BB286_12 Depth=1
	v_or_b32_e32 v10, 0x10000, v13
	v_cmp_eq_u32_sdwa s[10:11], v13, v131 src0_sel:WORD_0 src1_sel:DWORD
	s_nop 1
	v_cndmask_b32_e64 v10, v10, v13, s[10:11]
; %bb.99:                               ;   in Loop: Header=BB286_12 Depth=1
	s_or_b64 exec, exec, s[40:41]
	v_lshl_add_u64 v[16:17], v[130:131], 1, s[24:25]
	global_store_short_d16_hi v[16:17], v10, off
	s_or_b64 exec, exec, s[38:39]
	s_and_saveexec_b64 s[38:39], s[6:7]
	s_cbranch_execz .LBB286_46
.LBB286_100:                            ;   in Loop: Header=BB286_12 Depth=1
	v_cvt_f32_i32_e32 v8, v8
	s_waitcnt vmcnt(4)
	v_lshlrev_b32_e32 v10, 16, v19
	v_add_f32_e32 v8, v12, v8
	v_add_f32_e32 v10, v8, v10
	v_and_b32_e32 v8, 0x7f800000, v10
	v_cmp_ne_u32_e64 s[10:11], s56, v8
                                        ; implicit-def: $vgpr8
	s_and_saveexec_b64 s[40:41], s[10:11]
	s_xor_b64 s[10:11], exec, s[40:41]
; %bb.101:                              ;   in Loop: Header=BB286_12 Depth=1
	v_bfe_u32 v8, v10, 16, 1
	v_add3_u32 v8, v10, v8, s57
                                        ; implicit-def: $vgpr10
; %bb.102:                              ;   in Loop: Header=BB286_12 Depth=1
	s_andn2_saveexec_b64 s[40:41], s[10:11]
; %bb.103:                              ;   in Loop: Header=BB286_12 Depth=1
	v_or_b32_e32 v8, 0x10000, v10
	v_cmp_eq_u32_sdwa s[10:11], v10, v131 src0_sel:WORD_0 src1_sel:DWORD
	s_nop 1
	v_cndmask_b32_e64 v8, v8, v10, s[10:11]
; %bb.104:                              ;   in Loop: Header=BB286_12 Depth=1
	s_or_b64 exec, exec, s[40:41]
	v_add_u32_e32 v12, 1, v130
	v_mov_b32_e32 v13, v131
	v_lshl_add_u64 v[12:13], v[12:13], 1, s[24:25]
	global_store_short_d16_hi v[12:13], v8, off
	s_or_b64 exec, exec, s[38:39]
	s_and_saveexec_b64 s[38:39], s[8:9]
	s_cbranch_execz .LBB286_47
.LBB286_105:                            ;   in Loop: Header=BB286_12 Depth=1
	v_cvt_f32_i32_e32 v8, v9
	v_add_f32_e32 v6, v6, v8
	s_waitcnt vmcnt(3)
	v_lshlrev_b32_e32 v8, 16, v18
	v_add_f32_e32 v8, v6, v8
	v_and_b32_e32 v6, 0x7f800000, v8
	v_cmp_ne_u32_e64 s[10:11], s56, v6
                                        ; implicit-def: $vgpr6
	s_and_saveexec_b64 s[40:41], s[10:11]
	s_xor_b64 s[10:11], exec, s[40:41]
; %bb.106:                              ;   in Loop: Header=BB286_12 Depth=1
	v_bfe_u32 v6, v8, 16, 1
	v_add3_u32 v6, v8, v6, s57
                                        ; implicit-def: $vgpr8
; %bb.107:                              ;   in Loop: Header=BB286_12 Depth=1
	s_andn2_saveexec_b64 s[40:41], s[10:11]
; %bb.108:                              ;   in Loop: Header=BB286_12 Depth=1
	v_or_b32_e32 v6, 0x10000, v8
	v_cmp_eq_u32_sdwa s[10:11], v8, v131 src0_sel:WORD_0 src1_sel:DWORD
	s_nop 1
	v_cndmask_b32_e64 v6, v6, v8, s[10:11]
; %bb.109:                              ;   in Loop: Header=BB286_12 Depth=1
	s_or_b64 exec, exec, s[40:41]
	v_add_u32_e32 v8, 2, v130
	v_mov_b32_e32 v9, v131
	v_lshl_add_u64 v[8:9], v[8:9], 1, s[24:25]
	global_store_short_d16_hi v[8:9], v6, off
	s_or_b64 exec, exec, s[38:39]
	v_add_u32_e32 v130, s23, v130
	s_and_saveexec_b64 s[10:11], vcc
	s_cbranch_execz .LBB286_48
.LBB286_110:                            ;   in Loop: Header=BB286_12 Depth=1
	v_cvt_f32_i32_e32 v5, v5
	v_add_f32_e32 v4, v4, v5
	s_waitcnt vmcnt(2)
	v_lshlrev_b32_e32 v5, 16, v15
	v_add_f32_e32 v5, v4, v5
	v_and_b32_e32 v4, 0x7f800000, v5
	v_cmp_ne_u32_e32 vcc, s56, v4
                                        ; implicit-def: $vgpr4
	s_and_saveexec_b64 s[38:39], vcc
	s_xor_b64 s[38:39], exec, s[38:39]
; %bb.111:                              ;   in Loop: Header=BB286_12 Depth=1
	v_bfe_u32 v4, v5, 16, 1
	v_add3_u32 v4, v5, v4, s57
                                        ; implicit-def: $vgpr5
; %bb.112:                              ;   in Loop: Header=BB286_12 Depth=1
	s_andn2_saveexec_b64 s[38:39], s[38:39]
; %bb.113:                              ;   in Loop: Header=BB286_12 Depth=1
	v_or_b32_e32 v4, 0x10000, v5
	v_cmp_eq_u32_sdwa vcc, v5, v131 src0_sel:WORD_0 src1_sel:DWORD
	s_nop 1
	v_cndmask_b32_e32 v4, v4, v5, vcc
; %bb.114:                              ;   in Loop: Header=BB286_12 Depth=1
	s_or_b64 exec, exec, s[38:39]
	v_lshl_add_u64 v[8:9], v[130:131], 1, s[24:25]
	global_store_short_d16_hi v[8:9], v4, off
	s_or_b64 exec, exec, s[10:11]
	s_and_saveexec_b64 s[10:11], s[6:7]
	s_cbranch_execz .LBB286_49
.LBB286_115:                            ;   in Loop: Header=BB286_12 Depth=1
	v_cvt_f32_i32_e32 v3, v3
	v_add_f32_e32 v2, v2, v3
	s_waitcnt vmcnt(1)
	v_lshlrev_b32_e32 v3, 16, v11
	v_add_f32_e32 v3, v2, v3
	v_and_b32_e32 v2, 0x7f800000, v3
	v_cmp_ne_u32_e32 vcc, s56, v2
                                        ; implicit-def: $vgpr2
	s_and_saveexec_b64 s[6:7], vcc
	s_xor_b64 s[6:7], exec, s[6:7]
; %bb.116:                              ;   in Loop: Header=BB286_12 Depth=1
	v_bfe_u32 v2, v3, 16, 1
	v_add3_u32 v2, v3, v2, s57
                                        ; implicit-def: $vgpr3
; %bb.117:                              ;   in Loop: Header=BB286_12 Depth=1
	s_andn2_saveexec_b64 s[6:7], s[6:7]
; %bb.118:                              ;   in Loop: Header=BB286_12 Depth=1
	v_or_b32_e32 v2, 0x10000, v3
	v_cmp_eq_u32_sdwa vcc, v3, v131 src0_sel:WORD_0 src1_sel:DWORD
	s_nop 1
	v_cndmask_b32_e32 v2, v2, v3, vcc
; %bb.119:                              ;   in Loop: Header=BB286_12 Depth=1
	s_or_b64 exec, exec, s[6:7]
	v_add_u32_e32 v4, 1, v130
	v_mov_b32_e32 v5, v131
	v_lshl_add_u64 v[4:5], v[4:5], 1, s[24:25]
	global_store_short_d16_hi v[4:5], v2, off
	s_or_b64 exec, exec, s[10:11]
	s_and_b64 exec, exec, s[8:9]
	s_cbranch_execz .LBB286_125
.LBB286_120:                            ;   in Loop: Header=BB286_12 Depth=1
	v_cvt_f32_i32_e32 v1, v1
	v_add_f32_e32 v0, v0, v1
	s_waitcnt vmcnt(0)
	v_lshlrev_b32_e32 v1, 16, v7
	v_add_f32_e32 v1, v0, v1
	v_and_b32_e32 v0, 0x7f800000, v1
	v_cmp_ne_u32_e32 vcc, s56, v0
                                        ; implicit-def: $vgpr0
	s_and_saveexec_b64 s[6:7], vcc
	s_xor_b64 s[6:7], exec, s[6:7]
; %bb.121:                              ;   in Loop: Header=BB286_12 Depth=1
	v_bfe_u32 v0, v1, 16, 1
	v_add3_u32 v0, v1, v0, s57
                                        ; implicit-def: $vgpr1
; %bb.122:                              ;   in Loop: Header=BB286_12 Depth=1
	s_andn2_saveexec_b64 s[6:7], s[6:7]
; %bb.123:                              ;   in Loop: Header=BB286_12 Depth=1
	v_or_b32_e32 v0, 0x10000, v1
	v_cmp_eq_u32_sdwa vcc, v1, v131 src0_sel:WORD_0 src1_sel:DWORD
	s_nop 1
	v_cndmask_b32_e32 v0, v0, v1, vcc
; %bb.124:                              ;   in Loop: Header=BB286_12 Depth=1
	s_or_b64 exec, exec, s[6:7]
	v_add_u32_e32 v130, 2, v130
	v_lshl_add_u64 v[2:3], v[130:131], 1, s[24:25]
	global_store_short_d16_hi v[2:3], v0, off
.LBB286_125:                            ;   in Loop: Header=BB286_12 Depth=1
	s_or_b64 exec, exec, s[36:37]
	v_add_u32_e32 v128, s46, v128
	v_add_u32_e32 v0, 3, v128
	v_cmp_gt_u32_e32 vcc, s23, v128
	v_cmp_le_u32_e64 s[6:7], s23, v0
	s_and_b64 s[6:7], vcc, s[6:7]
	s_and_saveexec_b64 s[8:9], s[6:7]
	s_cbranch_execz .LBB286_10
; %bb.126:                              ;   in Loop: Header=BB286_12 Depth=1
	v_cmp_ne_u32_e32 vcc, s13, v128
	s_and_saveexec_b64 s[10:11], vcc
	s_cbranch_execz .LBB286_9
; %bb.127:                              ;   in Loop: Header=BB286_12 Depth=1
	v_subrev_u32_e32 v0, s13, v128
	v_cmp_lt_u32_e32 vcc, 1, v0
	s_mov_b64 s[36:37], 0
	s_mov_b64 s[38:39], 0
	v_cndmask_b32_e32 v0, 1, v0, vcc
.LBB286_128:                            ;   Parent Loop BB286_12 Depth=1
                                        ; =>  This Inner Loop Header: Depth=2
	s_cmp_lg_u32 s38, 2
	s_cselect_b64 vcc, -1, 0
	s_cmp_lg_u32 s38, 1
	v_cndmask_b32_e32 v126, 0, v126, vcc
	s_cselect_b64 vcc, -1, 0
	s_cmp_lg_u32 s38, 0
	v_cndmask_b32_e32 v125, 0, v125, vcc
	s_cselect_b64 vcc, -1, 0
	s_add_u32 s38, s38, 1
	s_addc_u32 s39, s39, 0
	v_cmp_eq_u32_e64 s[6:7], s38, v0
	s_or_b64 s[36:37], s[6:7], s[36:37]
	v_cndmask_b32_e32 v124, 0, v124, vcc
	s_andn2_b64 exec, exec, s[36:37]
	s_cbranch_execnz .LBB286_128
; %bb.129:                              ;   in Loop: Header=BB286_12 Depth=1
	s_or_b64 exec, exec, s[36:37]
	s_branch .LBB286_9
.LBB286_130:
	s_endpgm
	.section	.rodata,"a",@progbits
	.p2align	6, 0x0
	.amdhsa_kernel _Z16wvSplitK_hf_big_I14__hip_bfloat16Li32ELi3ELi16ELi8ELi2ELi5EEviiiiiiPKT_S3_S3_PS1_ii
		.amdhsa_group_segment_fixed_size 65536
		.amdhsa_private_segment_fixed_size 0
		.amdhsa_kernarg_size 64
		.amdhsa_user_sgpr_count 2
		.amdhsa_user_sgpr_dispatch_ptr 0
		.amdhsa_user_sgpr_queue_ptr 0
		.amdhsa_user_sgpr_kernarg_segment_ptr 1
		.amdhsa_user_sgpr_dispatch_id 0
		.amdhsa_user_sgpr_kernarg_preload_length 0
		.amdhsa_user_sgpr_kernarg_preload_offset 0
		.amdhsa_user_sgpr_private_segment_size 0
		.amdhsa_uses_dynamic_stack 0
		.amdhsa_enable_private_segment 0
		.amdhsa_system_sgpr_workgroup_id_x 1
		.amdhsa_system_sgpr_workgroup_id_y 0
		.amdhsa_system_sgpr_workgroup_id_z 0
		.amdhsa_system_sgpr_workgroup_info 0
		.amdhsa_system_vgpr_workitem_id 1
		.amdhsa_next_free_vgpr 149
		.amdhsa_next_free_sgpr 58
		.amdhsa_accum_offset 152
		.amdhsa_reserve_vcc 1
		.amdhsa_float_round_mode_32 0
		.amdhsa_float_round_mode_16_64 0
		.amdhsa_float_denorm_mode_32 3
		.amdhsa_float_denorm_mode_16_64 3
		.amdhsa_dx10_clamp 1
		.amdhsa_ieee_mode 1
		.amdhsa_fp16_overflow 0
		.amdhsa_tg_split 0
		.amdhsa_exception_fp_ieee_invalid_op 0
		.amdhsa_exception_fp_denorm_src 0
		.amdhsa_exception_fp_ieee_div_zero 0
		.amdhsa_exception_fp_ieee_overflow 0
		.amdhsa_exception_fp_ieee_underflow 0
		.amdhsa_exception_fp_ieee_inexact 0
		.amdhsa_exception_int_div_zero 0
	.end_amdhsa_kernel
	.section	.text._Z16wvSplitK_hf_big_I14__hip_bfloat16Li32ELi3ELi16ELi8ELi2ELi5EEviiiiiiPKT_S3_S3_PS1_ii,"axG",@progbits,_Z16wvSplitK_hf_big_I14__hip_bfloat16Li32ELi3ELi16ELi8ELi2ELi5EEviiiiiiPKT_S3_S3_PS1_ii,comdat
.Lfunc_end286:
	.size	_Z16wvSplitK_hf_big_I14__hip_bfloat16Li32ELi3ELi16ELi8ELi2ELi5EEviiiiiiPKT_S3_S3_PS1_ii, .Lfunc_end286-_Z16wvSplitK_hf_big_I14__hip_bfloat16Li32ELi3ELi16ELi8ELi2ELi5EEviiiiiiPKT_S3_S3_PS1_ii
                                        ; -- End function
	.section	.AMDGPU.csdata,"",@progbits
; Kernel info:
; codeLenInByte = 7556
; NumSgprs: 64
; NumVgprs: 149
; NumAgprs: 0
; TotalNumVgprs: 149
; ScratchSize: 0
; MemoryBound: 0
; FloatMode: 240
; IeeeMode: 1
; LDSByteSize: 65536 bytes/workgroup (compile time only)
; SGPRBlocks: 7
; VGPRBlocks: 18
; NumSGPRsForWavesPerEU: 64
; NumVGPRsForWavesPerEU: 149
; AccumOffset: 152
; Occupancy: 2
; WaveLimiterHint : 0
; COMPUTE_PGM_RSRC2:SCRATCH_EN: 0
; COMPUTE_PGM_RSRC2:USER_SGPR: 2
; COMPUTE_PGM_RSRC2:TRAP_HANDLER: 0
; COMPUTE_PGM_RSRC2:TGID_X_EN: 1
; COMPUTE_PGM_RSRC2:TGID_Y_EN: 0
; COMPUTE_PGM_RSRC2:TGID_Z_EN: 0
; COMPUTE_PGM_RSRC2:TIDIG_COMP_CNT: 1
; COMPUTE_PGM_RSRC3_GFX90A:ACCUM_OFFSET: 37
; COMPUTE_PGM_RSRC3_GFX90A:TG_SPLIT: 0
	.section	.text._Z16wvSplitK_hf_sml_I14__hip_bfloat16Li32ELi4ELi16ELi8ELi1ELi5EEviiiiiiPKT_S3_S3_PS1_ii,"axG",@progbits,_Z16wvSplitK_hf_sml_I14__hip_bfloat16Li32ELi4ELi16ELi8ELi1ELi5EEviiiiiiPKT_S3_S3_PS1_ii,comdat
	.protected	_Z16wvSplitK_hf_sml_I14__hip_bfloat16Li32ELi4ELi16ELi8ELi1ELi5EEviiiiiiPKT_S3_S3_PS1_ii ; -- Begin function _Z16wvSplitK_hf_sml_I14__hip_bfloat16Li32ELi4ELi16ELi8ELi1ELi5EEviiiiiiPKT_S3_S3_PS1_ii
	.globl	_Z16wvSplitK_hf_sml_I14__hip_bfloat16Li32ELi4ELi16ELi8ELi1ELi5EEviiiiiiPKT_S3_S3_PS1_ii
	.p2align	8
	.type	_Z16wvSplitK_hf_sml_I14__hip_bfloat16Li32ELi4ELi16ELi8ELi1ELi5EEviiiiiiPKT_S3_S3_PS1_ii,@function
_Z16wvSplitK_hf_sml_I14__hip_bfloat16Li32ELi4ELi16ELi8ELi1ELi5EEviiiiiiPKT_S3_S3_PS1_ii: ; @_Z16wvSplitK_hf_sml_I14__hip_bfloat16Li32ELi4ELi16ELi8ELi1ELi5EEviiiiiiPKT_S3_S3_PS1_ii
; %bb.0:
	s_load_dwordx4 s[4:7], s[0:1], 0x0
	v_and_b32_e32 v4, 0x3ff, v0
	v_bfe_u32 v5, v0, 10, 10
	v_lshlrev_b32_e32 v128, 3, v4
	v_lshl_add_u32 v6, v5, 8, v128
	s_waitcnt lgkmcnt(0)
	s_mul_i32 s3, s6, 5
	s_min_u32 s3, s3, 0x8000
	v_cmp_gt_u32_e32 vcc, s3, v6
	s_and_saveexec_b64 s[8:9], vcc
	s_cbranch_execz .LBB287_9
; %bb.1:
	s_load_dwordx2 s[10:11], s[0:1], 0x20
	v_lshlrev_b32_e32 v0, 1, v6
	v_add_u32_e32 v1, 0x1000, v6
	v_cmp_gt_u32_e32 vcc, s3, v1
	s_waitcnt lgkmcnt(0)
	global_load_dwordx4 v[8:11], v0, s[10:11]
	s_waitcnt vmcnt(0)
	ds_write_b128 v0, v[8:11]
	s_and_saveexec_b64 s[12:13], vcc
	s_xor_b64 s[12:13], exec, s[12:13]
	s_cbranch_execz .LBB287_9
; %bb.2:
	v_mov_b32_e32 v1, 0
	v_lshl_add_u64 v[2:3], s[10:11], 0, v[0:1]
	v_add_co_u32_e32 v8, vcc, 0x2000, v2
	v_add_u32_e32 v1, 0x2000, v6
	s_nop 0
	v_addc_co_u32_e32 v9, vcc, 0, v3, vcc
	global_load_dwordx4 v[8:11], v[8:9], off
	v_cmp_gt_u32_e32 vcc, s3, v1
	s_waitcnt vmcnt(0)
	ds_write_b128 v0, v[8:11] offset:8192
	s_and_saveexec_b64 s[10:11], vcc
	s_xor_b64 s[10:11], exec, s[10:11]
	s_cbranch_execz .LBB287_9
; %bb.3:
	v_add_co_u32_e32 v8, vcc, 0x4000, v2
	v_add_u32_e32 v1, 0x3000, v6
	s_nop 0
	v_addc_co_u32_e32 v9, vcc, 0, v3, vcc
	global_load_dwordx4 v[8:11], v[8:9], off
	v_cmp_gt_u32_e32 vcc, s3, v1
	s_waitcnt vmcnt(0)
	ds_write_b128 v0, v[8:11] offset:16384
	s_and_saveexec_b64 s[10:11], vcc
	s_xor_b64 s[10:11], exec, s[10:11]
	s_cbranch_execz .LBB287_9
; %bb.4:
	;; [unrolled: 12-line block ×6, first 2 shown]
	v_add_co_u32_e32 v2, vcc, 0xe000, v2
	s_nop 1
	v_addc_co_u32_e32 v3, vcc, 0, v3, vcc
	global_load_dwordx4 v[6:9], v[2:3], off
	s_waitcnt vmcnt(0)
	ds_write_b128 v0, v[6:9] offset:57344
.LBB287_9:
	s_or_b64 exec, exec, s[8:9]
	s_load_dwordx2 s[16:17], s[0:1], 0x38
	s_waitcnt lgkmcnt(0)
	s_barrier
	v_cmp_gt_u32_e32 vcc, s16, v5
	s_and_saveexec_b64 s[8:9], vcc
	s_cbranch_execz .LBB287_102
; %bb.10:
	s_load_dwordx2 s[12:13], s[0:1], 0x10
	s_mul_i32 s2, s2, s16
	v_add_lshl_u32 v112, s2, v5, 2
	v_cmp_gt_u32_e32 vcc, s7, v112
	s_and_b64 exec, exec, vcc
	s_cbranch_execz .LBB287_102
; %bb.11:
	s_load_dwordx4 s[8:11], s[0:1], 0x28
	s_load_dwordx2 s[14:15], s[0:1], 0x18
	s_cmp_lg_u32 s4, 0
	s_cselect_b64 s[2:3], -1, 0
	s_add_i32 s24, s4, -8
	s_add_i32 s25, s7, -1
	s_waitcnt lgkmcnt(0)
	s_cmp_lg_u64 s[8:9], 0
	s_cselect_b64 s[18:19], -1, 0
	s_abs_i32 s21, s13
	v_cvt_f32_u32_e32 v0, s12
	v_cvt_f32_u32_e32 v1, s21
	s_mul_i32 s20, s16, s17
	s_lshl_b32 s13, s20, 2
	v_rcp_iflag_f32_e32 v0, v0
	v_rcp_iflag_f32_e32 v1, v1
	s_sub_i32 s20, 0, s12
	v_cmp_eq_u32_e64 s[0:1], 31, v4
	v_mul_f32_e32 v0, 0x4f7ffffe, v0
	v_mul_f32_e32 v1, 0x4f7ffffe, v1
	v_cvt_u32_f32_e32 v0, v0
	v_cvt_u32_f32_e32 v1, v1
	s_mov_b64 s[16:17], 0
	v_mov_b32_e32 v115, 0
	v_mul_lo_u32 v2, s20, v0
	s_sub_i32 s20, 0, s21
	v_readfirstlane_b32 s22, v1
	s_mul_i32 s20, s20, s22
	s_mul_hi_u32 s20, s22, s20
	s_add_i32 s22, s22, s20
	s_sub_i32 s20, 1, s21
	s_cmp_lt_u32 s21, 2
	s_cselect_b32 s20, s20, 1
	s_sub_i32 s23, s20, s21
	s_cmp_ge_u32 s20, s21
	s_cselect_b32 s26, s23, s20
	s_lshr_b32 s20, s22, 31
	s_mul_i32 s20, s20, s21
	s_sub_i32 s20, 2, s20
	s_sub_i32 s23, s20, s21
	s_cmp_ge_u32 s20, s21
	s_cselect_b32 s20, s23, s20
	s_sub_i32 s23, s20, s21
	s_cmp_ge_u32 s20, s21
	s_cselect_b32 s27, s23, s20
	s_mul_hi_u32 s20, s22, 3
	s_mul_i32 s20, s20, s21
	s_sub_i32 s20, 3, s20
	s_sub_i32 s23, s20, s21
	s_cmp_ge_u32 s20, s21
	s_cselect_b32 s20, s23, s20
	s_sub_i32 s23, s20, s21
	s_cmp_ge_u32 s20, s21
	s_cselect_b32 s28, s23, s20
	s_lshr_b32 s20, s22, 30
	s_mul_i32 s20, s20, s21
	s_sub_i32 s20, 4, s20
	s_sub_i32 s22, s20, s21
	s_cmp_ge_u32 s20, s21
	s_cselect_b32 s20, s22, s20
	s_sub_i32 s22, s20, s21
	v_mul_hi_u32 v2, v0, v2
	s_cmp_ge_u32 s20, s21
	v_add_u32_e32 v129, v0, v2
	s_cselect_b32 s29, s22, s20
	v_cndmask_b32_e64 v0, 0, 1, s[2:3]
	s_mul_i32 s26, s26, s12
	s_mul_i32 s27, s27, s12
	;; [unrolled: 1-line block ×4, first 2 shown]
	s_lshl_b32 s30, s6, 3
	v_lshlrev_b32_e32 v130, 4, v4
	s_mul_i32 s31, s6, 6
	s_lshl_b32 s33, s6, 2
	s_lshl_b32 s6, s6, 1
	v_cmp_ne_u32_e64 s[2:3], 1, v0
	s_mov_b32 s34, 0x7f800000
	s_movk_i32 s35, 0x7fff
	s_branch .LBB287_14
.LBB287_12:                             ;   in Loop: Header=BB287_14 Depth=1
	s_or_b64 exec, exec, s[22:23]
	global_store_short_d16_hi v[0:1], v3, off offset:6
.LBB287_13:                             ;   in Loop: Header=BB287_14 Depth=1
	s_or_b64 exec, exec, s[20:21]
	v_add_u32_e32 v112, s13, v112
	v_cmp_le_u32_e32 vcc, s7, v112
	s_or_b64 s[16:17], vcc, s[16:17]
	s_andn2_b64 exec, exec, s[16:17]
	s_cbranch_execz .LBB287_102
.LBB287_14:                             ; =>This Loop Header: Depth=1
                                        ;     Child Loop BB287_17 Depth 2
	s_and_b64 vcc, exec, s[2:3]
	v_mov_b32_e32 v11, v115
	v_mov_b32_e32 v10, v115
	;; [unrolled: 1-line block ×80, first 2 shown]
	s_cbranch_vccnz .LBB287_19
; %bb.15:                               ;   in Loop: Header=BB287_14 Depth=1
	v_min_u32_e32 v0, s25, v112
	v_mul_lo_u32 v116, v0, s5
	v_or_b32_e32 v0, 1, v112
	v_min_u32_e32 v0, s25, v0
	v_mul_lo_u32 v118, v0, s5
	v_or_b32_e32 v0, 2, v112
	;; [unrolled: 3-line block ×3, first 2 shown]
	v_min_u32_e32 v0, s25, v0
	v_mov_b32_e32 v16, 0
	v_mov_b32_e32 v117, v115
	;; [unrolled: 1-line block ×4, first 2 shown]
	v_mul_lo_u32 v122, v0, s5
	v_mov_b32_e32 v123, v115
	s_mov_b32 s22, 0
	v_mov_b32_e32 v113, v130
	v_mov_b32_e32 v17, v16
	;; [unrolled: 1-line block ×80, first 2 shown]
	s_branch .LBB287_17
.LBB287_16:                             ;   in Loop: Header=BB287_17 Depth=2
	s_or_b64 exec, exec, s[20:21]
	s_waitcnt vmcnt(3) lgkmcnt(1)
	v_mfma_f32_4x4x4_16b_bf16 v[76:79], v[108:109], v[92:93], v[76:79]
	s_addk_i32 s22, 0x100
	s_waitcnt vmcnt(2)
	v_mfma_f32_4x4x4_16b_bf16 v[72:75], v[108:109], v[88:89], v[72:75]
	v_add_u32_e32 v113, 0x200, v113
	s_waitcnt vmcnt(1)
	v_mfma_f32_4x4x4_16b_bf16 v[68:71], v[108:109], v[96:97], v[68:71]
	s_cmp_ge_u32 s22, s4
	s_waitcnt vmcnt(0)
	v_mfma_f32_4x4x4_16b_bf16 v[64:67], v[108:109], v[80:81], v[64:67]
	v_mfma_f32_4x4x4_16b_bf16 v[60:63], v[104:105], v[92:93], v[60:63]
	;; [unrolled: 1-line block ×13, first 2 shown]
	s_waitcnt lgkmcnt(0)
	v_mfma_f32_4x4x4_16b_bf16 v[12:15], v[84:85], v[92:93], v[12:15]
	v_mfma_f32_4x4x4_16b_bf16 v[4:7], v[84:85], v[88:89], v[4:7]
	;; [unrolled: 1-line block ×24, first 2 shown]
	s_cbranch_scc1 .LBB287_19
.LBB287_17:                             ;   Parent Loop BB287_14 Depth=1
                                        ; =>  This Inner Loop Header: Depth=2
	v_add_u32_e32 v100, s22, v128
	v_min_u32_e32 v114, s24, v100
	v_lshl_add_u64 v[80:81], v[114:115], 1, s[14:15]
	v_lshl_add_u64 v[82:83], v[116:117], 1, v[80:81]
	;; [unrolled: 1-line block ×3, first 2 shown]
	global_load_dwordx4 v[92:95], v[82:83], off nt
	global_load_dwordx4 v[88:91], v[84:85], off nt
	v_lshl_add_u64 v[84:85], v[120:121], 1, v[80:81]
	v_lshl_add_u64 v[86:87], v[122:123], 1, v[80:81]
	global_load_dwordx4 v[96:99], v[84:85], off nt
	global_load_dwordx4 v[80:83], v[86:87], off nt
	v_cmp_gt_u32_e32 vcc, s4, v100
	v_mov_b32_e32 v86, 0
	v_mov_b32_e32 v87, 0
	;; [unrolled: 1-line block ×20, first 2 shown]
	s_and_saveexec_b64 s[20:21], vcc
	s_cbranch_execz .LBB287_16
; %bb.18:                               ;   in Loop: Header=BB287_17 Depth=2
	v_add_u32_e32 v84, s6, v113
	v_add_u32_e32 v85, s33, v113
	ds_read_b128 v[104:107], v84
	ds_read2_b32 v[126:127], v85 offset1:1
	v_add_u32_e32 v84, s31, v113
	ds_read2_b32 v[124:125], v85 offset0:2 offset1:3
	ds_read_b128 v[100:103], v84
	v_add_u32_e32 v84, s30, v113
	ds_read_b128 v[108:111], v113
	ds_read2_b64 v[84:87], v84 offset1:1
	s_branch .LBB287_16
.LBB287_19:                             ;   in Loop: Header=BB287_14 Depth=1
	; sched_barrier mask(0x00000000)
	v_cvt_i32_f32_e32 v77, v77
	v_cvt_i32_f32_e32 v78, v78
	;; [unrolled: 1-line block ×4, first 2 shown]
	v_cvt_f32_i32_dpp v77, v77 row_shl:1 row_mask:0xf bank_mask:0xf bound_ctrl:1
	v_cvt_f32_i32_dpp v78, v78 row_shl:2 row_mask:0xf bank_mask:0xf bound_ctrl:1
	;; [unrolled: 1-line block ×3, first 2 shown]
	v_cvt_i32_f32_e32 v74, v74
	v_add_f32_e32 v76, v76, v77
	v_add_f32_e32 v76, v76, v78
	;; [unrolled: 1-line block ×3, first 2 shown]
	v_cvt_i32_f32_e32 v77, v76
	v_cvt_i32_f32_e32 v75, v75
	v_cvt_f32_i32_dpp v73, v73 row_shl:1 row_mask:0xf bank_mask:0xf bound_ctrl:1
	v_cvt_f32_i32_dpp v74, v74 row_shl:2 row_mask:0xf bank_mask:0xf bound_ctrl:1
	;; [unrolled: 1-line block ×4, first 2 shown]
	v_add_f32_e32 v72, v72, v73
	v_cvt_i32_f32_e32 v69, v69
	v_add_f32_e32 v73, v76, v77
	v_cvt_i32_f32_e32 v76, v73
	v_add_f32_e32 v72, v72, v74
	v_add_f32_e32 v72, v72, v75
	v_cvt_i32_f32_e32 v70, v70
	v_cvt_i32_f32_e32 v74, v72
	v_cvt_i32_f32_e32 v71, v71
	v_cvt_f32_i32_dpp v75, v76 row_shl:8 row_mask:0xf bank_mask:0xf bound_ctrl:1
	v_cvt_f32_i32_dpp v69, v69 row_shl:1 row_mask:0xf bank_mask:0xf bound_ctrl:1
	;; [unrolled: 1-line block ×5, first 2 shown]
	v_add_f32_e32 v73, v73, v75
	v_cvt_i32_f32_e32 v73, v73
	v_add_f32_e32 v68, v68, v69
	v_add_f32_e32 v68, v68, v70
	;; [unrolled: 1-line block ×4, first 2 shown]
	v_cvt_i32_f32_e32 v74, v72
	v_cvt_i32_f32_e32 v69, v68
	v_cvt_f32_i32_dpp v73, v73 row_shr:15 row_mask:0xf bank_mask:0xf bound_ctrl:1
	v_cvt_i32_f32_e32 v65, v65
	v_cvt_i32_f32_e32 v66, v66
	v_cvt_f32_i32_dpp v71, v74 row_shl:8 row_mask:0xf bank_mask:0xf bound_ctrl:1
	v_cvt_f32_i32_dpp v69, v69 row_shl:4 row_mask:0xf bank_mask:0xf bound_ctrl:1
	v_cvt_i32_f32_e32 v67, v67
	v_cvt_i32_f32_e32 v70, v73
	v_cvt_f32_i32_dpp v65, v65 row_shl:1 row_mask:0xf bank_mask:0xf bound_ctrl:1
	v_cvt_f32_i32_dpp v66, v66 row_shl:2 row_mask:0xf bank_mask:0xf bound_ctrl:1
	v_add_f32_e32 v71, v72, v71
	v_add_f32_e32 v69, v68, v69
	v_cvt_f32_i32_dpp v67, v67 row_shl:3 row_mask:0xf bank_mask:0xf bound_ctrl:1
	v_cvt_f32_i32_dpp v70, v70 row_bcast:15 row_mask:0xf bank_mask:0xf bound_ctrl:1
	v_cvt_i32_f32_e32 v71, v71
	v_cvt_i32_f32_e32 v72, v69
	v_add_f32_e32 v64, v64, v65
	v_add_f32_e32 v64, v64, v66
	;; [unrolled: 1-line block ×4, first 2 shown]
	v_cvt_f32_i32_dpp v70, v71 row_shr:15 row_mask:0xf bank_mask:0xf bound_ctrl:1
	v_cvt_f32_i32_dpp v71, v72 row_shl:8 row_mask:0xf bank_mask:0xf bound_ctrl:1
	v_cvt_i32_f32_e32 v65, v64
	v_cvt_i32_f32_e32 v61, v61
	;; [unrolled: 1-line block ×4, first 2 shown]
	v_add_f32_e32 v69, v69, v71
	v_cvt_f32_i32_dpp v71, v65 row_shl:4 row_mask:0xf bank_mask:0xf bound_ctrl:1
	v_cvt_i32_f32_e32 v66, v68
	v_cvt_i32_f32_e32 v67, v70
	v_cvt_f32_i32_dpp v61, v61 row_shl:1 row_mask:0xf bank_mask:0xf bound_ctrl:1
	v_cvt_f32_i32_dpp v62, v62 row_shl:2 row_mask:0xf bank_mask:0xf bound_ctrl:1
	;; [unrolled: 1-line block ×3, first 2 shown]
	v_add_f32_e32 v71, v64, v71
	v_mov_b32_dpp v65, v66 row_bcast:31 row_mask:0xf bank_mask:0xf bound_ctrl:1
	v_cvt_f32_i32_dpp v66, v67 row_bcast:15 row_mask:0xf bank_mask:0xf bound_ctrl:1
	v_cvt_i32_f32_e32 v72, v71
	v_add_f32_e32 v60, v60, v61
	v_add_f32_e32 v60, v60, v62
	v_cvt_i32_f32_e32 v57, v57
	v_add_f32_e32 v62, v60, v63
	v_cvt_i32_f32_e32 v58, v58
	v_cvt_i32_f32_e32 v63, v62
	;; [unrolled: 1-line block ×3, first 2 shown]
	v_add_f32_e32 v64, v70, v66
	v_cvt_f32_i32_dpp v70, v72 row_shl:8 row_mask:0xf bank_mask:0xf bound_ctrl:1
	v_cvt_i32_f32_e32 v69, v69
	v_cvt_f32_i32_dpp v57, v57 row_shl:1 row_mask:0xf bank_mask:0xf bound_ctrl:1
	v_cvt_f32_i32_dpp v58, v58 row_shl:2 row_mask:0xf bank_mask:0xf bound_ctrl:1
	;; [unrolled: 1-line block ×4, first 2 shown]
	v_add_f32_e32 v70, v71, v70
	v_cvt_f32_i32_dpp v69, v69 row_shr:15 row_mask:0xf bank_mask:0xf bound_ctrl:1
	v_cvt_i32_f32_e32 v66, v64
	v_cvt_i32_f32_e32 v70, v70
	v_add_f32_e32 v56, v56, v57
	v_add_f32_e32 v56, v56, v58
	v_add_f32_e32 v62, v62, v63
	v_add_f32_e32 v56, v56, v59
	v_cvt_i32_f32_e32 v63, v62
	v_cvt_i32_f32_e32 v57, v56
	;; [unrolled: 1-line block ×3, first 2 shown]
	v_mov_b32_dpp v61, v66 row_bcast:31 row_mask:0xf bank_mask:0xf bound_ctrl:1
	v_cvt_f32_i32_dpp v66, v70 row_shr:15 row_mask:0xf bank_mask:0xf bound_ctrl:1
	v_cvt_f32_i32_dpp v59, v63 row_shl:8 row_mask:0xf bank_mask:0xf bound_ctrl:1
	v_cvt_f32_i32_dpp v57, v57 row_shl:4 row_mask:0xf bank_mask:0xf bound_ctrl:1
	v_cvt_f32_i32_dpp v67, v67 row_bcast:15 row_mask:0xf bank_mask:0xf bound_ctrl:1
	v_cvt_i32_f32_e32 v58, v66
	v_add_f32_e32 v59, v62, v59
	v_add_f32_e32 v62, v56, v57
	;; [unrolled: 1-line block ×3, first 2 shown]
	v_cvt_f32_i32_dpp v58, v58 row_bcast:15 row_mask:0xf bank_mask:0xf bound_ctrl:1
	v_cvt_i32_f32_e32 v59, v59
	v_cvt_i32_f32_e32 v67, v62
	;; [unrolled: 1-line block ×4, first 2 shown]
	v_add_f32_e32 v56, v66, v58
	v_cvt_f32_i32_dpp v58, v59 row_shr:15 row_mask:0xf bank_mask:0xf bound_ctrl:1
	v_cvt_f32_i32_dpp v59, v67 row_shl:8 row_mask:0xf bank_mask:0xf bound_ctrl:1
	v_cvt_i32_f32_e32 v55, v55
	v_cvt_f32_i32_dpp v53, v53 row_shl:1 row_mask:0xf bank_mask:0xf bound_ctrl:1
	v_cvt_f32_i32_dpp v54, v54 row_shl:2 row_mask:0xf bank_mask:0xf bound_ctrl:1
	v_add_f32_e32 v59, v62, v59
	v_cvt_f32_i32_dpp v55, v55 row_shl:3 row_mask:0xf bank_mask:0xf bound_ctrl:1
	v_cvt_i32_f32_e32 v59, v59
	v_add_f32_e32 v52, v52, v53
	v_cvt_i32_f32_e32 v49, v49
	v_add_f32_e32 v52, v52, v54
	;; [unrolled: 2-line block ×3, first 2 shown]
	v_cvt_i32_f32_e32 v51, v51
	v_cvt_i32_f32_e32 v53, v52
	;; [unrolled: 1-line block ×4, first 2 shown]
	v_cvt_f32_i32_dpp v59, v59 row_shr:15 row_mask:0xf bank_mask:0xf bound_ctrl:1
	v_cvt_f32_i32_dpp v49, v49 row_shl:1 row_mask:0xf bank_mask:0xf bound_ctrl:1
	v_cvt_f32_i32_dpp v50, v50 row_shl:2 row_mask:0xf bank_mask:0xf bound_ctrl:1
	;; [unrolled: 1-line block ×4, first 2 shown]
	v_mov_b32_dpp v53, v54 row_bcast:31 row_mask:0xf bank_mask:0xf bound_ctrl:1
	v_cvt_f32_i32_dpp v54, v55 row_bcast:15 row_mask:0xf bank_mask:0xf bound_ctrl:1
	v_cvt_i32_f32_e32 v55, v59
	v_add_f32_e32 v48, v48, v49
	v_add_f32_e32 v48, v48, v50
	;; [unrolled: 1-line block ×3, first 2 shown]
	v_cvt_f32_i32_dpp v55, v55 row_bcast:15 row_mask:0xf bank_mask:0xf bound_ctrl:1
	v_cvt_i32_f32_e32 v49, v51
	v_cvt_i32_f32_e32 v63, v60
	v_cvt_i32_f32_e32 v45, v45
	v_cvt_i32_f32_e32 v46, v46
	v_add_f32_e32 v62, v52, v62
	v_add_f32_e32 v48, v59, v55
	v_cvt_f32_i32_dpp v59, v49 row_shl:4 row_mask:0xf bank_mask:0xf bound_ctrl:1
	v_cvt_i32_f32_e32 v47, v47
	v_mov_b32_dpp v57, v63 row_bcast:31 row_mask:0xf bank_mask:0xf bound_ctrl:1
	v_cvt_i32_f32_e32 v63, v62
	v_cvt_i32_f32_e32 v55, v48
	v_cvt_f32_i32_dpp v45, v45 row_shl:1 row_mask:0xf bank_mask:0xf bound_ctrl:1
	v_cvt_f32_i32_dpp v46, v46 row_shl:2 row_mask:0xf bank_mask:0xf bound_ctrl:1
	v_add_f32_e32 v51, v51, v59
	v_cvt_f32_i32_dpp v47, v47 row_shl:3 row_mask:0xf bank_mask:0xf bound_ctrl:1
	v_add_f32_e32 v52, v58, v54
	v_cvt_f32_i32_dpp v58, v63 row_shl:8 row_mask:0xf bank_mask:0xf bound_ctrl:1
	v_mov_b32_dpp v49, v55 row_bcast:31 row_mask:0xf bank_mask:0xf bound_ctrl:1
	v_cvt_i32_f32_e32 v55, v51
	v_add_f32_e32 v44, v44, v45
	v_add_f32_e32 v44, v44, v46
	;; [unrolled: 1-line block ×4, first 2 shown]
	v_cvt_f32_i32_dpp v55, v55 row_shl:8 row_mask:0xf bank_mask:0xf bound_ctrl:1
	v_cvt_i32_f32_e32 v44, v45
	v_cvt_i32_f32_e32 v58, v58
	;; [unrolled: 1-line block ×4, first 2 shown]
	v_add_f32_e32 v47, v51, v55
	v_cvt_f32_i32_dpp v51, v44 row_shl:4 row_mask:0xf bank_mask:0xf bound_ctrl:1
	v_cvt_i32_f32_e32 v43, v43
	v_cvt_i32_f32_e32 v54, v52
	v_cvt_f32_i32_dpp v58, v58 row_shr:15 row_mask:0xf bank_mask:0xf bound_ctrl:1
	v_cvt_f32_i32_dpp v41, v41 row_shl:1 row_mask:0xf bank_mask:0xf bound_ctrl:1
	v_cvt_f32_i32_dpp v42, v42 row_shl:2 row_mask:0xf bank_mask:0xf bound_ctrl:1
	v_add_f32_e32 v45, v45, v51
	v_cvt_f32_i32_dpp v43, v43 row_shl:3 row_mask:0xf bank_mask:0xf bound_ctrl:1
	v_mov_b32_dpp v50, v54 row_bcast:31 row_mask:0xf bank_mask:0xf bound_ctrl:1
	v_cvt_i32_f32_e32 v54, v58
	v_cvt_i32_f32_e32 v51, v45
	v_add_f32_e32 v40, v40, v41
	v_add_f32_e32 v40, v40, v42
	;; [unrolled: 1-line block ×3, first 2 shown]
	v_cvt_f32_i32_dpp v46, v54 row_bcast:15 row_mask:0xf bank_mask:0xf bound_ctrl:1
	v_cvt_f32_i32_dpp v51, v51 row_shl:8 row_mask:0xf bank_mask:0xf bound_ctrl:1
	v_cvt_i32_f32_e32 v41, v40
	v_cvt_i32_f32_e32 v47, v47
	v_add_f32_e32 v44, v58, v46
	v_add_f32_e32 v43, v45, v51
	v_cvt_f32_i32_dpp v45, v41 row_shl:4 row_mask:0xf bank_mask:0xf bound_ctrl:1
	v_cvt_i32_f32_e32 v46, v44
	v_cvt_f32_i32_dpp v47, v47 row_shr:15 row_mask:0xf bank_mask:0xf bound_ctrl:1
	v_cvt_i32_f32_e32 v37, v37
	v_add_f32_e32 v45, v40, v45
	v_cvt_i32_f32_e32 v38, v38
	v_cvt_i32_f32_e32 v42, v47
	v_mov_b32_dpp v41, v46 row_bcast:31 row_mask:0xf bank_mask:0xf bound_ctrl:1
	v_cvt_i32_f32_e32 v46, v45
	v_cvt_i32_f32_e32 v39, v39
	v_cvt_f32_i32_dpp v37, v37 row_shl:1 row_mask:0xf bank_mask:0xf bound_ctrl:1
	v_cvt_f32_i32_dpp v38, v38 row_shl:2 row_mask:0xf bank_mask:0xf bound_ctrl:1
	v_cvt_f32_i32_dpp v42, v42 row_bcast:15 row_mask:0xf bank_mask:0xf bound_ctrl:1
	v_cvt_f32_i32_dpp v46, v46 row_shl:8 row_mask:0xf bank_mask:0xf bound_ctrl:1
	v_cvt_f32_i32_dpp v39, v39 row_shl:3 row_mask:0xf bank_mask:0xf bound_ctrl:1
	v_cvt_i32_f32_e32 v43, v43
	v_add_f32_e32 v36, v36, v37
	v_add_f32_e32 v36, v36, v38
	;; [unrolled: 1-line block ×5, first 2 shown]
	v_cvt_i32_f32_e32 v42, v40
	v_cvt_i32_f32_e32 v45, v45
	;; [unrolled: 1-line block ×3, first 2 shown]
	v_cvt_f32_i32_dpp v43, v43 row_shr:15 row_mask:0xf bank_mask:0xf bound_ctrl:1
	v_cvt_i32_f32_e32 v33, v33
	v_cvt_i32_f32_e32 v34, v34
	v_mov_b32_dpp v37, v42 row_bcast:31 row_mask:0xf bank_mask:0xf bound_ctrl:1
	v_cvt_f32_i32_dpp v42, v45 row_shr:15 row_mask:0xf bank_mask:0xf bound_ctrl:1
	v_cvt_f32_i32_dpp v45, v36 row_shl:4 row_mask:0xf bank_mask:0xf bound_ctrl:1
	v_cvt_i32_f32_e32 v35, v35
	v_cvt_i32_f32_e32 v47, v43
	v_cvt_f32_i32_dpp v33, v33 row_shl:1 row_mask:0xf bank_mask:0xf bound_ctrl:1
	v_cvt_f32_i32_dpp v34, v34 row_shl:2 row_mask:0xf bank_mask:0xf bound_ctrl:1
	v_add_f32_e32 v38, v38, v45
	v_cvt_f32_i32_dpp v35, v35 row_shl:3 row_mask:0xf bank_mask:0xf bound_ctrl:1
	v_cvt_f32_i32_dpp v39, v47 row_bcast:15 row_mask:0xf bank_mask:0xf bound_ctrl:1
	v_cvt_i32_f32_e32 v45, v38
	v_add_f32_e32 v32, v32, v33
	v_add_f32_e32 v32, v32, v34
	;; [unrolled: 1-line block ×3, first 2 shown]
	v_cvt_i32_f32_e32 v29, v29
	v_add_f32_e32 v36, v43, v39
	v_cvt_i32_f32_e32 v43, v42
	v_cvt_f32_i32_dpp v45, v45 row_shl:8 row_mask:0xf bank_mask:0xf bound_ctrl:1
	v_cvt_i32_f32_e32 v32, v34
	v_cvt_i32_f32_e32 v30, v30
	;; [unrolled: 1-line block ×3, first 2 shown]
	v_cvt_f32_i32_dpp v29, v29 row_shl:1 row_mask:0xf bank_mask:0xf bound_ctrl:1
	v_cvt_f32_i32_dpp v35, v43 row_bcast:15 row_mask:0xf bank_mask:0xf bound_ctrl:1
	v_add_f32_e32 v33, v38, v45
	v_cvt_f32_i32_dpp v43, v32 row_shl:4 row_mask:0xf bank_mask:0xf bound_ctrl:1
	v_cvt_f32_i32_dpp v30, v30 row_shl:2 row_mask:0xf bank_mask:0xf bound_ctrl:1
	v_cvt_i32_f32_e32 v38, v33
	v_cvt_f32_i32_dpp v31, v31 row_shl:3 row_mask:0xf bank_mask:0xf bound_ctrl:1
	v_add_f32_e32 v28, v28, v29
	v_add_f32_e32 v34, v34, v43
	;; [unrolled: 1-line block ×4, first 2 shown]
	v_cvt_f32_i32_dpp v35, v38 row_shr:15 row_mask:0xf bank_mask:0xf bound_ctrl:1
	v_cvt_i32_f32_e32 v38, v34
	v_add_f32_e32 v28, v28, v31
	v_cvt_i32_f32_e32 v29, v28
	v_cvt_i32_f32_e32 v30, v35
	v_cvt_f32_i32_dpp v38, v38 row_shl:8 row_mask:0xf bank_mask:0xf bound_ctrl:1
	v_cvt_i32_f32_e32 v25, v25
	v_cvt_f32_i32_dpp v29, v29 row_shl:4 row_mask:0xf bank_mask:0xf bound_ctrl:1
	v_cvt_i32_f32_e32 v26, v26
	v_add_f32_e32 v31, v34, v38
	v_cvt_i32_f32_e32 v31, v31
	v_cvt_f32_i32_dpp v30, v30 row_bcast:15 row_mask:0xf bank_mask:0xf bound_ctrl:1
	v_add_f32_e32 v38, v28, v29
	v_cvt_i32_f32_e32 v27, v27
	v_cvt_i32_f32_e32 v29, v38
	v_cvt_f32_i32_dpp v25, v25 row_shl:1 row_mask:0xf bank_mask:0xf bound_ctrl:1
	v_cvt_f32_i32_dpp v26, v26 row_shl:2 row_mask:0xf bank_mask:0xf bound_ctrl:1
	v_cvt_i32_f32_e32 v39, v36
	v_cvt_f32_i32_dpp v31, v31 row_shr:15 row_mask:0xf bank_mask:0xf bound_ctrl:1
	v_add_f32_e32 v28, v35, v30
	v_cvt_f32_i32_dpp v27, v27 row_shl:3 row_mask:0xf bank_mask:0xf bound_ctrl:1
	v_cvt_i32_f32_e32 v35, v28
	v_cvt_f32_i32_dpp v42, v29 row_shl:8 row_mask:0xf bank_mask:0xf bound_ctrl:1
	v_add_f32_e32 v24, v24, v25
	v_cvt_i32_f32_e32 v21, v21
	v_add_f32_e32 v24, v24, v26
	v_cvt_i32_f32_e32 v22, v22
	v_mov_b32_dpp v33, v39 row_bcast:31 row_mask:0xf bank_mask:0xf bound_ctrl:1
	v_cvt_i32_f32_e32 v34, v32
	v_cvt_i32_f32_e32 v39, v31
	v_add_f32_e32 v25, v24, v27
	v_cvt_i32_f32_e32 v23, v23
	v_mov_b32_dpp v29, v35 row_bcast:31 row_mask:0xf bank_mask:0xf bound_ctrl:1
	v_add_f32_e32 v35, v38, v42
	v_cvt_i32_f32_e32 v26, v25
	v_cvt_i32_f32_e32 v35, v35
	v_cvt_f32_i32_dpp v21, v21 row_shl:1 row_mask:0xf bank_mask:0xf bound_ctrl:1
	v_cvt_f32_i32_dpp v22, v22 row_shl:2 row_mask:0xf bank_mask:0xf bound_ctrl:1
	v_mov_b32_dpp v30, v34 row_bcast:31 row_mask:0xf bank_mask:0xf bound_ctrl:1
	v_cvt_f32_i32_dpp v34, v39 row_bcast:15 row_mask:0xf bank_mask:0xf bound_ctrl:1
	v_cvt_f32_i32_dpp v23, v23 row_shl:3 row_mask:0xf bank_mask:0xf bound_ctrl:1
	v_cvt_f32_i32_dpp v26, v26 row_shl:4 row_mask:0xf bank_mask:0xf bound_ctrl:1
	v_cvt_f32_i32_dpp v35, v35 row_shr:15 row_mask:0xf bank_mask:0xf bound_ctrl:1
	v_add_f32_e32 v20, v20, v21
	v_add_f32_e32 v20, v20, v22
	v_cvt_i32_f32_e32 v17, v17
	v_add_f32_e32 v24, v31, v34
	v_add_f32_e32 v22, v20, v23
	v_cvt_i32_f32_e32 v18, v18
	v_cvt_i32_f32_e32 v27, v24
	v_add_f32_e32 v25, v25, v26
	v_cvt_i32_f32_e32 v20, v22
	v_cvt_i32_f32_e32 v19, v19
	;; [unrolled: 1-line block ×4, first 2 shown]
	v_cvt_f32_i32_dpp v17, v17 row_shl:1 row_mask:0xf bank_mask:0xf bound_ctrl:1
	v_cvt_f32_i32_dpp v18, v18 row_shl:2 row_mask:0xf bank_mask:0xf bound_ctrl:1
	v_mov_b32_dpp v21, v27 row_bcast:31 row_mask:0xf bank_mask:0xf bound_ctrl:1
	v_cvt_f32_i32_dpp v27, v20 row_shl:4 row_mask:0xf bank_mask:0xf bound_ctrl:1
	v_cvt_f32_i32_dpp v19, v19 row_shl:3 row_mask:0xf bank_mask:0xf bound_ctrl:1
	v_cvt_f32_i32_dpp v23, v31 row_bcast:15 row_mask:0xf bank_mask:0xf bound_ctrl:1
	v_cvt_f32_i32_dpp v26, v26 row_shl:8 row_mask:0xf bank_mask:0xf bound_ctrl:1
	v_add_f32_e32 v16, v16, v17
	v_add_f32_e32 v16, v16, v18
	;; [unrolled: 1-line block ×6, first 2 shown]
	v_cvt_i32_f32_e32 v25, v22
	v_cvt_i32_f32_e32 v17, v16
	;; [unrolled: 1-line block ×4, first 2 shown]
	v_cvt_f32_i32_dpp v25, v25 row_shl:8 row_mask:0xf bank_mask:0xf bound_ctrl:1
	v_cvt_f32_i32_dpp v17, v17 row_shl:4 row_mask:0xf bank_mask:0xf bound_ctrl:1
	v_cvt_f32_i32_dpp v18, v23 row_shr:15 row_mask:0xf bank_mask:0xf bound_ctrl:1
	v_cvt_i32_f32_e32 v1, v1
	v_add_f32_e32 v19, v22, v25
	v_add_f32_e32 v25, v16, v17
	v_cvt_i32_f32_e32 v19, v19
	v_cvt_i32_f32_e32 v23, v18
	;; [unrolled: 1-line block ×10, first 2 shown]
	v_cvt_f32_i32_dpp v19, v19 row_shr:15 row_mask:0xf bank_mask:0xf bound_ctrl:1
	v_cvt_f32_i32_dpp v23, v23 row_bcast:15 row_mask:0xf bank_mask:0xf bound_ctrl:1
	v_cvt_f32_i32_dpp v26, v16 row_shl:8 row_mask:0xf bank_mask:0xf bound_ctrl:1
	v_cvt_f32_i32_dpp v5, v5 row_shl:1 row_mask:0xf bank_mask:0xf bound_ctrl:1
	v_cvt_f32_i32_dpp v1, v1 row_shl:1 row_mask:0xf bank_mask:0xf bound_ctrl:1
	v_cvt_f32_i32_dpp v13, v13 row_shl:1 row_mask:0xf bank_mask:0xf bound_ctrl:1
	v_cvt_f32_i32_dpp v6, v6 row_shl:2 row_mask:0xf bank_mask:0xf bound_ctrl:1
	v_cvt_f32_i32_dpp v2, v2 row_shl:2 row_mask:0xf bank_mask:0xf bound_ctrl:1
	v_cvt_i32_f32_e32 v3, v3
	v_cvt_f32_i32_dpp v14, v14 row_shl:2 row_mask:0xf bank_mask:0xf bound_ctrl:1
	v_cvt_f32_i32_dpp v7, v7 row_shl:3 row_mask:0xf bank_mask:0xf bound_ctrl:1
	;; [unrolled: 1-line block ×3, first 2 shown]
	v_mov_b32_dpp v17, v22 row_bcast:31 row_mask:0xf bank_mask:0xf bound_ctrl:1
	v_cvt_i32_f32_e32 v22, v19
	v_add_f32_e32 v16, v18, v23
	v_add_f32_e32 v23, v25, v26
	;; [unrolled: 1-line block ×4, first 2 shown]
	v_cvt_i32_f32_e32 v23, v23
	v_add_f32_e32 v12, v12, v13
	v_add_f32_e32 v4, v4, v6
	;; [unrolled: 1-line block ×3, first 2 shown]
	v_cvt_f32_i32_dpp v1, v3 row_shl:3 row_mask:0xf bank_mask:0xf bound_ctrl:1
	v_cvt_i32_f32_e32 v2, v9
	v_add_f32_e32 v12, v12, v14
	v_add_f32_e32 v4, v4, v7
	v_cvt_i32_f32_e32 v3, v10
	v_add_f32_e32 v14, v12, v15
	v_cvt_i32_f32_e32 v5, v4
	v_cvt_i32_f32_e32 v9, v11
	v_cvt_f32_i32_dpp v22, v22 row_bcast:15 row_mask:0xf bank_mask:0xf bound_ctrl:1
	v_cvt_i32_f32_e32 v12, v14
	v_cvt_f32_i32_dpp v23, v23 row_shr:15 row_mask:0xf bank_mask:0xf bound_ctrl:1
	v_add_f32_e32 v0, v0, v1
	v_cvt_f32_i32_dpp v1, v2 row_shl:1 row_mask:0xf bank_mask:0xf bound_ctrl:1
	v_cvt_f32_i32_dpp v2, v3 row_shl:2 row_mask:0xf bank_mask:0xf bound_ctrl:1
	;; [unrolled: 1-line block ×4, first 2 shown]
	v_add_f32_e32 v13, v19, v22
	v_cvt_f32_i32_dpp v19, v12 row_shl:4 row_mask:0xf bank_mask:0xf bound_ctrl:1
	v_cvt_i32_f32_e32 v18, v16
	v_cvt_i32_f32_e32 v25, v23
	v_add_f32_e32 v1, v8, v1
	v_add_f32_e32 v1, v1, v2
	;; [unrolled: 1-line block ×5, first 2 shown]
	v_cvt_i32_f32_e32 v5, v4
	v_cvt_i32_f32_e32 v9, v0
	;; [unrolled: 1-line block ×3, first 2 shown]
	v_mov_b32_dpp v15, v18 row_bcast:31 row_mask:0xf bank_mask:0xf bound_ctrl:1
	v_cvt_f32_i32_dpp v18, v25 row_bcast:15 row_mask:0xf bank_mask:0xf bound_ctrl:1
	v_cvt_i32_f32_e32 v14, v19
	v_cvt_f32_i32_dpp v3, v5 row_shl:8 row_mask:0xf bank_mask:0xf bound_ctrl:1
	v_cvt_f32_i32_dpp v5, v9 row_shl:4 row_mask:0xf bank_mask:0xf bound_ctrl:1
	;; [unrolled: 1-line block ×3, first 2 shown]
	v_add_f32_e32 v12, v23, v18
	v_cvt_f32_i32_dpp v23, v14 row_shl:8 row_mask:0xf bank_mask:0xf bound_ctrl:1
	v_add_f32_e32 v0, v0, v5
	v_add_f32_e32 v1, v1, v2
	;; [unrolled: 1-line block ×4, first 2 shown]
	v_cvt_i32_f32_e32 v4, v0
	v_cvt_i32_f32_e32 v2, v1
	v_cvt_i32_f32_e32 v6, v6
	v_cvt_i32_f32_e32 v3, v3
	v_cvt_f32_i32_dpp v4, v4 row_shl:8 row_mask:0xf bank_mask:0xf bound_ctrl:1
	v_cvt_f32_i32_dpp v2, v2 row_shl:8 row_mask:0xf bank_mask:0xf bound_ctrl:1
	v_cvt_f32_i32_dpp v6, v6 row_shr:15 row_mask:0xf bank_mask:0xf bound_ctrl:1
	v_cvt_f32_i32_dpp v3, v3 row_shr:15 row_mask:0xf bank_mask:0xf bound_ctrl:1
	v_add_f32_e32 v0, v0, v4
	v_add_f32_e32 v1, v1, v2
	v_cvt_i32_f32_e32 v5, v6
	v_cvt_i32_f32_e32 v0, v0
	;; [unrolled: 1-line block ×4, first 2 shown]
	v_cvt_f32_i32_dpp v2, v5 row_bcast:15 row_mask:0xf bank_mask:0xf bound_ctrl:1
	v_cvt_f32_i32_dpp v0, v0 row_shr:15 row_mask:0xf bank_mask:0xf bound_ctrl:1
	v_cvt_f32_i32_dpp v1, v1 row_shr:15 row_mask:0xf bank_mask:0xf bound_ctrl:1
	v_cvt_f32_i32_dpp v4, v4 row_bcast:15 row_mask:0xf bank_mask:0xf bound_ctrl:1
	v_add_f32_e32 v9, v6, v2
	v_cvt_i32_f32_e32 v2, v0
	v_cvt_i32_f32_e32 v5, v1
	v_add_f32_e32 v6, v3, v4
	v_cvt_i32_f32_e32 v22, v13
	v_cvt_f32_i32_dpp v2, v2 row_bcast:15 row_mask:0xf bank_mask:0xf bound_ctrl:1
	v_cvt_f32_i32_dpp v3, v5 row_bcast:15 row_mask:0xf bank_mask:0xf bound_ctrl:1
	v_cvt_i32_f32_e32 v18, v12
	v_cvt_i32_f32_e32 v8, v9
	v_add_f32_e32 v4, v0, v2
	v_add_f32_e32 v2, v1, v3
	v_cvt_i32_f32_e32 v5, v6
	v_cvt_i32_f32_e32 v0, v4
	;; [unrolled: 1-line block ×3, first 2 shown]
	v_mov_b32_dpp v14, v22 row_bcast:31 row_mask:0xf bank_mask:0xf bound_ctrl:1
	v_mov_b32_dpp v7, v18 row_bcast:31 row_mask:0xf bank_mask:0xf bound_ctrl:1
	;; [unrolled: 1-line block ×6, first 2 shown]
	s_and_saveexec_b64 s[20:21], s[0:1]
	s_cbranch_execz .LBB287_13
; %bb.20:                               ;   in Loop: Header=BB287_14 Depth=1
	s_andn2_b64 vcc, exec, s[18:19]
	v_mov_b32_e32 v0, 0
	v_mov_b32_e32 v51, 0
	;; [unrolled: 1-line block ×20, first 2 shown]
	s_cbranch_vccnz .LBB287_22
; %bb.21:                               ;   in Loop: Header=BB287_14 Depth=1
	v_mul_hi_u32 v0, v112, v129
	v_mul_lo_u32 v0, v0, s12
	v_sub_u32_e32 v0, v112, v0
	v_subrev_u32_e32 v1, s12, v0
	v_cmp_le_u32_e32 vcc, s12, v0
	v_mov_b32_e32 v23, v115
	v_mov_b32_e32 v55, v115
	v_cndmask_b32_e32 v0, v0, v1, vcc
	v_subrev_u32_e32 v1, s12, v0
	v_cmp_le_u32_e32 vcc, s12, v0
	v_mov_b32_e32 v59, v115
	s_nop 0
	v_cndmask_b32_e32 v114, v0, v1, vcc
	v_or_b32_e32 v0, 1, v112
	v_mul_hi_u32 v1, v0, v129
	v_mul_lo_u32 v1, v1, s12
	v_sub_u32_e32 v0, v0, v1
	v_subrev_u32_e32 v1, s12, v0
	v_cmp_le_u32_e32 vcc, s12, v0
	v_lshl_add_u64 v[18:19], v[114:115], 1, s[8:9]
	s_nop 0
	v_cndmask_b32_e32 v0, v0, v1, vcc
	v_subrev_u32_e32 v1, s12, v0
	v_cmp_le_u32_e32 vcc, s12, v0
	s_nop 1
	v_cndmask_b32_e32 v22, v0, v1, vcc
	v_or_b32_e32 v0, 2, v112
	v_mul_hi_u32 v1, v0, v129
	v_mul_lo_u32 v1, v1, s12
	v_sub_u32_e32 v0, v0, v1
	v_subrev_u32_e32 v1, s12, v0
	v_cmp_le_u32_e32 vcc, s12, v0
	v_lshl_add_u64 v[26:27], v[22:23], 1, s[8:9]
	s_nop 0
	v_cndmask_b32_e32 v0, v0, v1, vcc
	v_subrev_u32_e32 v1, s12, v0
	v_cmp_le_u32_e32 vcc, s12, v0
	;; [unrolled: 13-line block ×3, first 2 shown]
	s_nop 1
	v_cndmask_b32_e32 v58, v0, v1, vcc
	v_add_u32_e32 v0, s26, v114
	v_mov_b32_e32 v1, v115
	v_lshl_add_u64 v[66:67], v[0:1], 1, s[8:9]
	v_add_u32_e32 v0, s26, v22
	v_lshl_add_u64 v[70:71], v[0:1], 1, s[8:9]
	v_add_u32_e32 v0, s26, v54
	;; [unrolled: 2-line block ×3, first 2 shown]
	v_lshl_add_u64 v[62:63], v[58:59], 1, s[8:9]
	v_lshl_add_u64 v[74:75], v[0:1], 1, s[8:9]
	global_load_ushort v0, v[18:19], off
	global_load_ushort v51, v[26:27], off
	;; [unrolled: 1-line block ×8, first 2 shown]
	v_add_u32_e32 v26, s27, v22
	v_mov_b32_e32 v27, v115
	v_lshl_add_u64 v[62:63], v[26:27], 1, s[8:9]
	v_add_u32_e32 v26, s27, v54
	v_lshl_add_u64 v[66:67], v[26:27], 1, s[8:9]
	v_add_u32_e32 v26, s27, v58
	;; [unrolled: 2-line block ×4, first 2 shown]
	v_add_u32_e32 v18, s27, v114
	v_mov_b32_e32 v19, v115
	v_lshl_add_u64 v[74:75], v[26:27], 1, s[8:9]
	v_add_u32_e32 v26, s28, v54
	v_lshl_add_u64 v[18:19], v[18:19], 1, s[8:9]
	v_lshl_add_u64 v[76:77], v[26:27], 1, s[8:9]
	v_add_u32_e32 v26, s28, v58
	v_lshl_add_u64 v[78:79], v[26:27], 1, s[8:9]
	global_load_ushort v39, v[18:19], off
	global_load_ushort v35, v[62:63], off
	;; [unrolled: 1-line block ×8, first 2 shown]
	v_add_u32_e32 v114, s29, v114
	v_lshl_add_u64 v[62:63], v[114:115], 1, s[8:9]
	v_add_u32_e32 v114, s29, v22
	v_lshl_add_u64 v[66:67], v[114:115], 1, s[8:9]
	;; [unrolled: 2-line block ×4, first 2 shown]
	global_load_ushort v22, v[62:63], off
	global_load_ushort v19, v[66:67], off
	;; [unrolled: 1-line block ×4, first 2 shown]
.LBB287_22:                             ;   in Loop: Header=BB287_14 Depth=1
	v_cvt_f32_i32_e32 v1, v65
	s_waitcnt vmcnt(19)
	v_lshlrev_b32_e32 v0, 16, v0
                                        ; implicit-def: $vgpr54
	v_add_f32_e32 v1, v68, v1
	v_add_f32_e32 v0, v1, v0
	v_and_b32_e32 v1, 0x7f800000, v0
	v_cmp_ne_u32_e32 vcc, s34, v1
	s_and_saveexec_b64 s[22:23], vcc
	s_xor_b64 s[22:23], exec, s[22:23]
; %bb.23:                               ;   in Loop: Header=BB287_14 Depth=1
	v_bfe_u32 v1, v0, 16, 1
	v_add3_u32 v54, v0, v1, s35
                                        ; implicit-def: $vgpr0
; %bb.24:                               ;   in Loop: Header=BB287_14 Depth=1
	s_andn2_saveexec_b64 s[22:23], s[22:23]
; %bb.25:                               ;   in Loop: Header=BB287_14 Depth=1
	v_or_b32_e32 v1, 0x10000, v0
	v_cmp_eq_u32_sdwa vcc, v0, v115 src0_sel:WORD_0 src1_sel:DWORD
	s_nop 1
	v_cndmask_b32_e32 v54, v1, v0, vcc
; %bb.26:                               ;   in Loop: Header=BB287_14 Depth=1
	s_or_b64 exec, exec, s[22:23]
	v_cvt_f32_i32_e32 v55, v61
	v_mov_b32_e32 v113, v115
	v_lshl_add_u64 v[0:1], v[112:113], 1, s[10:11]
	global_store_short_d16_hi v[0:1], v54, off
	v_add_f32_e32 v54, v64, v55
	s_waitcnt vmcnt(19)
	v_lshlrev_b32_e32 v51, 16, v51
	v_add_f32_e32 v51, v54, v51
	v_and_b32_e32 v54, 0x7f800000, v51
	v_cmp_ne_u32_e32 vcc, s34, v54
                                        ; implicit-def: $vgpr54
	s_and_saveexec_b64 s[22:23], vcc
	s_xor_b64 s[22:23], exec, s[22:23]
; %bb.27:                               ;   in Loop: Header=BB287_14 Depth=1
	v_bfe_u32 v54, v51, 16, 1
	v_add3_u32 v54, v51, v54, s35
                                        ; implicit-def: $vgpr51
; %bb.28:                               ;   in Loop: Header=BB287_14 Depth=1
	s_andn2_saveexec_b64 s[22:23], s[22:23]
; %bb.29:                               ;   in Loop: Header=BB287_14 Depth=1
	v_or_b32_e32 v54, 0x10000, v51
	v_cmp_eq_u32_sdwa vcc, v51, v115 src0_sel:WORD_0 src1_sel:DWORD
	s_nop 1
	v_cndmask_b32_e32 v54, v54, v51, vcc
; %bb.30:                               ;   in Loop: Header=BB287_14 Depth=1
	s_or_b64 exec, exec, s[22:23]
	v_cvt_f32_i32_e32 v51, v57
	s_waitcnt vmcnt(18)
	v_lshlrev_b32_e32 v47, 16, v47
	global_store_short_d16_hi v[0:1], v54, off offset:2
	v_add_f32_e32 v51, v60, v51
	v_add_f32_e32 v47, v51, v47
	v_and_b32_e32 v51, 0x7f800000, v47
	v_cmp_ne_u32_e32 vcc, s34, v51
                                        ; implicit-def: $vgpr51
	s_and_saveexec_b64 s[22:23], vcc
	s_xor_b64 s[22:23], exec, s[22:23]
; %bb.31:                               ;   in Loop: Header=BB287_14 Depth=1
	v_bfe_u32 v51, v47, 16, 1
	v_add3_u32 v51, v47, v51, s35
                                        ; implicit-def: $vgpr47
; %bb.32:                               ;   in Loop: Header=BB287_14 Depth=1
	s_andn2_saveexec_b64 s[22:23], s[22:23]
; %bb.33:                               ;   in Loop: Header=BB287_14 Depth=1
	v_or_b32_e32 v51, 0x10000, v47
	v_cmp_eq_u32_sdwa vcc, v47, v115 src0_sel:WORD_0 src1_sel:DWORD
	s_nop 1
	v_cndmask_b32_e32 v51, v51, v47, vcc
; %bb.34:                               ;   in Loop: Header=BB287_14 Depth=1
	s_or_b64 exec, exec, s[22:23]
	v_cvt_f32_i32_e32 v47, v53
	s_waitcnt vmcnt(18)
	v_lshlrev_b32_e32 v46, 16, v46
	global_store_short_d16_hi v[0:1], v51, off offset:4
	v_add_f32_e32 v47, v56, v47
	v_add_f32_e32 v46, v47, v46
	v_and_b32_e32 v47, 0x7f800000, v46
	v_cmp_ne_u32_e32 vcc, s34, v47
                                        ; implicit-def: $vgpr47
	s_and_saveexec_b64 s[22:23], vcc
	s_xor_b64 s[22:23], exec, s[22:23]
; %bb.35:                               ;   in Loop: Header=BB287_14 Depth=1
	v_bfe_u32 v47, v46, 16, 1
	v_add3_u32 v47, v46, v47, s35
                                        ; implicit-def: $vgpr46
; %bb.36:                               ;   in Loop: Header=BB287_14 Depth=1
	s_andn2_saveexec_b64 s[22:23], s[22:23]
; %bb.37:                               ;   in Loop: Header=BB287_14 Depth=1
	v_or_b32_e32 v47, 0x10000, v46
	v_cmp_eq_u32_sdwa vcc, v46, v115 src0_sel:WORD_0 src1_sel:DWORD
	s_nop 1
	v_cndmask_b32_e32 v47, v47, v46, vcc
; %bb.38:                               ;   in Loop: Header=BB287_14 Depth=1
	s_or_b64 exec, exec, s[22:23]
	v_cvt_f32_i32_e32 v46, v50
	global_store_short_d16_hi v[0:1], v47, off offset:6
	s_waitcnt vmcnt(19)
	v_lshlrev_b32_e32 v1, 16, v45
	v_add_f32_e32 v0, v52, v46
	v_add_f32_e32 v1, v0, v1
	v_and_b32_e32 v0, 0x7f800000, v1
	v_cmp_ne_u32_e32 vcc, s34, v0
                                        ; implicit-def: $vgpr0
	s_and_saveexec_b64 s[22:23], vcc
	s_xor_b64 s[22:23], exec, s[22:23]
; %bb.39:                               ;   in Loop: Header=BB287_14 Depth=1
	v_bfe_u32 v0, v1, 16, 1
	v_add3_u32 v0, v1, v0, s35
                                        ; implicit-def: $vgpr1
; %bb.40:                               ;   in Loop: Header=BB287_14 Depth=1
	s_andn2_saveexec_b64 s[22:23], s[22:23]
; %bb.41:                               ;   in Loop: Header=BB287_14 Depth=1
	v_or_b32_e32 v0, 0x10000, v1
	v_cmp_eq_u32_sdwa vcc, v1, v115 src0_sel:WORD_0 src1_sel:DWORD
	s_nop 1
	v_cndmask_b32_e32 v0, v0, v1, vcc
; %bb.42:                               ;   in Loop: Header=BB287_14 Depth=1
	s_or_b64 exec, exec, s[22:23]
	v_cvt_f32_i32_e32 v1, v49
	v_add_u32_e32 v114, s7, v112
	v_lshl_add_u64 v[46:47], v[114:115], 1, s[10:11]
	global_store_short_d16_hi v[46:47], v0, off
	v_add_f32_e32 v0, v48, v1
	s_waitcnt vmcnt(19)
	v_lshlrev_b32_e32 v1, 16, v43
	v_add_f32_e32 v1, v0, v1
	v_and_b32_e32 v0, 0x7f800000, v1
	v_cmp_ne_u32_e32 vcc, s34, v0
                                        ; implicit-def: $vgpr0
	s_and_saveexec_b64 s[22:23], vcc
	s_xor_b64 s[22:23], exec, s[22:23]
; %bb.43:                               ;   in Loop: Header=BB287_14 Depth=1
	v_bfe_u32 v0, v1, 16, 1
	v_add3_u32 v0, v1, v0, s35
                                        ; implicit-def: $vgpr1
; %bb.44:                               ;   in Loop: Header=BB287_14 Depth=1
	s_andn2_saveexec_b64 s[22:23], s[22:23]
; %bb.45:                               ;   in Loop: Header=BB287_14 Depth=1
	v_or_b32_e32 v0, 0x10000, v1
	v_cmp_eq_u32_sdwa vcc, v1, v115 src0_sel:WORD_0 src1_sel:DWORD
	s_nop 1
	v_cndmask_b32_e32 v0, v0, v1, vcc
; %bb.46:                               ;   in Loop: Header=BB287_14 Depth=1
	s_or_b64 exec, exec, s[22:23]
	v_cvt_f32_i32_e32 v1, v41
	v_add_u32_e32 v46, 1, v114
	v_mov_b32_e32 v47, v115
	v_lshl_add_u64 v[46:47], v[46:47], 1, s[10:11]
	v_add_f32_e32 v1, v44, v1
	global_store_short_d16_hi v[46:47], v0, off
	s_waitcnt vmcnt(19)
	v_lshlrev_b32_e32 v0, 16, v42
	v_add_f32_e32 v1, v1, v0
	v_and_b32_e32 v0, 0x7f800000, v1
	v_cmp_ne_u32_e32 vcc, s34, v0
                                        ; implicit-def: $vgpr0
	s_and_saveexec_b64 s[22:23], vcc
	s_xor_b64 s[22:23], exec, s[22:23]
; %bb.47:                               ;   in Loop: Header=BB287_14 Depth=1
	v_bfe_u32 v0, v1, 16, 1
	v_add3_u32 v0, v1, v0, s35
                                        ; implicit-def: $vgpr1
; %bb.48:                               ;   in Loop: Header=BB287_14 Depth=1
	s_andn2_saveexec_b64 s[22:23], s[22:23]
; %bb.49:                               ;   in Loop: Header=BB287_14 Depth=1
	v_or_b32_e32 v0, 0x10000, v1
	v_cmp_eq_u32_sdwa vcc, v1, v115 src0_sel:WORD_0 src1_sel:DWORD
	s_nop 1
	v_cndmask_b32_e32 v0, v0, v1, vcc
; %bb.50:                               ;   in Loop: Header=BB287_14 Depth=1
	s_or_b64 exec, exec, s[22:23]
	v_cvt_f32_i32_e32 v1, v37
	v_add_u32_e32 v42, 2, v114
	v_mov_b32_e32 v43, v115
	v_lshl_add_u64 v[42:43], v[42:43], 1, s[10:11]
	v_add_f32_e32 v1, v40, v1
	global_store_short_d16_hi v[42:43], v0, off
	;; [unrolled: 27-line block ×3, first 2 shown]
	s_waitcnt vmcnt(19)
	v_lshlrev_b32_e32 v0, 16, v39
	v_add_f32_e32 v0, v1, v0
	v_and_b32_e32 v1, 0x7f800000, v0
	v_cmp_ne_u32_e32 vcc, s34, v1
                                        ; implicit-def: $vgpr33
	s_and_saveexec_b64 s[22:23], vcc
	s_xor_b64 s[22:23], exec, s[22:23]
; %bb.55:                               ;   in Loop: Header=BB287_14 Depth=1
	v_bfe_u32 v1, v0, 16, 1
	v_add3_u32 v33, v0, v1, s35
                                        ; implicit-def: $vgpr0
; %bb.56:                               ;   in Loop: Header=BB287_14 Depth=1
	s_andn2_saveexec_b64 s[22:23], s[22:23]
; %bb.57:                               ;   in Loop: Header=BB287_14 Depth=1
	v_or_b32_e32 v1, 0x10000, v0
	v_cmp_eq_u32_sdwa vcc, v0, v115 src0_sel:WORD_0 src1_sel:DWORD
	s_nop 1
	v_cndmask_b32_e32 v33, v1, v0, vcc
; %bb.58:                               ;   in Loop: Header=BB287_14 Depth=1
	s_or_b64 exec, exec, s[22:23]
	v_cvt_f32_i32_e32 v30, v30
	v_add_u32_e32 v114, s7, v114
	v_lshl_add_u64 v[0:1], v[114:115], 1, s[10:11]
	global_store_short_d16_hi v[0:1], v33, off
	v_add_f32_e32 v30, v32, v30
	s_waitcnt vmcnt(19)
	v_lshlrev_b32_e32 v32, 16, v35
	v_add_f32_e32 v30, v30, v32
	v_and_b32_e32 v32, 0x7f800000, v30
	v_cmp_ne_u32_e32 vcc, s34, v32
                                        ; implicit-def: $vgpr32
	s_and_saveexec_b64 s[22:23], vcc
	s_xor_b64 s[22:23], exec, s[22:23]
; %bb.59:                               ;   in Loop: Header=BB287_14 Depth=1
	v_bfe_u32 v32, v30, 16, 1
	v_add3_u32 v32, v30, v32, s35
                                        ; implicit-def: $vgpr30
; %bb.60:                               ;   in Loop: Header=BB287_14 Depth=1
	s_andn2_saveexec_b64 s[22:23], s[22:23]
; %bb.61:                               ;   in Loop: Header=BB287_14 Depth=1
	v_or_b32_e32 v32, 0x10000, v30
	v_cmp_eq_u32_sdwa vcc, v30, v115 src0_sel:WORD_0 src1_sel:DWORD
	s_nop 1
	v_cndmask_b32_e32 v32, v32, v30, vcc
; %bb.62:                               ;   in Loop: Header=BB287_14 Depth=1
	s_or_b64 exec, exec, s[22:23]
	v_cvt_f32_i32_e32 v29, v29
	global_store_short_d16_hi v[0:1], v32, off offset:2
	s_waitcnt vmcnt(19)
	v_lshlrev_b32_e32 v1, 16, v34
	v_add_f32_e32 v0, v28, v29
	v_add_f32_e32 v1, v0, v1
	v_and_b32_e32 v0, 0x7f800000, v1
	v_cmp_ne_u32_e32 vcc, s34, v0
                                        ; implicit-def: $vgpr0
	s_and_saveexec_b64 s[22:23], vcc
	s_xor_b64 s[22:23], exec, s[22:23]
; %bb.63:                               ;   in Loop: Header=BB287_14 Depth=1
	v_bfe_u32 v0, v1, 16, 1
	v_add3_u32 v0, v1, v0, s35
                                        ; implicit-def: $vgpr1
; %bb.64:                               ;   in Loop: Header=BB287_14 Depth=1
	s_andn2_saveexec_b64 s[22:23], s[22:23]
; %bb.65:                               ;   in Loop: Header=BB287_14 Depth=1
	v_or_b32_e32 v0, 0x10000, v1
	v_cmp_eq_u32_sdwa vcc, v1, v115 src0_sel:WORD_0 src1_sel:DWORD
	s_nop 1
	v_cndmask_b32_e32 v0, v0, v1, vcc
; %bb.66:                               ;   in Loop: Header=BB287_14 Depth=1
	s_or_b64 exec, exec, s[22:23]
	v_cvt_f32_i32_e32 v1, v21
	v_add_u32_e32 v28, 2, v114
	v_mov_b32_e32 v29, v115
	v_lshl_add_u64 v[28:29], v[28:29], 1, s[10:11]
	v_add_f32_e32 v1, v24, v1
	global_store_short_d16_hi v[28:29], v0, off
	s_waitcnt vmcnt(19)
	v_lshlrev_b32_e32 v0, 16, v31
	v_add_f32_e32 v1, v1, v0
	v_and_b32_e32 v0, 0x7f800000, v1
	v_cmp_ne_u32_e32 vcc, s34, v0
                                        ; implicit-def: $vgpr0
	s_and_saveexec_b64 s[22:23], vcc
	s_xor_b64 s[22:23], exec, s[22:23]
; %bb.67:                               ;   in Loop: Header=BB287_14 Depth=1
	v_bfe_u32 v0, v1, 16, 1
	v_add3_u32 v0, v1, v0, s35
                                        ; implicit-def: $vgpr1
; %bb.68:                               ;   in Loop: Header=BB287_14 Depth=1
	s_andn2_saveexec_b64 s[22:23], s[22:23]
; %bb.69:                               ;   in Loop: Header=BB287_14 Depth=1
	v_or_b32_e32 v0, 0x10000, v1
	v_cmp_eq_u32_sdwa vcc, v1, v115 src0_sel:WORD_0 src1_sel:DWORD
	s_nop 1
	v_cndmask_b32_e32 v0, v0, v1, vcc
; %bb.70:                               ;   in Loop: Header=BB287_14 Depth=1
	s_or_b64 exec, exec, s[22:23]
	v_cvt_f32_i32_e32 v1, v17
	v_add_u32_e32 v28, 3, v114
	v_mov_b32_e32 v29, v115
	v_lshl_add_u64 v[28:29], v[28:29], 1, s[10:11]
	v_add_f32_e32 v1, v20, v1
	global_store_short_d16_hi v[28:29], v0, off
	s_waitcnt vmcnt(19)
	v_lshlrev_b32_e32 v0, 16, v27
	v_add_f32_e32 v1, v1, v0
	v_and_b32_e32 v0, 0x7f800000, v1
	v_cmp_ne_u32_e32 vcc, s34, v0
                                        ; implicit-def: $vgpr0
	s_and_saveexec_b64 s[22:23], vcc
	s_xor_b64 s[22:23], exec, s[22:23]
; %bb.71:                               ;   in Loop: Header=BB287_14 Depth=1
	v_bfe_u32 v0, v1, 16, 1
	v_add3_u32 v0, v1, v0, s35
                                        ; implicit-def: $vgpr1
; %bb.72:                               ;   in Loop: Header=BB287_14 Depth=1
	s_andn2_saveexec_b64 s[22:23], s[22:23]
; %bb.73:                               ;   in Loop: Header=BB287_14 Depth=1
	v_or_b32_e32 v0, 0x10000, v1
	v_cmp_eq_u32_sdwa vcc, v1, v115 src0_sel:WORD_0 src1_sel:DWORD
	s_nop 1
	v_cndmask_b32_e32 v0, v0, v1, vcc
; %bb.74:                               ;   in Loop: Header=BB287_14 Depth=1
	s_or_b64 exec, exec, s[22:23]
	v_cvt_f32_i32_e32 v1, v15
	v_add_u32_e32 v114, s7, v114
	v_lshl_add_u64 v[20:21], v[114:115], 1, s[10:11]
	global_store_short_d16_hi v[20:21], v0, off
	v_add_f32_e32 v0, v16, v1
	s_waitcnt vmcnt(19)
	v_lshlrev_b32_e32 v1, 16, v26
	v_add_f32_e32 v1, v0, v1
	v_and_b32_e32 v0, 0x7f800000, v1
	v_cmp_ne_u32_e32 vcc, s34, v0
                                        ; implicit-def: $vgpr0
	s_and_saveexec_b64 s[22:23], vcc
	s_xor_b64 s[22:23], exec, s[22:23]
; %bb.75:                               ;   in Loop: Header=BB287_14 Depth=1
	v_bfe_u32 v0, v1, 16, 1
	v_add3_u32 v0, v1, v0, s35
                                        ; implicit-def: $vgpr1
; %bb.76:                               ;   in Loop: Header=BB287_14 Depth=1
	s_andn2_saveexec_b64 s[22:23], s[22:23]
; %bb.77:                               ;   in Loop: Header=BB287_14 Depth=1
	v_or_b32_e32 v0, 0x10000, v1
	v_cmp_eq_u32_sdwa vcc, v1, v115 src0_sel:WORD_0 src1_sel:DWORD
	s_nop 1
	v_cndmask_b32_e32 v0, v0, v1, vcc
; %bb.78:                               ;   in Loop: Header=BB287_14 Depth=1
	s_or_b64 exec, exec, s[22:23]
	v_cvt_f32_i32_e32 v1, v14
	v_add_u32_e32 v14, 1, v114
	v_mov_b32_e32 v15, v115
	v_lshl_add_u64 v[14:15], v[14:15], 1, s[10:11]
	v_add_f32_e32 v1, v13, v1
	global_store_short_d16_hi v[14:15], v0, off
	s_waitcnt vmcnt(19)
	v_lshlrev_b32_e32 v0, 16, v25
	v_add_f32_e32 v1, v1, v0
	v_and_b32_e32 v0, 0x7f800000, v1
	v_cmp_ne_u32_e32 vcc, s34, v0
                                        ; implicit-def: $vgpr0
	s_and_saveexec_b64 s[22:23], vcc
	s_xor_b64 s[22:23], exec, s[22:23]
; %bb.79:                               ;   in Loop: Header=BB287_14 Depth=1
	v_bfe_u32 v0, v1, 16, 1
	v_add3_u32 v0, v1, v0, s35
                                        ; implicit-def: $vgpr1
; %bb.80:                               ;   in Loop: Header=BB287_14 Depth=1
	s_andn2_saveexec_b64 s[22:23], s[22:23]
; %bb.81:                               ;   in Loop: Header=BB287_14 Depth=1
	v_or_b32_e32 v0, 0x10000, v1
	v_cmp_eq_u32_sdwa vcc, v1, v115 src0_sel:WORD_0 src1_sel:DWORD
	s_nop 1
	v_cndmask_b32_e32 v0, v0, v1, vcc
; %bb.82:                               ;   in Loop: Header=BB287_14 Depth=1
	s_or_b64 exec, exec, s[22:23]
	v_cvt_f32_i32_e32 v1, v7
	v_add_u32_e32 v14, 2, v114
	v_mov_b32_e32 v15, v115
	v_lshl_add_u64 v[14:15], v[14:15], 1, s[10:11]
	v_add_f32_e32 v1, v12, v1
	global_store_short_d16_hi v[14:15], v0, off
	s_waitcnt vmcnt(19)
	v_lshlrev_b32_e32 v0, 16, v23
	v_add_f32_e32 v1, v1, v0
	v_and_b32_e32 v0, 0x7f800000, v1
	v_cmp_ne_u32_e32 vcc, s34, v0
                                        ; implicit-def: $vgpr0
	s_and_saveexec_b64 s[22:23], vcc
	s_xor_b64 s[22:23], exec, s[22:23]
; %bb.83:                               ;   in Loop: Header=BB287_14 Depth=1
	v_bfe_u32 v0, v1, 16, 1
	v_add3_u32 v0, v1, v0, s35
                                        ; implicit-def: $vgpr1
; %bb.84:                               ;   in Loop: Header=BB287_14 Depth=1
	s_andn2_saveexec_b64 s[22:23], s[22:23]
; %bb.85:                               ;   in Loop: Header=BB287_14 Depth=1
	v_or_b32_e32 v0, 0x10000, v1
	v_cmp_eq_u32_sdwa vcc, v1, v115 src0_sel:WORD_0 src1_sel:DWORD
	s_nop 1
	v_cndmask_b32_e32 v0, v0, v1, vcc
; %bb.86:                               ;   in Loop: Header=BB287_14 Depth=1
	s_or_b64 exec, exec, s[22:23]
	v_cvt_f32_i32_e32 v1, v10
	v_add_u32_e32 v12, 3, v114
	v_mov_b32_e32 v13, v115
	v_lshl_add_u64 v[12:13], v[12:13], 1, s[10:11]
	v_add_f32_e32 v1, v9, v1
	global_store_short_d16_hi v[12:13], v0, off
	s_waitcnt vmcnt(19)
	v_lshlrev_b32_e32 v0, 16, v22
	v_add_f32_e32 v0, v1, v0
	v_and_b32_e32 v1, 0x7f800000, v0
	v_cmp_ne_u32_e32 vcc, s34, v1
                                        ; implicit-def: $vgpr7
	s_and_saveexec_b64 s[22:23], vcc
	s_xor_b64 s[22:23], exec, s[22:23]
; %bb.87:                               ;   in Loop: Header=BB287_14 Depth=1
	v_bfe_u32 v1, v0, 16, 1
	v_add3_u32 v7, v0, v1, s35
                                        ; implicit-def: $vgpr0
; %bb.88:                               ;   in Loop: Header=BB287_14 Depth=1
	s_andn2_saveexec_b64 s[22:23], s[22:23]
; %bb.89:                               ;   in Loop: Header=BB287_14 Depth=1
	v_or_b32_e32 v1, 0x10000, v0
	v_cmp_eq_u32_sdwa vcc, v0, v115 src0_sel:WORD_0 src1_sel:DWORD
	s_nop 1
	v_cndmask_b32_e32 v7, v1, v0, vcc
; %bb.90:                               ;   in Loop: Header=BB287_14 Depth=1
	s_or_b64 exec, exec, s[22:23]
	v_cvt_f32_i32_e32 v8, v8
	v_add_u32_e32 v114, s7, v114
	v_lshl_add_u64 v[0:1], v[114:115], 1, s[10:11]
	global_store_short_d16_hi v[0:1], v7, off
	v_add_f32_e32 v6, v6, v8
	s_waitcnt vmcnt(19)
	v_lshlrev_b32_e32 v7, 16, v19
	v_add_f32_e32 v6, v6, v7
	v_and_b32_e32 v7, 0x7f800000, v6
	v_cmp_ne_u32_e32 vcc, s34, v7
                                        ; implicit-def: $vgpr7
	s_and_saveexec_b64 s[22:23], vcc
	s_xor_b64 s[22:23], exec, s[22:23]
; %bb.91:                               ;   in Loop: Header=BB287_14 Depth=1
	v_bfe_u32 v7, v6, 16, 1
	v_add3_u32 v7, v6, v7, s35
                                        ; implicit-def: $vgpr6
; %bb.92:                               ;   in Loop: Header=BB287_14 Depth=1
	s_andn2_saveexec_b64 s[22:23], s[22:23]
; %bb.93:                               ;   in Loop: Header=BB287_14 Depth=1
	v_or_b32_e32 v7, 0x10000, v6
	v_cmp_eq_u32_sdwa vcc, v6, v115 src0_sel:WORD_0 src1_sel:DWORD
	s_nop 1
	v_cndmask_b32_e32 v7, v7, v6, vcc
; %bb.94:                               ;   in Loop: Header=BB287_14 Depth=1
	s_or_b64 exec, exec, s[22:23]
	v_cvt_f32_i32_e32 v5, v5
	global_store_short_d16_hi v[0:1], v7, off offset:2
	v_add_f32_e32 v4, v4, v5
	s_waitcnt vmcnt(19)
	v_lshlrev_b32_e32 v5, 16, v18
	v_add_f32_e32 v4, v4, v5
	v_and_b32_e32 v5, 0x7f800000, v4
	v_cmp_ne_u32_e32 vcc, s34, v5
                                        ; implicit-def: $vgpr5
	s_and_saveexec_b64 s[22:23], vcc
	s_xor_b64 s[22:23], exec, s[22:23]
; %bb.95:                               ;   in Loop: Header=BB287_14 Depth=1
	v_bfe_u32 v5, v4, 16, 1
	v_add3_u32 v5, v4, v5, s35
                                        ; implicit-def: $vgpr4
; %bb.96:                               ;   in Loop: Header=BB287_14 Depth=1
	s_andn2_saveexec_b64 s[22:23], s[22:23]
; %bb.97:                               ;   in Loop: Header=BB287_14 Depth=1
	v_or_b32_e32 v5, 0x10000, v4
	v_cmp_eq_u32_sdwa vcc, v4, v115 src0_sel:WORD_0 src1_sel:DWORD
	s_nop 1
	v_cndmask_b32_e32 v5, v5, v4, vcc
; %bb.98:                               ;   in Loop: Header=BB287_14 Depth=1
	s_or_b64 exec, exec, s[22:23]
	v_cvt_f32_i32_e32 v3, v3
	global_store_short_d16_hi v[0:1], v5, off offset:4
	v_add_f32_e32 v2, v2, v3
	s_waitcnt vmcnt(19)
	v_lshlrev_b32_e32 v3, 16, v11
	v_add_f32_e32 v2, v2, v3
	v_and_b32_e32 v3, 0x7f800000, v2
	v_cmp_ne_u32_e32 vcc, s34, v3
                                        ; implicit-def: $vgpr3
	s_and_saveexec_b64 s[22:23], vcc
	s_xor_b64 s[22:23], exec, s[22:23]
; %bb.99:                               ;   in Loop: Header=BB287_14 Depth=1
	v_bfe_u32 v3, v2, 16, 1
	v_add3_u32 v3, v2, v3, s35
                                        ; implicit-def: $vgpr2
; %bb.100:                              ;   in Loop: Header=BB287_14 Depth=1
	s_andn2_saveexec_b64 s[22:23], s[22:23]
	s_cbranch_execz .LBB287_12
; %bb.101:                              ;   in Loop: Header=BB287_14 Depth=1
	v_or_b32_e32 v3, 0x10000, v2
	v_cmp_eq_u32_sdwa vcc, v2, v115 src0_sel:WORD_0 src1_sel:DWORD
	s_nop 1
	v_cndmask_b32_e32 v3, v3, v2, vcc
	s_branch .LBB287_12
.LBB287_102:
	s_endpgm
	.section	.rodata,"a",@progbits
	.p2align	6, 0x0
	.amdhsa_kernel _Z16wvSplitK_hf_sml_I14__hip_bfloat16Li32ELi4ELi16ELi8ELi1ELi5EEviiiiiiPKT_S3_S3_PS1_ii
		.amdhsa_group_segment_fixed_size 65536
		.amdhsa_private_segment_fixed_size 0
		.amdhsa_kernarg_size 64
		.amdhsa_user_sgpr_count 2
		.amdhsa_user_sgpr_dispatch_ptr 0
		.amdhsa_user_sgpr_queue_ptr 0
		.amdhsa_user_sgpr_kernarg_segment_ptr 1
		.amdhsa_user_sgpr_dispatch_id 0
		.amdhsa_user_sgpr_kernarg_preload_length 0
		.amdhsa_user_sgpr_kernarg_preload_offset 0
		.amdhsa_user_sgpr_private_segment_size 0
		.amdhsa_uses_dynamic_stack 0
		.amdhsa_enable_private_segment 0
		.amdhsa_system_sgpr_workgroup_id_x 1
		.amdhsa_system_sgpr_workgroup_id_y 0
		.amdhsa_system_sgpr_workgroup_id_z 0
		.amdhsa_system_sgpr_workgroup_info 0
		.amdhsa_system_vgpr_workitem_id 1
		.amdhsa_next_free_vgpr 131
		.amdhsa_next_free_sgpr 36
		.amdhsa_accum_offset 132
		.amdhsa_reserve_vcc 1
		.amdhsa_float_round_mode_32 0
		.amdhsa_float_round_mode_16_64 0
		.amdhsa_float_denorm_mode_32 3
		.amdhsa_float_denorm_mode_16_64 3
		.amdhsa_dx10_clamp 1
		.amdhsa_ieee_mode 1
		.amdhsa_fp16_overflow 0
		.amdhsa_tg_split 0
		.amdhsa_exception_fp_ieee_invalid_op 0
		.amdhsa_exception_fp_denorm_src 0
		.amdhsa_exception_fp_ieee_div_zero 0
		.amdhsa_exception_fp_ieee_overflow 0
		.amdhsa_exception_fp_ieee_underflow 0
		.amdhsa_exception_fp_ieee_inexact 0
		.amdhsa_exception_int_div_zero 0
	.end_amdhsa_kernel
	.section	.text._Z16wvSplitK_hf_sml_I14__hip_bfloat16Li32ELi4ELi16ELi8ELi1ELi5EEviiiiiiPKT_S3_S3_PS1_ii,"axG",@progbits,_Z16wvSplitK_hf_sml_I14__hip_bfloat16Li32ELi4ELi16ELi8ELi1ELi5EEviiiiiiPKT_S3_S3_PS1_ii,comdat
.Lfunc_end287:
	.size	_Z16wvSplitK_hf_sml_I14__hip_bfloat16Li32ELi4ELi16ELi8ELi1ELi5EEviiiiiiPKT_S3_S3_PS1_ii, .Lfunc_end287-_Z16wvSplitK_hf_sml_I14__hip_bfloat16Li32ELi4ELi16ELi8ELi1ELi5EEviiiiiiPKT_S3_S3_PS1_ii
                                        ; -- End function
	.section	.AMDGPU.csdata,"",@progbits
; Kernel info:
; codeLenInByte = 7556
; NumSgprs: 42
; NumVgprs: 131
; NumAgprs: 0
; TotalNumVgprs: 131
; ScratchSize: 0
; MemoryBound: 0
; FloatMode: 240
; IeeeMode: 1
; LDSByteSize: 65536 bytes/workgroup (compile time only)
; SGPRBlocks: 5
; VGPRBlocks: 16
; NumSGPRsForWavesPerEU: 42
; NumVGPRsForWavesPerEU: 131
; AccumOffset: 132
; Occupancy: 2
; WaveLimiterHint : 0
; COMPUTE_PGM_RSRC2:SCRATCH_EN: 0
; COMPUTE_PGM_RSRC2:USER_SGPR: 2
; COMPUTE_PGM_RSRC2:TRAP_HANDLER: 0
; COMPUTE_PGM_RSRC2:TGID_X_EN: 1
; COMPUTE_PGM_RSRC2:TGID_Y_EN: 0
; COMPUTE_PGM_RSRC2:TGID_Z_EN: 0
; COMPUTE_PGM_RSRC2:TIDIG_COMP_CNT: 1
; COMPUTE_PGM_RSRC3_GFX90A:ACCUM_OFFSET: 32
; COMPUTE_PGM_RSRC3_GFX90A:TG_SPLIT: 0
	.section	.text._Z12wvSplitK_hf_I14__hip_bfloat16Li32ELi4ELi16ELi8ELi1ELi5EEviiiiiiPKT_S3_S3_PS1_ii,"axG",@progbits,_Z12wvSplitK_hf_I14__hip_bfloat16Li32ELi4ELi16ELi8ELi1ELi5EEviiiiiiPKT_S3_S3_PS1_ii,comdat
	.protected	_Z12wvSplitK_hf_I14__hip_bfloat16Li32ELi4ELi16ELi8ELi1ELi5EEviiiiiiPKT_S3_S3_PS1_ii ; -- Begin function _Z12wvSplitK_hf_I14__hip_bfloat16Li32ELi4ELi16ELi8ELi1ELi5EEviiiiiiPKT_S3_S3_PS1_ii
	.globl	_Z12wvSplitK_hf_I14__hip_bfloat16Li32ELi4ELi16ELi8ELi1ELi5EEviiiiiiPKT_S3_S3_PS1_ii
	.p2align	8
	.type	_Z12wvSplitK_hf_I14__hip_bfloat16Li32ELi4ELi16ELi8ELi1ELi5EEviiiiiiPKT_S3_S3_PS1_ii,@function
_Z12wvSplitK_hf_I14__hip_bfloat16Li32ELi4ELi16ELi8ELi1ELi5EEviiiiiiPKT_S3_S3_PS1_ii: ; @_Z12wvSplitK_hf_I14__hip_bfloat16Li32ELi4ELi16ELi8ELi1ELi5EEviiiiiiPKT_S3_S3_PS1_ii
; %bb.0:
	s_load_dwordx2 s[8:9], s[0:1], 0x38
	s_load_dwordx2 s[20:21], s[0:1], 0x20
	s_load_dwordx4 s[12:15], s[0:1], 0x0
	s_load_dwordx2 s[22:23], s[0:1], 0x10
	v_bfe_u32 v1, v0, 10, 10
	s_waitcnt lgkmcnt(0)
	s_mul_i32 s2, s2, s8
	v_add_lshl_u32 v122, s2, v1, 2
	s_mov_b32 s4, 1
	v_add_u32_e32 v2, 4, v122
	s_mov_b32 s5, s4
	v_cmp_gt_u32_e32 vcc, s15, v122
	v_cmp_le_u32_e64 s[2:3], s15, v2
	s_mov_b32 s6, s4
	s_mov_b32 s7, s4
	v_mov_b64_e32 v[2:3], s[4:5]
	s_and_b64 s[10:11], vcc, s[2:3]
	v_mov_b64_e32 v[4:5], s[6:7]
	s_and_saveexec_b64 s[2:3], s[10:11]
	s_cbranch_execz .LBB288_6
; %bb.1:
	s_add_i32 s24, s15, -4
	v_mov_b64_e32 v[2:3], s[4:5]
	v_cmp_ne_u32_e32 vcc, s24, v122
	v_mov_b64_e32 v[4:5], s[6:7]
	s_and_saveexec_b64 s[10:11], vcc
	s_cbranch_execz .LBB288_5
; %bb.2:
	v_subrev_u32_e32 v2, s24, v122
	v_cmp_lt_u32_e32 vcc, 1, v2
	s_mov_b64 s[16:17], 0
	s_mov_b64 s[18:19], 0
	v_cndmask_b32_e32 v6, 1, v2, vcc
	s_mov_b32 s5, s4
	s_mov_b32 s6, s4
	s_mov_b32 s7, s4
.LBB288_3:                              ; =>This Inner Loop Header: Depth=1
	s_cmp_lg_u32 s18, 3
	s_cselect_b32 s7, s7, 0
	s_cmp_lg_u32 s18, 2
	s_cselect_b32 s6, s6, 0
	;; [unrolled: 2-line block ×4, first 2 shown]
	s_add_u32 s18, s18, 1
	s_addc_u32 s19, s19, 0
	v_cmp_eq_u32_e32 vcc, s18, v6
	v_mov_b64_e32 v[2:3], s[4:5]
	s_or_b64 s[16:17], vcc, s[16:17]
	v_mov_b64_e32 v[4:5], s[6:7]
	s_andn2_b64 exec, exec, s[16:17]
	s_cbranch_execnz .LBB288_3
; %bb.4:
	s_or_b64 exec, exec, s[16:17]
	v_mov_b32_e32 v122, s24
.LBB288_5:
	s_or_b64 exec, exec, s[10:11]
.LBB288_6:
	s_or_b64 exec, exec, s[2:3]
	v_and_b32_e32 v10, 0x3ff, v0
	v_lshlrev_b32_e32 v0, 3, v10
	s_mul_i32 s2, s14, 5
	v_lshl_add_u32 v11, v1, 8, v0
	s_min_u32 s4, s2, 0x8000
	v_cmp_gt_u32_e32 vcc, s4, v11
	s_and_saveexec_b64 s[2:3], vcc
	s_cbranch_execz .LBB288_15
; %bb.7:
	v_lshlrev_b32_e32 v6, 1, v11
	global_load_dwordx4 v[12:15], v6, s[20:21]
	v_add_u32_e32 v7, 0x1000, v11
	v_cmp_gt_u32_e32 vcc, s4, v7
	s_waitcnt vmcnt(0)
	ds_write_b128 v6, v[12:15]
	s_and_saveexec_b64 s[6:7], vcc
	s_xor_b64 s[6:7], exec, s[6:7]
	s_cbranch_execz .LBB288_15
; %bb.8:
	v_mov_b32_e32 v7, 0
	v_lshl_add_u64 v[8:9], s[20:21], 0, v[6:7]
	v_add_co_u32_e32 v12, vcc, 0x2000, v8
	v_add_u32_e32 v7, 0x2000, v11
	s_nop 0
	v_addc_co_u32_e32 v13, vcc, 0, v9, vcc
	global_load_dwordx4 v[12:15], v[12:13], off
	v_cmp_gt_u32_e32 vcc, s4, v7
	s_waitcnt vmcnt(0)
	ds_write_b128 v6, v[12:15] offset:8192
	s_and_saveexec_b64 s[6:7], vcc
	s_xor_b64 s[6:7], exec, s[6:7]
	s_cbranch_execz .LBB288_15
; %bb.9:
	v_add_co_u32_e32 v12, vcc, 0x4000, v8
	v_add_u32_e32 v7, 0x3000, v11
	s_nop 0
	v_addc_co_u32_e32 v13, vcc, 0, v9, vcc
	global_load_dwordx4 v[12:15], v[12:13], off
	v_cmp_gt_u32_e32 vcc, s4, v7
	s_waitcnt vmcnt(0)
	ds_write_b128 v6, v[12:15] offset:16384
	s_and_saveexec_b64 s[6:7], vcc
	s_xor_b64 s[6:7], exec, s[6:7]
	s_cbranch_execz .LBB288_15
; %bb.10:
	;; [unrolled: 12-line block ×6, first 2 shown]
	v_add_co_u32_e32 v8, vcc, 0xe000, v8
	s_nop 1
	v_addc_co_u32_e32 v9, vcc, 0, v9, vcc
	global_load_dwordx4 v[12:15], v[8:9], off
	s_waitcnt vmcnt(0)
	ds_write_b128 v6, v[12:15] offset:57344
.LBB288_15:
	s_or_b64 exec, exec, s[2:3]
	v_cmp_gt_u32_e32 vcc, s8, v1
	v_cmp_gt_u32_e64 s[2:3], s15, v122
	s_and_b64 s[2:3], vcc, s[2:3]
	s_waitcnt lgkmcnt(0)
	s_barrier
	s_and_saveexec_b64 s[4:5], s[2:3]
	s_cbranch_execz .LBB288_172
; %bb.16:
	s_load_dwordx4 s[16:19], s[0:1], 0x28
	s_load_dwordx2 s[24:25], s[0:1], 0x18
	s_cmp_lg_u32 s12, 0
	s_cselect_b64 s[2:3], -1, 0
	s_add_i32 s33, s12, -8
	s_add_i32 s38, s15, -1
	s_mul_i32 s4, s8, s9
	s_waitcnt lgkmcnt(0)
	s_cmp_lg_u64 s[16:17], 0
	s_cselect_b64 s[28:29], -1, 0
	s_lshl_b32 s39, s4, 2
	s_abs_i32 s4, s23
	v_cvt_f32_u32_e32 v1, s22
	v_cvt_f32_u32_e32 v6, s4
	s_sub_i32 s5, 0, s22
	s_add_i32 s23, s15, -4
	v_rcp_iflag_f32_e32 v1, v1
	v_rcp_iflag_f32_e32 v6, v6
	v_cmp_eq_u32_e64 s[0:1], 31, v10
	s_mov_b64 s[26:27], 0
	v_mul_f32_e32 v1, 0x4f7ffffe, v1
	v_mul_f32_e32 v6, 0x4f7ffffe, v6
	v_cvt_u32_f32_e32 v1, v1
	v_cvt_u32_f32_e32 v6, v6
	v_mov_b32_e32 v125, 0
	v_lshlrev_b32_e32 v144, 4, v10
	v_mul_lo_u32 v7, s5, v1
	s_sub_i32 s5, 0, s4
	v_readfirstlane_b32 s6, v6
	s_mul_i32 s5, s5, s6
	s_mul_hi_u32 s5, s6, s5
	s_add_i32 s6, s6, s5
	s_sub_i32 s5, 1, s4
	s_cmp_lt_u32 s4, 2
	s_cselect_b32 s5, s5, 1
	s_sub_i32 s7, s5, s4
	s_cmp_ge_u32 s5, s4
	s_cselect_b32 s40, s7, s5
	s_lshr_b32 s5, s6, 31
	s_mul_i32 s5, s5, s4
	s_sub_i32 s5, 2, s5
	s_sub_i32 s7, s5, s4
	s_cmp_ge_u32 s5, s4
	s_cselect_b32 s5, s7, s5
	s_sub_i32 s7, s5, s4
	s_cmp_ge_u32 s5, s4
	s_cselect_b32 s41, s7, s5
	s_mul_hi_u32 s5, s6, 3
	s_mul_i32 s5, s5, s4
	s_sub_i32 s5, 3, s5
	s_sub_i32 s7, s5, s4
	s_cmp_ge_u32 s5, s4
	s_cselect_b32 s5, s7, s5
	s_sub_i32 s7, s5, s4
	s_cmp_ge_u32 s5, s4
	s_cselect_b32 s42, s7, s5
	s_lshr_b32 s5, s6, 30
	s_mul_i32 s5, s5, s4
	s_sub_i32 s5, 4, s5
	s_sub_i32 s6, s5, s4
	s_cmp_ge_u32 s5, s4
	s_cselect_b32 s5, s6, s5
	v_mul_hi_u32 v7, v1, v7
	s_sub_i32 s6, s5, s4
	v_add_u32_e32 v1, v1, v7
	s_cmp_ge_u32 s5, s4
	s_cselect_b32 s43, s6, s5
	s_lshl_b32 s44, s14, 1
	s_lshl_b32 s45, s14, 2
	v_mad_u64_u32 v[126:127], s[4:5], s14, 3, v[0:1]
	v_cndmask_b32_e64 v6, 0, 1, s[2:3]
	s_mul_i32 s40, s40, s22
	s_mul_i32 s41, s41, s22
	;; [unrolled: 1-line block ×4, first 2 shown]
	v_add_u32_e32 v145, s44, v0
	s_mul_i32 s46, s14, 6
	v_add_u32_e32 v127, s45, v0
	s_lshl_b32 s47, s14, 3
	v_add_u32_e32 v146, s14, v0
	v_cmp_ne_u32_e64 s[2:3], 1, v6
	s_movk_i32 s14, 0x7fff
	s_mov_b32 s48, 0x7f800000
	s_branch .LBB288_19
.LBB288_17:                             ;   in Loop: Header=BB288_19 Depth=1
	s_or_b64 exec, exec, s[8:9]
	v_mov_b32_e32 v122, s23
.LBB288_18:                             ;   in Loop: Header=BB288_19 Depth=1
	s_or_b64 exec, exec, s[6:7]
	v_cmp_le_u32_e32 vcc, s15, v122
	s_or_b64 s[26:27], vcc, s[26:27]
	s_andn2_b64 exec, exec, s[26:27]
	s_cbranch_execz .LBB288_172
.LBB288_19:                             ; =>This Loop Header: Depth=1
                                        ;     Child Loop BB288_23 Depth 2
                                        ;     Child Loop BB288_170 Depth 2
	s_and_b64 vcc, exec, s[2:3]
	v_add_u32_e32 v132, 1, v122
	v_add_u32_e32 v130, 2, v122
	;; [unrolled: 1-line block ×3, first 2 shown]
	s_waitcnt vmcnt(2)
	v_mov_b32_e32 v17, v125
	s_waitcnt vmcnt(1)
	v_mov_b32_e32 v16, v125
	;; [unrolled: 2-line block ×3, first 2 shown]
	v_mov_b32_e32 v14, v125
	v_mov_b32_e32 v9, v125
	;; [unrolled: 1-line block ×77, first 2 shown]
	s_cbranch_vccnz .LBB288_44
; %bb.20:                               ;   in Loop: Header=BB288_19 Depth=1
	v_min_u32_e32 v6, s38, v122
	v_mul_lo_u32 v134, v6, s13
	v_min_u32_e32 v6, s38, v132
	v_mul_lo_u32 v136, v6, s13
	;; [unrolled: 2-line block ×3, first 2 shown]
	v_min_u32_e32 v6, s38, v128
	v_mov_b32_e32 v22, 0
	v_mov_b32_e32 v135, v125
	v_mov_b32_e32 v137, v125
	v_mov_b32_e32 v139, v125
	v_mul_lo_u32 v140, v6, s13
	v_mov_b32_e32 v141, v125
	s_mov_b32 s4, 0
	v_mov_b32_e32 v123, v144
	s_mov_b32 s10, 0
	v_mov_b32_e32 v23, v22
	v_mov_b32_e32 v24, v22
	;; [unrolled: 1-line block ×79, first 2 shown]
	s_branch .LBB288_23
.LBB288_21:                             ;   in Loop: Header=BB288_23 Depth=2
	s_or_b64 exec, exec, s[8:9]
.LBB288_22:                             ;   in Loop: Header=BB288_23 Depth=2
	s_or_b64 exec, exec, s[6:7]
	s_waitcnt vmcnt(0) lgkmcnt(0)
	v_mfma_f32_4x4x4_16b_bf16 v[82:85], v[102:103], v[94:95], v[82:85]
	s_addk_i32 s10, 0x100
	v_mfma_f32_4x4x4_16b_bf16 v[78:81], v[102:103], v[90:91], v[78:81]
	v_add_u32_e32 v123, 0x200, v123
	v_mfma_f32_4x4x4_16b_bf16 v[74:77], v[102:103], v[98:99], v[74:77]
	s_cmp_ge_u32 s10, s12
	v_mfma_f32_4x4x4_16b_bf16 v[70:73], v[102:103], v[86:87], v[70:73]
	v_mfma_f32_4x4x4_16b_bf16 v[66:69], v[106:107], v[94:95], v[66:69]
	;; [unrolled: 1-line block ×37, first 2 shown]
	s_cbranch_scc1 .LBB288_44
.LBB288_23:                             ;   Parent Loop BB288_19 Depth=1
                                        ; =>  This Inner Loop Header: Depth=2
	v_add_u32_e32 v142, s10, v0
	v_min_u32_e32 v124, s33, v142
	v_lshl_add_u64 v[86:87], v[124:125], 1, s[24:25]
	v_lshl_add_u64 v[88:89], v[134:135], 1, v[86:87]
	;; [unrolled: 1-line block ×4, first 2 shown]
	global_load_dwordx4 v[94:97], v[88:89], off nt
	global_load_dwordx4 v[90:93], v[98:99], off nt
	v_lshl_add_u64 v[104:105], v[140:141], 1, v[86:87]
	global_load_dwordx4 v[98:101], v[102:103], off nt
	global_load_dwordx4 v[86:89], v[104:105], off nt
	s_mov_b32 s5, s4
	v_cmp_gt_u32_e32 vcc, s12, v142
	v_mov_b64_e32 v[102:103], s[4:5]
	v_mov_b32_e32 v111, 0
	v_mov_b32_e32 v110, 0
	;; [unrolled: 1-line block ×4, first 2 shown]
	v_mov_b64_e32 v[104:105], s[4:5]
	v_mov_b64_e32 v[106:107], s[4:5]
	;; [unrolled: 1-line block ×7, first 2 shown]
	s_and_saveexec_b64 s[6:7], vcc
	s_cbranch_execz .LBB288_22
; %bb.24:                               ;   in Loop: Header=BB288_23 Depth=2
	v_cmp_lt_u32_e32 vcc, s14, v142
                                        ; implicit-def: $vgpr102_vgpr103
	s_and_saveexec_b64 s[8:9], vcc
	s_xor_b64 s[8:9], exec, s[8:9]
	s_cbranch_execz .LBB288_26
; %bb.25:                               ;   in Loop: Header=BB288_23 Depth=2
	v_mov_b32_e32 v143, v125
	v_lshl_add_u64 v[102:103], v[142:143], 1, s[20:21]
	global_load_dwordx4 v[102:105], v[102:103], off
.LBB288_26:                             ;   in Loop: Header=BB288_23 Depth=2
	s_andn2_saveexec_b64 s[8:9], s[8:9]
	s_cbranch_execz .LBB288_28
; %bb.27:                               ;   in Loop: Header=BB288_23 Depth=2
	s_waitcnt vmcnt(0)
	ds_read_b128 v[102:105], v123
.LBB288_28:                             ;   in Loop: Header=BB288_23 Depth=2
	s_or_b64 exec, exec, s[8:9]
	v_add_u32_e32 v124, s10, v146
	v_cmp_lt_u32_e32 vcc, s14, v124
                                        ; implicit-def: $vgpr106_vgpr107
	s_and_saveexec_b64 s[8:9], vcc
	s_xor_b64 s[8:9], exec, s[8:9]
	s_cbranch_execz .LBB288_30
; %bb.29:                               ;   in Loop: Header=BB288_23 Depth=2
	v_lshl_add_u64 v[106:107], v[124:125], 1, s[20:21]
	global_load_dwordx4 v[106:109], v[106:107], off
.LBB288_30:                             ;   in Loop: Header=BB288_23 Depth=2
	s_andn2_saveexec_b64 s[8:9], s[8:9]
	s_cbranch_execz .LBB288_32
; %bb.31:                               ;   in Loop: Header=BB288_23 Depth=2
	s_waitcnt vmcnt(0)
	v_add_u32_e32 v106, s44, v123
	ds_read_b128 v[106:109], v106
.LBB288_32:                             ;   in Loop: Header=BB288_23 Depth=2
	s_or_b64 exec, exec, s[8:9]
	v_add_u32_e32 v124, s10, v145
	v_cmp_lt_u32_e32 vcc, s14, v124
                                        ; implicit-def: $vgpr114_vgpr115
	s_and_saveexec_b64 s[8:9], vcc
	s_xor_b64 s[8:9], exec, s[8:9]
	s_cbranch_execz .LBB288_34
; %bb.33:                               ;   in Loop: Header=BB288_23 Depth=2
	v_lshl_add_u64 v[110:111], v[124:125], 1, s[20:21]
	global_load_dwordx4 v[114:117], v[110:111], off
.LBB288_34:                             ;   in Loop: Header=BB288_23 Depth=2
	s_andn2_saveexec_b64 s[8:9], s[8:9]
	s_cbranch_execz .LBB288_36
; %bb.35:                               ;   in Loop: Header=BB288_23 Depth=2
	v_add_u32_e32 v110, s45, v123
	s_waitcnt vmcnt(0)
	ds_read2_b32 v[114:115], v110 offset1:1
	ds_read2_b32 v[116:117], v110 offset0:2 offset1:3
.LBB288_36:                             ;   in Loop: Header=BB288_23 Depth=2
	s_or_b64 exec, exec, s[8:9]
	v_add_u32_e32 v124, s10, v126
	v_cmp_lt_u32_e32 vcc, s14, v124
                                        ; implicit-def: $vgpr118_vgpr119
	s_and_saveexec_b64 s[8:9], vcc
	s_xor_b64 s[8:9], exec, s[8:9]
	s_cbranch_execz .LBB288_38
; %bb.37:                               ;   in Loop: Header=BB288_23 Depth=2
	v_lshl_add_u64 v[110:111], v[124:125], 1, s[20:21]
	global_load_dwordx4 v[118:121], v[110:111], off
.LBB288_38:                             ;   in Loop: Header=BB288_23 Depth=2
	s_andn2_saveexec_b64 s[8:9], s[8:9]
	s_cbranch_execz .LBB288_40
; %bb.39:                               ;   in Loop: Header=BB288_23 Depth=2
	v_add_u32_e32 v110, s46, v123
	s_waitcnt vmcnt(0)
	ds_read_b128 v[118:121], v110
.LBB288_40:                             ;   in Loop: Header=BB288_23 Depth=2
	s_or_b64 exec, exec, s[8:9]
	v_add_u32_e32 v124, s10, v127
	v_cmp_lt_u32_e32 vcc, s14, v124
                                        ; implicit-def: $vgpr111
	s_and_saveexec_b64 s[8:9], vcc
	s_xor_b64 s[8:9], exec, s[8:9]
	s_cbranch_execz .LBB288_42
; %bb.41:                               ;   in Loop: Header=BB288_23 Depth=2
	v_lshl_add_u64 v[110:111], v[124:125], 1, s[20:21]
	global_load_dwordx4 v[110:113], v[110:111], off
.LBB288_42:                             ;   in Loop: Header=BB288_23 Depth=2
	s_andn2_saveexec_b64 s[8:9], s[8:9]
	s_cbranch_execz .LBB288_21
; %bb.43:                               ;   in Loop: Header=BB288_23 Depth=2
	s_waitcnt vmcnt(0)
	v_add_u32_e32 v110, s47, v123
	ds_read2_b64 v[110:113], v110 offset1:1
	s_branch .LBB288_21
.LBB288_44:                             ;   in Loop: Header=BB288_19 Depth=1
	v_cvt_i32_f32_e32 v83, v83
	v_cvt_i32_f32_e32 v84, v84
	;; [unrolled: 1-line block ×4, first 2 shown]
	v_cvt_f32_i32_dpp v83, v83 row_shl:1 row_mask:0xf bank_mask:0xf bound_ctrl:1
	v_cvt_f32_i32_dpp v84, v84 row_shl:2 row_mask:0xf bank_mask:0xf bound_ctrl:1
	;; [unrolled: 1-line block ×3, first 2 shown]
	v_cvt_i32_f32_e32 v80, v80
	v_add_f32_e32 v82, v82, v83
	v_add_f32_e32 v82, v82, v84
	;; [unrolled: 1-line block ×3, first 2 shown]
	v_cvt_i32_f32_e32 v83, v82
	v_cvt_i32_f32_e32 v81, v81
	v_cvt_f32_i32_dpp v79, v79 row_shl:1 row_mask:0xf bank_mask:0xf bound_ctrl:1
	v_cvt_f32_i32_dpp v80, v80 row_shl:2 row_mask:0xf bank_mask:0xf bound_ctrl:1
	v_cvt_f32_i32_dpp v83, v83 row_shl:4 row_mask:0xf bank_mask:0xf bound_ctrl:1
	v_cvt_f32_i32_dpp v81, v81 row_shl:3 row_mask:0xf bank_mask:0xf bound_ctrl:1
	v_add_f32_e32 v78, v78, v79
	v_cvt_i32_f32_e32 v75, v75
	v_add_f32_e32 v79, v82, v83
	v_cvt_i32_f32_e32 v82, v79
	v_add_f32_e32 v78, v78, v80
	v_add_f32_e32 v78, v78, v81
	v_cvt_i32_f32_e32 v76, v76
	v_cvt_i32_f32_e32 v80, v78
	v_cvt_i32_f32_e32 v77, v77
	v_cvt_f32_i32_dpp v81, v82 row_shl:8 row_mask:0xf bank_mask:0xf bound_ctrl:1
	v_cvt_f32_i32_dpp v75, v75 row_shl:1 row_mask:0xf bank_mask:0xf bound_ctrl:1
	;; [unrolled: 1-line block ×5, first 2 shown]
	v_add_f32_e32 v79, v79, v81
	v_cvt_i32_f32_e32 v79, v79
	v_add_f32_e32 v74, v74, v75
	v_add_f32_e32 v74, v74, v76
	;; [unrolled: 1-line block ×4, first 2 shown]
	v_cvt_i32_f32_e32 v80, v78
	v_cvt_i32_f32_e32 v75, v74
	v_cvt_f32_i32_dpp v79, v79 row_shr:15 row_mask:0xf bank_mask:0xf bound_ctrl:1
	v_cvt_i32_f32_e32 v71, v71
	v_cvt_i32_f32_e32 v72, v72
	v_cvt_f32_i32_dpp v77, v80 row_shl:8 row_mask:0xf bank_mask:0xf bound_ctrl:1
	v_cvt_f32_i32_dpp v75, v75 row_shl:4 row_mask:0xf bank_mask:0xf bound_ctrl:1
	v_cvt_i32_f32_e32 v73, v73
	v_cvt_i32_f32_e32 v76, v79
	v_cvt_f32_i32_dpp v71, v71 row_shl:1 row_mask:0xf bank_mask:0xf bound_ctrl:1
	v_cvt_f32_i32_dpp v72, v72 row_shl:2 row_mask:0xf bank_mask:0xf bound_ctrl:1
	v_add_f32_e32 v77, v78, v77
	v_add_f32_e32 v75, v74, v75
	v_cvt_f32_i32_dpp v73, v73 row_shl:3 row_mask:0xf bank_mask:0xf bound_ctrl:1
	v_cvt_f32_i32_dpp v76, v76 row_bcast:15 row_mask:0xf bank_mask:0xf bound_ctrl:1
	v_cvt_i32_f32_e32 v77, v77
	v_cvt_i32_f32_e32 v78, v75
	v_add_f32_e32 v70, v70, v71
	v_add_f32_e32 v70, v70, v72
	;; [unrolled: 1-line block ×4, first 2 shown]
	v_cvt_f32_i32_dpp v76, v77 row_shr:15 row_mask:0xf bank_mask:0xf bound_ctrl:1
	v_cvt_f32_i32_dpp v77, v78 row_shl:8 row_mask:0xf bank_mask:0xf bound_ctrl:1
	v_cvt_i32_f32_e32 v71, v70
	v_cvt_i32_f32_e32 v67, v67
	v_cvt_i32_f32_e32 v68, v68
	v_cvt_i32_f32_e32 v69, v69
	v_add_f32_e32 v75, v75, v77
	v_cvt_f32_i32_dpp v77, v71 row_shl:4 row_mask:0xf bank_mask:0xf bound_ctrl:1
	v_cvt_i32_f32_e32 v72, v74
	v_cvt_i32_f32_e32 v73, v76
	v_cvt_f32_i32_dpp v67, v67 row_shl:1 row_mask:0xf bank_mask:0xf bound_ctrl:1
	v_cvt_f32_i32_dpp v68, v68 row_shl:2 row_mask:0xf bank_mask:0xf bound_ctrl:1
	;; [unrolled: 1-line block ×3, first 2 shown]
	v_add_f32_e32 v77, v70, v77
	v_mov_b32_dpp v71, v72 row_bcast:31 row_mask:0xf bank_mask:0xf bound_ctrl:1
	v_cvt_f32_i32_dpp v72, v73 row_bcast:15 row_mask:0xf bank_mask:0xf bound_ctrl:1
	v_cvt_i32_f32_e32 v78, v77
	v_add_f32_e32 v66, v66, v67
	v_add_f32_e32 v66, v66, v68
	v_cvt_i32_f32_e32 v63, v63
	v_add_f32_e32 v68, v66, v69
	v_cvt_i32_f32_e32 v64, v64
	v_cvt_i32_f32_e32 v69, v68
	;; [unrolled: 1-line block ×3, first 2 shown]
	v_add_f32_e32 v70, v76, v72
	v_cvt_f32_i32_dpp v76, v78 row_shl:8 row_mask:0xf bank_mask:0xf bound_ctrl:1
	v_cvt_i32_f32_e32 v75, v75
	v_cvt_f32_i32_dpp v63, v63 row_shl:1 row_mask:0xf bank_mask:0xf bound_ctrl:1
	v_cvt_f32_i32_dpp v64, v64 row_shl:2 row_mask:0xf bank_mask:0xf bound_ctrl:1
	v_cvt_f32_i32_dpp v69, v69 row_shl:4 row_mask:0xf bank_mask:0xf bound_ctrl:1
	v_cvt_f32_i32_dpp v65, v65 row_shl:3 row_mask:0xf bank_mask:0xf bound_ctrl:1
	v_add_f32_e32 v76, v77, v76
	v_cvt_f32_i32_dpp v75, v75 row_shr:15 row_mask:0xf bank_mask:0xf bound_ctrl:1
	v_cvt_i32_f32_e32 v72, v70
	v_cvt_i32_f32_e32 v76, v76
	v_add_f32_e32 v62, v62, v63
	v_add_f32_e32 v62, v62, v64
	;; [unrolled: 1-line block ×4, first 2 shown]
	v_cvt_i32_f32_e32 v69, v68
	v_cvt_i32_f32_e32 v63, v62
	;; [unrolled: 1-line block ×3, first 2 shown]
	v_mov_b32_dpp v67, v72 row_bcast:31 row_mask:0xf bank_mask:0xf bound_ctrl:1
	v_cvt_f32_i32_dpp v72, v76 row_shr:15 row_mask:0xf bank_mask:0xf bound_ctrl:1
	v_cvt_f32_i32_dpp v65, v69 row_shl:8 row_mask:0xf bank_mask:0xf bound_ctrl:1
	v_cvt_f32_i32_dpp v63, v63 row_shl:4 row_mask:0xf bank_mask:0xf bound_ctrl:1
	v_cvt_f32_i32_dpp v73, v73 row_bcast:15 row_mask:0xf bank_mask:0xf bound_ctrl:1
	v_cvt_i32_f32_e32 v64, v72
	v_add_f32_e32 v65, v68, v65
	v_add_f32_e32 v68, v62, v63
	;; [unrolled: 1-line block ×3, first 2 shown]
	v_cvt_f32_i32_dpp v64, v64 row_bcast:15 row_mask:0xf bank_mask:0xf bound_ctrl:1
	v_cvt_i32_f32_e32 v65, v65
	v_cvt_i32_f32_e32 v73, v68
	v_cvt_i32_f32_e32 v59, v59
	v_cvt_i32_f32_e32 v60, v60
	v_add_f32_e32 v62, v72, v64
	v_cvt_f32_i32_dpp v64, v65 row_shr:15 row_mask:0xf bank_mask:0xf bound_ctrl:1
	v_cvt_f32_i32_dpp v65, v73 row_shl:8 row_mask:0xf bank_mask:0xf bound_ctrl:1
	v_cvt_i32_f32_e32 v61, v61
	v_cvt_f32_i32_dpp v59, v59 row_shl:1 row_mask:0xf bank_mask:0xf bound_ctrl:1
	v_cvt_f32_i32_dpp v60, v60 row_shl:2 row_mask:0xf bank_mask:0xf bound_ctrl:1
	v_add_f32_e32 v65, v68, v65
	v_cvt_f32_i32_dpp v61, v61 row_shl:3 row_mask:0xf bank_mask:0xf bound_ctrl:1
	v_cvt_i32_f32_e32 v65, v65
	v_add_f32_e32 v58, v58, v59
	v_cvt_i32_f32_e32 v55, v55
	v_add_f32_e32 v58, v58, v60
	;; [unrolled: 2-line block ×3, first 2 shown]
	v_cvt_i32_f32_e32 v57, v57
	v_cvt_i32_f32_e32 v59, v58
	;; [unrolled: 1-line block ×4, first 2 shown]
	v_cvt_f32_i32_dpp v65, v65 row_shr:15 row_mask:0xf bank_mask:0xf bound_ctrl:1
	v_cvt_f32_i32_dpp v55, v55 row_shl:1 row_mask:0xf bank_mask:0xf bound_ctrl:1
	v_cvt_f32_i32_dpp v56, v56 row_shl:2 row_mask:0xf bank_mask:0xf bound_ctrl:1
	;; [unrolled: 1-line block ×4, first 2 shown]
	v_mov_b32_dpp v59, v60 row_bcast:31 row_mask:0xf bank_mask:0xf bound_ctrl:1
	v_cvt_f32_i32_dpp v60, v61 row_bcast:15 row_mask:0xf bank_mask:0xf bound_ctrl:1
	v_cvt_i32_f32_e32 v61, v65
	v_add_f32_e32 v54, v54, v55
	v_add_f32_e32 v54, v54, v56
	v_add_f32_e32 v57, v54, v57
	v_cvt_f32_i32_dpp v61, v61 row_bcast:15 row_mask:0xf bank_mask:0xf bound_ctrl:1
	v_cvt_i32_f32_e32 v55, v57
	v_cvt_i32_f32_e32 v69, v66
	v_cvt_i32_f32_e32 v51, v51
	v_cvt_i32_f32_e32 v52, v52
	v_add_f32_e32 v68, v58, v68
	v_add_f32_e32 v54, v65, v61
	v_cvt_f32_i32_dpp v65, v55 row_shl:4 row_mask:0xf bank_mask:0xf bound_ctrl:1
	v_cvt_i32_f32_e32 v53, v53
	v_mov_b32_dpp v63, v69 row_bcast:31 row_mask:0xf bank_mask:0xf bound_ctrl:1
	v_cvt_i32_f32_e32 v69, v68
	v_cvt_i32_f32_e32 v61, v54
	v_cvt_f32_i32_dpp v51, v51 row_shl:1 row_mask:0xf bank_mask:0xf bound_ctrl:1
	v_cvt_f32_i32_dpp v52, v52 row_shl:2 row_mask:0xf bank_mask:0xf bound_ctrl:1
	v_add_f32_e32 v57, v57, v65
	v_cvt_f32_i32_dpp v53, v53 row_shl:3 row_mask:0xf bank_mask:0xf bound_ctrl:1
	v_add_f32_e32 v58, v64, v60
	v_cvt_f32_i32_dpp v64, v69 row_shl:8 row_mask:0xf bank_mask:0xf bound_ctrl:1
	v_mov_b32_dpp v55, v61 row_bcast:31 row_mask:0xf bank_mask:0xf bound_ctrl:1
	v_cvt_i32_f32_e32 v61, v57
	v_add_f32_e32 v50, v50, v51
	v_add_f32_e32 v50, v50, v52
	;; [unrolled: 1-line block ×4, first 2 shown]
	v_cvt_f32_i32_dpp v61, v61 row_shl:8 row_mask:0xf bank_mask:0xf bound_ctrl:1
	v_cvt_i32_f32_e32 v50, v51
	v_cvt_i32_f32_e32 v64, v64
	;; [unrolled: 1-line block ×4, first 2 shown]
	v_add_f32_e32 v53, v57, v61
	v_cvt_f32_i32_dpp v57, v50 row_shl:4 row_mask:0xf bank_mask:0xf bound_ctrl:1
	v_cvt_i32_f32_e32 v49, v49
	v_cvt_i32_f32_e32 v60, v58
	v_cvt_f32_i32_dpp v64, v64 row_shr:15 row_mask:0xf bank_mask:0xf bound_ctrl:1
	v_cvt_f32_i32_dpp v47, v47 row_shl:1 row_mask:0xf bank_mask:0xf bound_ctrl:1
	v_cvt_f32_i32_dpp v48, v48 row_shl:2 row_mask:0xf bank_mask:0xf bound_ctrl:1
	v_add_f32_e32 v51, v51, v57
	v_cvt_f32_i32_dpp v49, v49 row_shl:3 row_mask:0xf bank_mask:0xf bound_ctrl:1
	v_mov_b32_dpp v56, v60 row_bcast:31 row_mask:0xf bank_mask:0xf bound_ctrl:1
	v_cvt_i32_f32_e32 v60, v64
	v_cvt_i32_f32_e32 v57, v51
	v_add_f32_e32 v46, v46, v47
	v_add_f32_e32 v46, v46, v48
	v_add_f32_e32 v46, v46, v49
	v_cvt_f32_i32_dpp v52, v60 row_bcast:15 row_mask:0xf bank_mask:0xf bound_ctrl:1
	v_cvt_f32_i32_dpp v57, v57 row_shl:8 row_mask:0xf bank_mask:0xf bound_ctrl:1
	v_cvt_i32_f32_e32 v47, v46
	v_cvt_i32_f32_e32 v53, v53
	v_add_f32_e32 v50, v64, v52
	v_add_f32_e32 v49, v51, v57
	v_cvt_f32_i32_dpp v51, v47 row_shl:4 row_mask:0xf bank_mask:0xf bound_ctrl:1
	v_cvt_i32_f32_e32 v52, v50
	v_cvt_f32_i32_dpp v53, v53 row_shr:15 row_mask:0xf bank_mask:0xf bound_ctrl:1
	v_cvt_i32_f32_e32 v43, v43
	v_add_f32_e32 v51, v46, v51
	v_cvt_i32_f32_e32 v44, v44
	v_cvt_i32_f32_e32 v48, v53
	v_mov_b32_dpp v47, v52 row_bcast:31 row_mask:0xf bank_mask:0xf bound_ctrl:1
	v_cvt_i32_f32_e32 v52, v51
	v_cvt_i32_f32_e32 v45, v45
	v_cvt_f32_i32_dpp v43, v43 row_shl:1 row_mask:0xf bank_mask:0xf bound_ctrl:1
	v_cvt_f32_i32_dpp v44, v44 row_shl:2 row_mask:0xf bank_mask:0xf bound_ctrl:1
	v_cvt_f32_i32_dpp v48, v48 row_bcast:15 row_mask:0xf bank_mask:0xf bound_ctrl:1
	v_cvt_f32_i32_dpp v52, v52 row_shl:8 row_mask:0xf bank_mask:0xf bound_ctrl:1
	v_cvt_f32_i32_dpp v45, v45 row_shl:3 row_mask:0xf bank_mask:0xf bound_ctrl:1
	v_cvt_i32_f32_e32 v49, v49
	v_add_f32_e32 v42, v42, v43
	v_add_f32_e32 v42, v42, v44
	;; [unrolled: 1-line block ×5, first 2 shown]
	v_cvt_i32_f32_e32 v48, v46
	v_cvt_i32_f32_e32 v51, v51
	;; [unrolled: 1-line block ×3, first 2 shown]
	v_cvt_f32_i32_dpp v49, v49 row_shr:15 row_mask:0xf bank_mask:0xf bound_ctrl:1
	v_cvt_i32_f32_e32 v39, v39
	v_cvt_i32_f32_e32 v40, v40
	v_mov_b32_dpp v43, v48 row_bcast:31 row_mask:0xf bank_mask:0xf bound_ctrl:1
	v_cvt_f32_i32_dpp v48, v51 row_shr:15 row_mask:0xf bank_mask:0xf bound_ctrl:1
	v_cvt_f32_i32_dpp v51, v42 row_shl:4 row_mask:0xf bank_mask:0xf bound_ctrl:1
	v_cvt_i32_f32_e32 v41, v41
	v_cvt_i32_f32_e32 v53, v49
	v_cvt_f32_i32_dpp v39, v39 row_shl:1 row_mask:0xf bank_mask:0xf bound_ctrl:1
	v_cvt_f32_i32_dpp v40, v40 row_shl:2 row_mask:0xf bank_mask:0xf bound_ctrl:1
	v_add_f32_e32 v44, v44, v51
	v_cvt_f32_i32_dpp v41, v41 row_shl:3 row_mask:0xf bank_mask:0xf bound_ctrl:1
	v_cvt_f32_i32_dpp v45, v53 row_bcast:15 row_mask:0xf bank_mask:0xf bound_ctrl:1
	v_cvt_i32_f32_e32 v51, v44
	v_add_f32_e32 v38, v38, v39
	v_add_f32_e32 v38, v38, v40
	;; [unrolled: 1-line block ×3, first 2 shown]
	v_cvt_i32_f32_e32 v35, v35
	v_add_f32_e32 v42, v49, v45
	v_cvt_i32_f32_e32 v49, v48
	v_cvt_f32_i32_dpp v51, v51 row_shl:8 row_mask:0xf bank_mask:0xf bound_ctrl:1
	v_cvt_i32_f32_e32 v38, v40
	v_cvt_i32_f32_e32 v36, v36
	;; [unrolled: 1-line block ×3, first 2 shown]
	v_cvt_f32_i32_dpp v35, v35 row_shl:1 row_mask:0xf bank_mask:0xf bound_ctrl:1
	v_cvt_f32_i32_dpp v41, v49 row_bcast:15 row_mask:0xf bank_mask:0xf bound_ctrl:1
	v_add_f32_e32 v39, v44, v51
	v_cvt_f32_i32_dpp v49, v38 row_shl:4 row_mask:0xf bank_mask:0xf bound_ctrl:1
	v_cvt_f32_i32_dpp v36, v36 row_shl:2 row_mask:0xf bank_mask:0xf bound_ctrl:1
	v_cvt_i32_f32_e32 v44, v39
	v_cvt_f32_i32_dpp v37, v37 row_shl:3 row_mask:0xf bank_mask:0xf bound_ctrl:1
	v_add_f32_e32 v34, v34, v35
	v_add_f32_e32 v40, v40, v49
	;; [unrolled: 1-line block ×4, first 2 shown]
	v_cvt_f32_i32_dpp v41, v44 row_shr:15 row_mask:0xf bank_mask:0xf bound_ctrl:1
	v_cvt_i32_f32_e32 v44, v40
	v_add_f32_e32 v34, v34, v37
	v_cvt_i32_f32_e32 v35, v34
	v_cvt_i32_f32_e32 v36, v41
	v_cvt_f32_i32_dpp v44, v44 row_shl:8 row_mask:0xf bank_mask:0xf bound_ctrl:1
	v_cvt_i32_f32_e32 v31, v31
	v_cvt_f32_i32_dpp v35, v35 row_shl:4 row_mask:0xf bank_mask:0xf bound_ctrl:1
	v_cvt_i32_f32_e32 v32, v32
	v_add_f32_e32 v37, v40, v44
	v_cvt_i32_f32_e32 v37, v37
	v_cvt_f32_i32_dpp v36, v36 row_bcast:15 row_mask:0xf bank_mask:0xf bound_ctrl:1
	v_add_f32_e32 v44, v34, v35
	v_cvt_i32_f32_e32 v33, v33
	v_cvt_i32_f32_e32 v35, v44
	v_cvt_f32_i32_dpp v31, v31 row_shl:1 row_mask:0xf bank_mask:0xf bound_ctrl:1
	v_cvt_f32_i32_dpp v32, v32 row_shl:2 row_mask:0xf bank_mask:0xf bound_ctrl:1
	v_cvt_i32_f32_e32 v45, v42
	v_cvt_f32_i32_dpp v37, v37 row_shr:15 row_mask:0xf bank_mask:0xf bound_ctrl:1
	v_add_f32_e32 v34, v41, v36
	v_cvt_f32_i32_dpp v33, v33 row_shl:3 row_mask:0xf bank_mask:0xf bound_ctrl:1
	v_cvt_i32_f32_e32 v41, v34
	v_cvt_f32_i32_dpp v48, v35 row_shl:8 row_mask:0xf bank_mask:0xf bound_ctrl:1
	v_add_f32_e32 v30, v30, v31
	v_cvt_i32_f32_e32 v27, v27
	v_add_f32_e32 v30, v30, v32
	v_cvt_i32_f32_e32 v28, v28
	v_mov_b32_dpp v39, v45 row_bcast:31 row_mask:0xf bank_mask:0xf bound_ctrl:1
	v_cvt_i32_f32_e32 v40, v38
	v_cvt_i32_f32_e32 v45, v37
	v_add_f32_e32 v31, v30, v33
	v_cvt_i32_f32_e32 v29, v29
	v_mov_b32_dpp v35, v41 row_bcast:31 row_mask:0xf bank_mask:0xf bound_ctrl:1
	v_add_f32_e32 v41, v44, v48
	v_cvt_i32_f32_e32 v32, v31
	v_cvt_i32_f32_e32 v41, v41
	v_cvt_f32_i32_dpp v27, v27 row_shl:1 row_mask:0xf bank_mask:0xf bound_ctrl:1
	v_cvt_f32_i32_dpp v28, v28 row_shl:2 row_mask:0xf bank_mask:0xf bound_ctrl:1
	v_mov_b32_dpp v36, v40 row_bcast:31 row_mask:0xf bank_mask:0xf bound_ctrl:1
	v_cvt_f32_i32_dpp v40, v45 row_bcast:15 row_mask:0xf bank_mask:0xf bound_ctrl:1
	v_cvt_f32_i32_dpp v29, v29 row_shl:3 row_mask:0xf bank_mask:0xf bound_ctrl:1
	v_cvt_f32_i32_dpp v32, v32 row_shl:4 row_mask:0xf bank_mask:0xf bound_ctrl:1
	v_cvt_f32_i32_dpp v41, v41 row_shr:15 row_mask:0xf bank_mask:0xf bound_ctrl:1
	v_add_f32_e32 v26, v26, v27
	v_add_f32_e32 v26, v26, v28
	v_cvt_i32_f32_e32 v23, v23
	v_add_f32_e32 v30, v37, v40
	v_add_f32_e32 v28, v26, v29
	v_cvt_i32_f32_e32 v24, v24
	v_cvt_i32_f32_e32 v33, v30
	v_add_f32_e32 v31, v31, v32
	v_cvt_i32_f32_e32 v26, v28
	v_cvt_i32_f32_e32 v25, v25
	;; [unrolled: 1-line block ×4, first 2 shown]
	v_cvt_f32_i32_dpp v23, v23 row_shl:1 row_mask:0xf bank_mask:0xf bound_ctrl:1
	v_cvt_f32_i32_dpp v24, v24 row_shl:2 row_mask:0xf bank_mask:0xf bound_ctrl:1
	v_mov_b32_dpp v27, v33 row_bcast:31 row_mask:0xf bank_mask:0xf bound_ctrl:1
	v_cvt_f32_i32_dpp v33, v26 row_shl:4 row_mask:0xf bank_mask:0xf bound_ctrl:1
	v_cvt_f32_i32_dpp v25, v25 row_shl:3 row_mask:0xf bank_mask:0xf bound_ctrl:1
	v_cvt_f32_i32_dpp v29, v37 row_bcast:15 row_mask:0xf bank_mask:0xf bound_ctrl:1
	v_cvt_f32_i32_dpp v32, v32 row_shl:8 row_mask:0xf bank_mask:0xf bound_ctrl:1
	v_add_f32_e32 v22, v22, v23
	v_add_f32_e32 v22, v22, v24
	;; [unrolled: 1-line block ×6, first 2 shown]
	v_cvt_i32_f32_e32 v31, v28
	v_cvt_i32_f32_e32 v23, v22
	;; [unrolled: 1-line block ×4, first 2 shown]
	v_cvt_f32_i32_dpp v31, v31 row_shl:8 row_mask:0xf bank_mask:0xf bound_ctrl:1
	v_cvt_f32_i32_dpp v23, v23 row_shl:4 row_mask:0xf bank_mask:0xf bound_ctrl:1
	v_cvt_f32_i32_dpp v24, v29 row_shr:15 row_mask:0xf bank_mask:0xf bound_ctrl:1
	v_cvt_i32_f32_e32 v7, v7
	v_add_f32_e32 v25, v28, v31
	v_add_f32_e32 v31, v22, v23
	v_cvt_i32_f32_e32 v25, v25
	v_cvt_i32_f32_e32 v29, v24
	;; [unrolled: 1-line block ×10, first 2 shown]
	v_cvt_f32_i32_dpp v25, v25 row_shr:15 row_mask:0xf bank_mask:0xf bound_ctrl:1
	v_cvt_f32_i32_dpp v29, v29 row_bcast:15 row_mask:0xf bank_mask:0xf bound_ctrl:1
	v_cvt_f32_i32_dpp v32, v22 row_shl:8 row_mask:0xf bank_mask:0xf bound_ctrl:1
	v_cvt_f32_i32_dpp v11, v11 row_shl:1 row_mask:0xf bank_mask:0xf bound_ctrl:1
	;; [unrolled: 1-line block ×6, first 2 shown]
	v_cvt_i32_f32_e32 v9, v9
	v_cvt_f32_i32_dpp v20, v20 row_shl:2 row_mask:0xf bank_mask:0xf bound_ctrl:1
	v_cvt_f32_i32_dpp v13, v13 row_shl:3 row_mask:0xf bank_mask:0xf bound_ctrl:1
	v_cvt_f32_i32_dpp v21, v21 row_shl:3 row_mask:0xf bank_mask:0xf bound_ctrl:1
	v_mov_b32_dpp v23, v28 row_bcast:31 row_mask:0xf bank_mask:0xf bound_ctrl:1
	v_cvt_i32_f32_e32 v28, v25
	v_add_f32_e32 v22, v24, v29
	v_add_f32_e32 v29, v31, v32
	;; [unrolled: 1-line block ×4, first 2 shown]
	v_cvt_i32_f32_e32 v29, v29
	v_add_f32_e32 v18, v18, v19
	v_add_f32_e32 v10, v10, v12
	;; [unrolled: 1-line block ×3, first 2 shown]
	v_cvt_f32_i32_dpp v7, v9 row_shl:3 row_mask:0xf bank_mask:0xf bound_ctrl:1
	v_cvt_i32_f32_e32 v8, v15
	v_add_f32_e32 v18, v18, v20
	v_add_f32_e32 v10, v10, v13
	v_cvt_i32_f32_e32 v9, v16
	v_add_f32_e32 v20, v18, v21
	v_cvt_i32_f32_e32 v11, v10
	v_cvt_i32_f32_e32 v15, v17
	v_cvt_f32_i32_dpp v28, v28 row_bcast:15 row_mask:0xf bank_mask:0xf bound_ctrl:1
	v_cvt_i32_f32_e32 v18, v20
	v_cvt_f32_i32_dpp v29, v29 row_shr:15 row_mask:0xf bank_mask:0xf bound_ctrl:1
	v_add_f32_e32 v6, v6, v7
	v_cvt_f32_i32_dpp v7, v8 row_shl:1 row_mask:0xf bank_mask:0xf bound_ctrl:1
	v_cvt_f32_i32_dpp v8, v9 row_shl:2 row_mask:0xf bank_mask:0xf bound_ctrl:1
	v_cvt_f32_i32_dpp v11, v11 row_shl:4 row_mask:0xf bank_mask:0xf bound_ctrl:1
	v_cvt_f32_i32_dpp v9, v15 row_shl:3 row_mask:0xf bank_mask:0xf bound_ctrl:1
	v_add_f32_e32 v19, v25, v28
	v_cvt_f32_i32_dpp v25, v18 row_shl:4 row_mask:0xf bank_mask:0xf bound_ctrl:1
	v_cvt_i32_f32_e32 v24, v22
	v_cvt_i32_f32_e32 v31, v29
	v_add_f32_e32 v7, v14, v7
	v_add_f32_e32 v7, v7, v8
	;; [unrolled: 1-line block ×5, first 2 shown]
	v_cvt_i32_f32_e32 v11, v10
	v_cvt_i32_f32_e32 v15, v6
	;; [unrolled: 1-line block ×3, first 2 shown]
	v_mov_b32_dpp v21, v24 row_bcast:31 row_mask:0xf bank_mask:0xf bound_ctrl:1
	v_cvt_f32_i32_dpp v24, v31 row_bcast:15 row_mask:0xf bank_mask:0xf bound_ctrl:1
	v_cvt_i32_f32_e32 v20, v25
	v_cvt_f32_i32_dpp v9, v11 row_shl:8 row_mask:0xf bank_mask:0xf bound_ctrl:1
	v_cvt_f32_i32_dpp v11, v15 row_shl:4 row_mask:0xf bank_mask:0xf bound_ctrl:1
	;; [unrolled: 1-line block ×3, first 2 shown]
	v_add_f32_e32 v18, v29, v24
	v_cvt_f32_i32_dpp v29, v20 row_shl:8 row_mask:0xf bank_mask:0xf bound_ctrl:1
	v_add_f32_e32 v6, v6, v11
	v_add_f32_e32 v7, v7, v8
	;; [unrolled: 1-line block ×4, first 2 shown]
	v_cvt_i32_f32_e32 v10, v6
	v_cvt_i32_f32_e32 v8, v7
	;; [unrolled: 1-line block ×4, first 2 shown]
	v_cvt_f32_i32_dpp v10, v10 row_shl:8 row_mask:0xf bank_mask:0xf bound_ctrl:1
	v_cvt_f32_i32_dpp v8, v8 row_shl:8 row_mask:0xf bank_mask:0xf bound_ctrl:1
	v_cvt_f32_i32_dpp v13, v13 row_shr:15 row_mask:0xf bank_mask:0xf bound_ctrl:1
	v_cvt_f32_i32_dpp v9, v9 row_shr:15 row_mask:0xf bank_mask:0xf bound_ctrl:1
	v_add_f32_e32 v6, v6, v10
	v_add_f32_e32 v7, v7, v8
	v_cvt_i32_f32_e32 v11, v13
	v_cvt_i32_f32_e32 v6, v6
	v_cvt_i32_f32_e32 v7, v7
	v_cvt_i32_f32_e32 v10, v9
	v_cvt_f32_i32_dpp v8, v11 row_bcast:15 row_mask:0xf bank_mask:0xf bound_ctrl:1
	v_cvt_f32_i32_dpp v6, v6 row_shr:15 row_mask:0xf bank_mask:0xf bound_ctrl:1
	v_cvt_f32_i32_dpp v7, v7 row_shr:15 row_mask:0xf bank_mask:0xf bound_ctrl:1
	v_cvt_f32_i32_dpp v10, v10 row_bcast:15 row_mask:0xf bank_mask:0xf bound_ctrl:1
	v_add_f32_e32 v13, v13, v8
	v_cvt_i32_f32_e32 v8, v6
	v_cvt_i32_f32_e32 v11, v7
	v_add_f32_e32 v10, v9, v10
	v_cvt_i32_f32_e32 v28, v19
	v_cvt_f32_i32_dpp v8, v8 row_bcast:15 row_mask:0xf bank_mask:0xf bound_ctrl:1
	v_cvt_f32_i32_dpp v9, v11 row_bcast:15 row_mask:0xf bank_mask:0xf bound_ctrl:1
	v_cvt_i32_f32_e32 v24, v18
	v_cvt_i32_f32_e32 v14, v13
	v_add_f32_e32 v8, v6, v8
	v_add_f32_e32 v6, v7, v9
	v_cvt_i32_f32_e32 v11, v10
	v_cvt_i32_f32_e32 v15, v8
	;; [unrolled: 1-line block ×3, first 2 shown]
	v_mov_b32_dpp v20, v28 row_bcast:31 row_mask:0xf bank_mask:0xf bound_ctrl:1
	v_mov_b32_dpp v12, v24 row_bcast:31 row_mask:0xf bank_mask:0xf bound_ctrl:1
	;; [unrolled: 1-line block ×6, first 2 shown]
	s_and_saveexec_b64 s[30:31], s[0:1]
	s_cbranch_execz .LBB288_167
; %bb.45:                               ;   in Loop: Header=BB288_19 Depth=1
	s_andn2_b64 vcc, exec, s[28:29]
	v_mov_b32_e32 v53, 0
	v_mov_b32_e32 v52, 0
	;; [unrolled: 1-line block ×20, first 2 shown]
	s_cbranch_vccnz .LBB288_47
; %bb.46:                               ;   in Loop: Header=BB288_19 Depth=1
	v_mul_hi_u32 v15, v122, v1
	v_mul_lo_u32 v15, v15, s22
	v_sub_u32_e32 v15, v122, v15
	v_subrev_u32_e32 v16, s22, v15
	v_cmp_le_u32_e32 vcc, s22, v15
	v_mov_b32_e32 v25, v125
	v_mov_b32_e32 v41, v125
	v_cndmask_b32_e32 v15, v15, v16, vcc
	v_subrev_u32_e32 v16, s22, v15
	v_cmp_le_u32_e32 vcc, s22, v15
	v_mov_b32_e32 v61, v125
	v_mov_b32_e32 v65, v125
	v_cndmask_b32_e32 v124, v15, v16, vcc
	v_mul_hi_u32 v15, v132, v1
	v_mul_lo_u32 v15, v15, s22
	v_sub_u32_e32 v15, v132, v15
	v_subrev_u32_e32 v24, s22, v15
	v_cmp_le_u32_e32 vcc, s22, v15
	v_add_u32_e32 v40, s40, v124
	v_lshl_add_u64 v[72:73], v[40:41], 1, s[16:17]
	v_cndmask_b32_e32 v15, v15, v24, vcc
	v_subrev_u32_e32 v24, s22, v15
	v_cmp_le_u32_e32 vcc, s22, v15
	v_lshl_add_u64 v[16:17], v[124:125], 1, s[16:17]
	s_nop 0
	v_cndmask_b32_e32 v24, v15, v24, vcc
	v_mul_hi_u32 v15, v130, v1
	v_mul_lo_u32 v15, v15, s22
	v_sub_u32_e32 v15, v130, v15
	v_lshl_add_u64 v[28:29], v[24:25], 1, s[16:17]
	v_subrev_u32_e32 v25, s22, v15
	v_cmp_le_u32_e32 vcc, s22, v15
	v_add_u32_e32 v40, s40, v24
	v_lshl_add_u64 v[76:77], v[40:41], 1, s[16:17]
	v_cndmask_b32_e32 v15, v15, v25, vcc
	v_subrev_u32_e32 v25, s22, v15
	v_cmp_le_u32_e32 vcc, s22, v15
	s_nop 1
	v_cndmask_b32_e32 v60, v15, v25, vcc
	v_mul_hi_u32 v15, v128, v1
	v_mul_lo_u32 v15, v15, s22
	v_sub_u32_e32 v15, v128, v15
	v_subrev_u32_e32 v25, s22, v15
	v_cmp_le_u32_e32 vcc, s22, v15
	v_add_u32_e32 v40, s40, v60
	v_lshl_add_u64 v[78:79], v[40:41], 1, s[16:17]
	v_cndmask_b32_e32 v15, v15, v25, vcc
	v_subrev_u32_e32 v25, s22, v15
	v_cmp_le_u32_e32 vcc, s22, v15
	v_lshl_add_u64 v[32:33], v[60:61], 1, s[16:17]
	s_nop 0
	v_cndmask_b32_e32 v64, v15, v25, vcc
	v_add_u32_e32 v40, s40, v64
	v_lshl_add_u64 v[68:69], v[64:65], 1, s[16:17]
	v_lshl_add_u64 v[80:81], v[40:41], 1, s[16:17]
	global_load_ushort v53, v[16:17], off
	global_load_ushort v52, v[28:29], off
	;; [unrolled: 1-line block ×8, first 2 shown]
	v_add_u32_e32 v28, s41, v24
	v_mov_b32_e32 v29, v125
	v_lshl_add_u64 v[68:69], v[28:29], 1, s[16:17]
	v_add_u32_e32 v28, s41, v60
	v_lshl_add_u64 v[72:73], v[28:29], 1, s[16:17]
	v_add_u32_e32 v28, s41, v64
	;; [unrolled: 2-line block ×4, first 2 shown]
	v_add_u32_e32 v16, s41, v124
	v_mov_b32_e32 v17, v125
	v_lshl_add_u64 v[80:81], v[28:29], 1, s[16:17]
	v_add_u32_e32 v28, s42, v60
	v_lshl_add_u64 v[16:17], v[16:17], 1, s[16:17]
	v_lshl_add_u64 v[82:83], v[28:29], 1, s[16:17]
	v_add_u32_e32 v28, s42, v64
	v_lshl_add_u64 v[84:85], v[28:29], 1, s[16:17]
	global_load_ushort v40, v[16:17], off
	global_load_ushort v37, v[68:69], off
	global_load_ushort v33, v[72:73], off
	global_load_ushort v32, v[76:77], off
	global_load_ushort v31, v[78:79], off
	global_load_ushort v29, v[80:81], off
	global_load_ushort v28, v[82:83], off
	global_load_ushort v25, v[84:85], off
	v_add_u32_e32 v124, s43, v124
	v_lshl_add_u64 v[68:69], v[124:125], 1, s[16:17]
	v_add_u32_e32 v124, s43, v24
	v_lshl_add_u64 v[72:73], v[124:125], 1, s[16:17]
	;; [unrolled: 2-line block ×4, first 2 shown]
	global_load_ushort v24, v[68:69], off
	global_load_ushort v17, v[72:73], off
	;; [unrolled: 1-line block ×4, first 2 shown]
.LBB288_47:                             ;   in Loop: Header=BB288_19 Depth=1
	v_cmp_ne_u32_e32 vcc, 0, v2
	s_and_saveexec_b64 s[6:7], vcc
	s_cbranch_execnz .LBB288_67
; %bb.48:                               ;   in Loop: Header=BB288_19 Depth=1
	s_or_b64 exec, exec, s[6:7]
	v_cmp_ne_u32_e64 s[4:5], 0, v3
	s_and_saveexec_b64 s[8:9], s[4:5]
	s_cbranch_execnz .LBB288_72
.LBB288_49:                             ;   in Loop: Header=BB288_19 Depth=1
	s_or_b64 exec, exec, s[8:9]
	v_cmp_ne_u32_e64 s[6:7], 0, v4
	s_and_saveexec_b64 s[10:11], s[6:7]
	s_cbranch_execnz .LBB288_77
.LBB288_50:                             ;   in Loop: Header=BB288_19 Depth=1
	s_or_b64 exec, exec, s[10:11]
	v_cmp_ne_u32_e64 s[8:9], 0, v5
	s_and_saveexec_b64 s[34:35], s[8:9]
	s_cbranch_execnz .LBB288_82
.LBB288_51:                             ;   in Loop: Header=BB288_19 Depth=1
	s_or_b64 exec, exec, s[34:35]
	v_add_u32_e32 v124, s15, v122
	s_and_saveexec_b64 s[34:35], vcc
	s_cbranch_execnz .LBB288_87
.LBB288_52:                             ;   in Loop: Header=BB288_19 Depth=1
	s_or_b64 exec, exec, s[34:35]
	s_and_saveexec_b64 s[34:35], s[4:5]
	s_cbranch_execnz .LBB288_92
.LBB288_53:                             ;   in Loop: Header=BB288_19 Depth=1
	s_or_b64 exec, exec, s[34:35]
	s_and_saveexec_b64 s[34:35], s[6:7]
	s_cbranch_execnz .LBB288_97
.LBB288_54:                             ;   in Loop: Header=BB288_19 Depth=1
	s_or_b64 exec, exec, s[34:35]
	s_and_saveexec_b64 s[34:35], s[8:9]
	s_cbranch_execnz .LBB288_102
.LBB288_55:                             ;   in Loop: Header=BB288_19 Depth=1
	s_or_b64 exec, exec, s[34:35]
	v_add_u32_e32 v124, s15, v124
	s_and_saveexec_b64 s[34:35], vcc
	s_cbranch_execnz .LBB288_107
.LBB288_56:                             ;   in Loop: Header=BB288_19 Depth=1
	s_or_b64 exec, exec, s[34:35]
	s_and_saveexec_b64 s[34:35], s[4:5]
	s_cbranch_execnz .LBB288_112
.LBB288_57:                             ;   in Loop: Header=BB288_19 Depth=1
	s_or_b64 exec, exec, s[34:35]
	s_and_saveexec_b64 s[34:35], s[6:7]
	s_cbranch_execnz .LBB288_117
.LBB288_58:                             ;   in Loop: Header=BB288_19 Depth=1
	s_or_b64 exec, exec, s[34:35]
	s_and_saveexec_b64 s[34:35], s[8:9]
	s_cbranch_execnz .LBB288_122
.LBB288_59:                             ;   in Loop: Header=BB288_19 Depth=1
	s_or_b64 exec, exec, s[34:35]
	v_add_u32_e32 v124, s15, v124
	s_and_saveexec_b64 s[34:35], vcc
	s_cbranch_execnz .LBB288_127
.LBB288_60:                             ;   in Loop: Header=BB288_19 Depth=1
	s_or_b64 exec, exec, s[34:35]
	s_and_saveexec_b64 s[34:35], s[4:5]
	s_cbranch_execnz .LBB288_132
.LBB288_61:                             ;   in Loop: Header=BB288_19 Depth=1
	s_or_b64 exec, exec, s[34:35]
	s_and_saveexec_b64 s[34:35], s[6:7]
	s_cbranch_execnz .LBB288_137
.LBB288_62:                             ;   in Loop: Header=BB288_19 Depth=1
	s_or_b64 exec, exec, s[34:35]
	s_and_saveexec_b64 s[34:35], s[8:9]
	s_cbranch_execnz .LBB288_142
.LBB288_63:                             ;   in Loop: Header=BB288_19 Depth=1
	s_or_b64 exec, exec, s[34:35]
	v_add_u32_e32 v124, s15, v124
	s_and_saveexec_b64 s[10:11], vcc
	s_cbranch_execnz .LBB288_147
.LBB288_64:                             ;   in Loop: Header=BB288_19 Depth=1
	s_or_b64 exec, exec, s[10:11]
	s_and_saveexec_b64 s[10:11], s[4:5]
	s_cbranch_execnz .LBB288_152
.LBB288_65:                             ;   in Loop: Header=BB288_19 Depth=1
	s_or_b64 exec, exec, s[10:11]
	s_and_saveexec_b64 s[4:5], s[6:7]
	s_cbranch_execnz .LBB288_157
.LBB288_66:                             ;   in Loop: Header=BB288_19 Depth=1
	s_or_b64 exec, exec, s[4:5]
	s_and_b64 exec, exec, s[8:9]
	s_cbranch_execnz .LBB288_162
	s_branch .LBB288_167
.LBB288_67:                             ;   in Loop: Header=BB288_19 Depth=1
	v_cvt_f32_i32_e32 v57, v71
	s_waitcnt vmcnt(19)
	v_lshlrev_b32_e32 v53, 16, v53
	v_add_f32_e32 v57, v74, v57
	v_add_f32_e32 v57, v57, v53
	v_and_b32_e32 v53, 0x7f800000, v57
	v_cmp_ne_u32_e64 s[4:5], s48, v53
                                        ; implicit-def: $vgpr53
	s_and_saveexec_b64 s[8:9], s[4:5]
	s_xor_b64 s[4:5], exec, s[8:9]
; %bb.68:                               ;   in Loop: Header=BB288_19 Depth=1
	v_bfe_u32 v53, v57, 16, 1
	v_add3_u32 v53, v57, v53, s14
                                        ; implicit-def: $vgpr57
; %bb.69:                               ;   in Loop: Header=BB288_19 Depth=1
	s_andn2_saveexec_b64 s[8:9], s[4:5]
; %bb.70:                               ;   in Loop: Header=BB288_19 Depth=1
	v_or_b32_e32 v53, 0x10000, v57
	v_cmp_eq_u32_sdwa s[4:5], v57, v125 src0_sel:WORD_0 src1_sel:DWORD
	s_nop 1
	v_cndmask_b32_e64 v53, v53, v57, s[4:5]
; %bb.71:                               ;   in Loop: Header=BB288_19 Depth=1
	s_or_b64 exec, exec, s[8:9]
	v_mov_b32_e32 v123, v125
	v_lshl_add_u64 v[60:61], v[122:123], 1, s[18:19]
	global_store_short_d16_hi v[60:61], v53, off
	s_or_b64 exec, exec, s[6:7]
	v_cmp_ne_u32_e64 s[4:5], 0, v3
	s_and_saveexec_b64 s[8:9], s[4:5]
	s_cbranch_execz .LBB288_49
.LBB288_72:                             ;   in Loop: Header=BB288_19 Depth=1
	s_waitcnt vmcnt(19)
	v_cvt_f32_i32_e32 v53, v67
	s_waitcnt vmcnt(18)
	v_lshlrev_b32_e32 v52, 16, v52
	v_add_f32_e32 v53, v70, v53
	v_add_f32_e32 v53, v53, v52
	v_and_b32_e32 v52, 0x7f800000, v53
	v_cmp_ne_u32_e64 s[6:7], s48, v52
                                        ; implicit-def: $vgpr52
	s_and_saveexec_b64 s[10:11], s[6:7]
	s_xor_b64 s[6:7], exec, s[10:11]
; %bb.73:                               ;   in Loop: Header=BB288_19 Depth=1
	v_bfe_u32 v52, v53, 16, 1
	v_add3_u32 v52, v53, v52, s14
                                        ; implicit-def: $vgpr53
; %bb.74:                               ;   in Loop: Header=BB288_19 Depth=1
	s_andn2_saveexec_b64 s[10:11], s[6:7]
; %bb.75:                               ;   in Loop: Header=BB288_19 Depth=1
	v_or_b32_e32 v52, 0x10000, v53
	v_cmp_eq_u32_sdwa s[6:7], v53, v125 src0_sel:WORD_0 src1_sel:DWORD
	s_nop 1
	v_cndmask_b32_e64 v52, v52, v53, s[6:7]
; %bb.76:                               ;   in Loop: Header=BB288_19 Depth=1
	s_or_b64 exec, exec, s[10:11]
	v_mov_b32_e32 v133, v125
	v_lshl_add_u64 v[60:61], v[132:133], 1, s[18:19]
	global_store_short_d16_hi v[60:61], v52, off
	s_or_b64 exec, exec, s[8:9]
	v_cmp_ne_u32_e64 s[6:7], 0, v4
	s_and_saveexec_b64 s[10:11], s[6:7]
	s_cbranch_execz .LBB288_50
.LBB288_77:                             ;   in Loop: Header=BB288_19 Depth=1
	s_waitcnt vmcnt(18)
	v_cvt_f32_i32_e32 v52, v63
	s_waitcnt vmcnt(17)
	v_lshlrev_b32_e32 v51, 16, v51
	v_add_f32_e32 v52, v66, v52
	v_add_f32_e32 v52, v52, v51
	v_and_b32_e32 v51, 0x7f800000, v52
	v_cmp_ne_u32_e64 s[8:9], s48, v51
                                        ; implicit-def: $vgpr51
	s_and_saveexec_b64 s[34:35], s[8:9]
	s_xor_b64 s[8:9], exec, s[34:35]
; %bb.78:                               ;   in Loop: Header=BB288_19 Depth=1
	v_bfe_u32 v51, v52, 16, 1
	v_add3_u32 v51, v52, v51, s14
                                        ; implicit-def: $vgpr52
; %bb.79:                               ;   in Loop: Header=BB288_19 Depth=1
	s_andn2_saveexec_b64 s[34:35], s[8:9]
; %bb.80:                               ;   in Loop: Header=BB288_19 Depth=1
	v_or_b32_e32 v51, 0x10000, v52
	v_cmp_eq_u32_sdwa s[8:9], v52, v125 src0_sel:WORD_0 src1_sel:DWORD
	s_nop 1
	v_cndmask_b32_e64 v51, v51, v52, s[8:9]
; %bb.81:                               ;   in Loop: Header=BB288_19 Depth=1
	s_or_b64 exec, exec, s[34:35]
	v_mov_b32_e32 v131, v125
	v_lshl_add_u64 v[52:53], v[130:131], 1, s[18:19]
	global_store_short_d16_hi v[52:53], v51, off
	s_or_b64 exec, exec, s[10:11]
	v_cmp_ne_u32_e64 s[8:9], 0, v5
	s_and_saveexec_b64 s[34:35], s[8:9]
	s_cbranch_execz .LBB288_51
.LBB288_82:                             ;   in Loop: Header=BB288_19 Depth=1
	s_waitcnt vmcnt(17)
	v_cvt_f32_i32_e32 v51, v59
	s_waitcnt vmcnt(16)
	v_lshlrev_b32_e32 v49, 16, v49
	v_add_f32_e32 v51, v62, v51
	v_add_f32_e32 v51, v51, v49
	v_and_b32_e32 v49, 0x7f800000, v51
	v_cmp_ne_u32_e64 s[10:11], s48, v49
                                        ; implicit-def: $vgpr49
	s_and_saveexec_b64 s[36:37], s[10:11]
	s_xor_b64 s[10:11], exec, s[36:37]
; %bb.83:                               ;   in Loop: Header=BB288_19 Depth=1
	v_bfe_u32 v49, v51, 16, 1
	v_add3_u32 v49, v51, v49, s14
                                        ; implicit-def: $vgpr51
; %bb.84:                               ;   in Loop: Header=BB288_19 Depth=1
	s_andn2_saveexec_b64 s[36:37], s[10:11]
; %bb.85:                               ;   in Loop: Header=BB288_19 Depth=1
	v_or_b32_e32 v49, 0x10000, v51
	v_cmp_eq_u32_sdwa s[10:11], v51, v125 src0_sel:WORD_0 src1_sel:DWORD
	s_nop 1
	v_cndmask_b32_e64 v49, v49, v51, s[10:11]
; %bb.86:                               ;   in Loop: Header=BB288_19 Depth=1
	s_or_b64 exec, exec, s[36:37]
	v_mov_b32_e32 v129, v125
	v_lshl_add_u64 v[52:53], v[128:129], 1, s[18:19]
	global_store_short_d16_hi v[52:53], v49, off
	s_or_b64 exec, exec, s[34:35]
	v_add_u32_e32 v124, s15, v122
	s_and_saveexec_b64 s[34:35], vcc
	s_cbranch_execz .LBB288_52
.LBB288_87:                             ;   in Loop: Header=BB288_19 Depth=1
	s_waitcnt vmcnt(16)
	v_cvt_f32_i32_e32 v49, v56
	s_waitcnt vmcnt(15)
	v_lshlrev_b32_e32 v48, 16, v48
	v_add_f32_e32 v49, v58, v49
	v_add_f32_e32 v49, v49, v48
	v_and_b32_e32 v48, 0x7f800000, v49
	v_cmp_ne_u32_e64 s[10:11], s48, v48
                                        ; implicit-def: $vgpr48
	s_and_saveexec_b64 s[36:37], s[10:11]
	s_xor_b64 s[10:11], exec, s[36:37]
; %bb.88:                               ;   in Loop: Header=BB288_19 Depth=1
	v_bfe_u32 v48, v49, 16, 1
	v_add3_u32 v48, v49, v48, s14
                                        ; implicit-def: $vgpr49
; %bb.89:                               ;   in Loop: Header=BB288_19 Depth=1
	s_andn2_saveexec_b64 s[36:37], s[10:11]
; %bb.90:                               ;   in Loop: Header=BB288_19 Depth=1
	v_or_b32_e32 v48, 0x10000, v49
	v_cmp_eq_u32_sdwa s[10:11], v49, v125 src0_sel:WORD_0 src1_sel:DWORD
	s_nop 1
	v_cndmask_b32_e64 v48, v48, v49, s[10:11]
; %bb.91:                               ;   in Loop: Header=BB288_19 Depth=1
	s_or_b64 exec, exec, s[36:37]
	v_lshl_add_u64 v[52:53], v[124:125], 1, s[18:19]
	global_store_short_d16_hi v[52:53], v48, off
	s_or_b64 exec, exec, s[34:35]
	s_and_saveexec_b64 s[34:35], s[4:5]
	s_cbranch_execz .LBB288_53
.LBB288_92:                             ;   in Loop: Header=BB288_19 Depth=1
	s_waitcnt vmcnt(15)
	v_cvt_f32_i32_e32 v48, v55
	s_waitcnt vmcnt(14)
	v_lshlrev_b32_e32 v45, 16, v45
	v_add_f32_e32 v48, v54, v48
	v_add_f32_e32 v48, v48, v45
	v_and_b32_e32 v45, 0x7f800000, v48
	v_cmp_ne_u32_e64 s[10:11], s48, v45
                                        ; implicit-def: $vgpr45
	s_and_saveexec_b64 s[36:37], s[10:11]
	s_xor_b64 s[10:11], exec, s[36:37]
; %bb.93:                               ;   in Loop: Header=BB288_19 Depth=1
	v_bfe_u32 v45, v48, 16, 1
	v_add3_u32 v45, v48, v45, s14
                                        ; implicit-def: $vgpr48
; %bb.94:                               ;   in Loop: Header=BB288_19 Depth=1
	s_andn2_saveexec_b64 s[36:37], s[10:11]
; %bb.95:                               ;   in Loop: Header=BB288_19 Depth=1
	v_or_b32_e32 v45, 0x10000, v48
	v_cmp_eq_u32_sdwa s[10:11], v48, v125 src0_sel:WORD_0 src1_sel:DWORD
	s_nop 1
	v_cndmask_b32_e64 v45, v45, v48, s[10:11]
; %bb.96:                               ;   in Loop: Header=BB288_19 Depth=1
	s_or_b64 exec, exec, s[36:37]
	v_add_u32_e32 v48, 1, v124
	v_mov_b32_e32 v49, v125
	v_lshl_add_u64 v[48:49], v[48:49], 1, s[18:19]
	global_store_short_d16_hi v[48:49], v45, off
	s_or_b64 exec, exec, s[34:35]
	s_and_saveexec_b64 s[34:35], s[6:7]
	s_cbranch_execz .LBB288_54
.LBB288_97:                             ;   in Loop: Header=BB288_19 Depth=1
	s_waitcnt vmcnt(14)
	v_cvt_f32_i32_e32 v45, v47
	s_waitcnt vmcnt(13)
	v_lshlrev_b32_e32 v44, 16, v44
	v_add_f32_e32 v45, v50, v45
	v_add_f32_e32 v45, v45, v44
	v_and_b32_e32 v44, 0x7f800000, v45
	v_cmp_ne_u32_e64 s[10:11], s48, v44
                                        ; implicit-def: $vgpr44
	s_and_saveexec_b64 s[36:37], s[10:11]
	s_xor_b64 s[10:11], exec, s[36:37]
; %bb.98:                               ;   in Loop: Header=BB288_19 Depth=1
	v_bfe_u32 v44, v45, 16, 1
	v_add3_u32 v44, v45, v44, s14
                                        ; implicit-def: $vgpr45
; %bb.99:                               ;   in Loop: Header=BB288_19 Depth=1
	s_andn2_saveexec_b64 s[36:37], s[10:11]
; %bb.100:                              ;   in Loop: Header=BB288_19 Depth=1
	v_or_b32_e32 v44, 0x10000, v45
	v_cmp_eq_u32_sdwa s[10:11], v45, v125 src0_sel:WORD_0 src1_sel:DWORD
	s_nop 1
	v_cndmask_b32_e64 v44, v44, v45, s[10:11]
; %bb.101:                              ;   in Loop: Header=BB288_19 Depth=1
	s_or_b64 exec, exec, s[36:37]
	v_add_u32_e32 v48, 2, v124
	v_mov_b32_e32 v49, v125
	v_lshl_add_u64 v[48:49], v[48:49], 1, s[18:19]
	global_store_short_d16_hi v[48:49], v44, off
	s_or_b64 exec, exec, s[34:35]
	s_and_saveexec_b64 s[34:35], s[8:9]
	s_cbranch_execz .LBB288_55
.LBB288_102:                            ;   in Loop: Header=BB288_19 Depth=1
	v_cvt_f32_i32_e32 v43, v43
	s_waitcnt vmcnt(12)
	v_lshlrev_b32_e32 v41, 16, v41
	v_add_f32_e32 v43, v46, v43
	v_add_f32_e32 v43, v43, v41
	v_and_b32_e32 v41, 0x7f800000, v43
	v_cmp_ne_u32_e64 s[10:11], s48, v41
                                        ; implicit-def: $vgpr41
	s_and_saveexec_b64 s[36:37], s[10:11]
	s_xor_b64 s[10:11], exec, s[36:37]
; %bb.103:                              ;   in Loop: Header=BB288_19 Depth=1
	v_bfe_u32 v41, v43, 16, 1
	v_add3_u32 v41, v43, v41, s14
                                        ; implicit-def: $vgpr43
; %bb.104:                              ;   in Loop: Header=BB288_19 Depth=1
	s_andn2_saveexec_b64 s[36:37], s[10:11]
; %bb.105:                              ;   in Loop: Header=BB288_19 Depth=1
	v_or_b32_e32 v41, 0x10000, v43
	v_cmp_eq_u32_sdwa s[10:11], v43, v125 src0_sel:WORD_0 src1_sel:DWORD
	s_nop 1
	v_cndmask_b32_e64 v41, v41, v43, s[10:11]
; %bb.106:                              ;   in Loop: Header=BB288_19 Depth=1
	s_or_b64 exec, exec, s[36:37]
	v_add_u32_e32 v44, 3, v124
	v_mov_b32_e32 v45, v125
	v_lshl_add_u64 v[44:45], v[44:45], 1, s[18:19]
	global_store_short_d16_hi v[44:45], v41, off
	s_or_b64 exec, exec, s[34:35]
	v_add_u32_e32 v124, s15, v124
	s_and_saveexec_b64 s[34:35], vcc
	s_cbranch_execz .LBB288_56
.LBB288_107:                            ;   in Loop: Header=BB288_19 Depth=1
	v_cvt_f32_i32_e32 v39, v39
	s_waitcnt vmcnt(11)
	v_lshlrev_b32_e32 v40, 16, v40
	v_add_f32_e32 v39, v42, v39
	v_add_f32_e32 v40, v39, v40
	v_and_b32_e32 v39, 0x7f800000, v40
	v_cmp_ne_u32_e64 s[10:11], s48, v39
                                        ; implicit-def: $vgpr39
	s_and_saveexec_b64 s[36:37], s[10:11]
	s_xor_b64 s[10:11], exec, s[36:37]
; %bb.108:                              ;   in Loop: Header=BB288_19 Depth=1
	v_bfe_u32 v39, v40, 16, 1
	v_add3_u32 v39, v40, v39, s14
                                        ; implicit-def: $vgpr40
; %bb.109:                              ;   in Loop: Header=BB288_19 Depth=1
	s_andn2_saveexec_b64 s[36:37], s[10:11]
; %bb.110:                              ;   in Loop: Header=BB288_19 Depth=1
	v_or_b32_e32 v39, 0x10000, v40
	v_cmp_eq_u32_sdwa s[10:11], v40, v125 src0_sel:WORD_0 src1_sel:DWORD
	s_nop 1
	v_cndmask_b32_e64 v39, v39, v40, s[10:11]
; %bb.111:                              ;   in Loop: Header=BB288_19 Depth=1
	s_or_b64 exec, exec, s[36:37]
	v_lshl_add_u64 v[40:41], v[124:125], 1, s[18:19]
	global_store_short_d16_hi v[40:41], v39, off
	s_or_b64 exec, exec, s[34:35]
	s_and_saveexec_b64 s[34:35], s[4:5]
	s_cbranch_execz .LBB288_57
.LBB288_112:                            ;   in Loop: Header=BB288_19 Depth=1
	v_cvt_f32_i32_e32 v36, v36
	s_waitcnt vmcnt(10)
	v_lshlrev_b32_e32 v37, 16, v37
	v_add_f32_e32 v36, v38, v36
	v_add_f32_e32 v37, v36, v37
	v_and_b32_e32 v36, 0x7f800000, v37
	v_cmp_ne_u32_e64 s[10:11], s48, v36
                                        ; implicit-def: $vgpr36
	s_and_saveexec_b64 s[36:37], s[10:11]
	s_xor_b64 s[10:11], exec, s[36:37]
; %bb.113:                              ;   in Loop: Header=BB288_19 Depth=1
	v_bfe_u32 v36, v37, 16, 1
	v_add3_u32 v36, v37, v36, s14
                                        ; implicit-def: $vgpr37
; %bb.114:                              ;   in Loop: Header=BB288_19 Depth=1
	s_andn2_saveexec_b64 s[36:37], s[10:11]
; %bb.115:                              ;   in Loop: Header=BB288_19 Depth=1
	v_or_b32_e32 v36, 0x10000, v37
	v_cmp_eq_u32_sdwa s[10:11], v37, v125 src0_sel:WORD_0 src1_sel:DWORD
	s_nop 1
	v_cndmask_b32_e64 v36, v36, v37, s[10:11]
; %bb.116:                              ;   in Loop: Header=BB288_19 Depth=1
	s_or_b64 exec, exec, s[36:37]
	v_add_u32_e32 v38, 1, v124
	v_mov_b32_e32 v39, v125
	v_lshl_add_u64 v[38:39], v[38:39], 1, s[18:19]
	global_store_short_d16_hi v[38:39], v36, off
	s_or_b64 exec, exec, s[34:35]
	s_and_saveexec_b64 s[34:35], s[6:7]
	s_cbranch_execz .LBB288_58
.LBB288_117:                            ;   in Loop: Header=BB288_19 Depth=1
	v_cvt_f32_i32_e32 v35, v35
	s_waitcnt vmcnt(9)
	v_lshlrev_b32_e32 v33, 16, v33
	v_add_f32_e32 v34, v34, v35
	v_add_f32_e32 v34, v34, v33
	v_and_b32_e32 v33, 0x7f800000, v34
	v_cmp_ne_u32_e64 s[10:11], s48, v33
                                        ; implicit-def: $vgpr33
	s_and_saveexec_b64 s[36:37], s[10:11]
	s_xor_b64 s[10:11], exec, s[36:37]
; %bb.118:                              ;   in Loop: Header=BB288_19 Depth=1
	v_bfe_u32 v33, v34, 16, 1
	v_add3_u32 v33, v34, v33, s14
                                        ; implicit-def: $vgpr34
; %bb.119:                              ;   in Loop: Header=BB288_19 Depth=1
	s_andn2_saveexec_b64 s[36:37], s[10:11]
; %bb.120:                              ;   in Loop: Header=BB288_19 Depth=1
	v_or_b32_e32 v33, 0x10000, v34
	v_cmp_eq_u32_sdwa s[10:11], v34, v125 src0_sel:WORD_0 src1_sel:DWORD
	s_nop 1
	v_cndmask_b32_e64 v33, v33, v34, s[10:11]
; %bb.121:                              ;   in Loop: Header=BB288_19 Depth=1
	s_or_b64 exec, exec, s[36:37]
	v_add_u32_e32 v34, 2, v124
	v_mov_b32_e32 v35, v125
	v_lshl_add_u64 v[34:35], v[34:35], 1, s[18:19]
	global_store_short_d16_hi v[34:35], v33, off
	s_or_b64 exec, exec, s[34:35]
	s_and_saveexec_b64 s[34:35], s[8:9]
	s_cbranch_execz .LBB288_59
.LBB288_122:                            ;   in Loop: Header=BB288_19 Depth=1
	v_cvt_f32_i32_e32 v27, v27
	v_add_f32_e32 v27, v30, v27
	s_waitcnt vmcnt(8)
	v_lshlrev_b32_e32 v30, 16, v32
	v_add_f32_e32 v30, v27, v30
	v_and_b32_e32 v27, 0x7f800000, v30
	v_cmp_ne_u32_e64 s[10:11], s48, v27
                                        ; implicit-def: $vgpr27
	s_and_saveexec_b64 s[36:37], s[10:11]
	s_xor_b64 s[10:11], exec, s[36:37]
; %bb.123:                              ;   in Loop: Header=BB288_19 Depth=1
	v_bfe_u32 v27, v30, 16, 1
	v_add3_u32 v27, v30, v27, s14
                                        ; implicit-def: $vgpr30
; %bb.124:                              ;   in Loop: Header=BB288_19 Depth=1
	s_andn2_saveexec_b64 s[36:37], s[10:11]
; %bb.125:                              ;   in Loop: Header=BB288_19 Depth=1
	v_or_b32_e32 v27, 0x10000, v30
	v_cmp_eq_u32_sdwa s[10:11], v30, v125 src0_sel:WORD_0 src1_sel:DWORD
	s_nop 1
	v_cndmask_b32_e64 v27, v27, v30, s[10:11]
; %bb.126:                              ;   in Loop: Header=BB288_19 Depth=1
	s_or_b64 exec, exec, s[36:37]
	v_add_u32_e32 v32, 3, v124
	v_mov_b32_e32 v33, v125
	v_lshl_add_u64 v[32:33], v[32:33], 1, s[18:19]
	global_store_short_d16_hi v[32:33], v27, off
	s_or_b64 exec, exec, s[34:35]
	v_add_u32_e32 v124, s15, v124
	s_and_saveexec_b64 s[34:35], vcc
	s_cbranch_execz .LBB288_60
.LBB288_127:                            ;   in Loop: Header=BB288_19 Depth=1
	v_cvt_f32_i32_e32 v23, v23
	v_add_f32_e32 v23, v26, v23
	s_waitcnt vmcnt(7)
	v_lshlrev_b32_e32 v26, 16, v31
	v_add_f32_e32 v26, v23, v26
	v_and_b32_e32 v23, 0x7f800000, v26
	v_cmp_ne_u32_e64 s[10:11], s48, v23
                                        ; implicit-def: $vgpr23
	s_and_saveexec_b64 s[36:37], s[10:11]
	s_xor_b64 s[10:11], exec, s[36:37]
; %bb.128:                              ;   in Loop: Header=BB288_19 Depth=1
	v_bfe_u32 v23, v26, 16, 1
	v_add3_u32 v23, v26, v23, s14
                                        ; implicit-def: $vgpr26
; %bb.129:                              ;   in Loop: Header=BB288_19 Depth=1
	s_andn2_saveexec_b64 s[36:37], s[10:11]
; %bb.130:                              ;   in Loop: Header=BB288_19 Depth=1
	v_or_b32_e32 v23, 0x10000, v26
	v_cmp_eq_u32_sdwa s[10:11], v26, v125 src0_sel:WORD_0 src1_sel:DWORD
	s_nop 1
	v_cndmask_b32_e64 v23, v23, v26, s[10:11]
; %bb.131:                              ;   in Loop: Header=BB288_19 Depth=1
	s_or_b64 exec, exec, s[36:37]
	v_lshl_add_u64 v[26:27], v[124:125], 1, s[18:19]
	global_store_short_d16_hi v[26:27], v23, off
	s_or_b64 exec, exec, s[34:35]
	s_and_saveexec_b64 s[34:35], s[4:5]
	s_cbranch_execz .LBB288_61
.LBB288_132:                            ;   in Loop: Header=BB288_19 Depth=1
	v_cvt_f32_i32_e32 v21, v21
	v_add_f32_e32 v21, v22, v21
	s_waitcnt vmcnt(6)
	v_lshlrev_b32_e32 v22, 16, v29
	v_add_f32_e32 v22, v21, v22
	v_and_b32_e32 v21, 0x7f800000, v22
	v_cmp_ne_u32_e64 s[10:11], s48, v21
                                        ; implicit-def: $vgpr21
	s_and_saveexec_b64 s[36:37], s[10:11]
	s_xor_b64 s[10:11], exec, s[36:37]
; %bb.133:                              ;   in Loop: Header=BB288_19 Depth=1
	v_bfe_u32 v21, v22, 16, 1
	v_add3_u32 v21, v22, v21, s14
                                        ; implicit-def: $vgpr22
; %bb.134:                              ;   in Loop: Header=BB288_19 Depth=1
	s_andn2_saveexec_b64 s[36:37], s[10:11]
; %bb.135:                              ;   in Loop: Header=BB288_19 Depth=1
	v_or_b32_e32 v21, 0x10000, v22
	v_cmp_eq_u32_sdwa s[10:11], v22, v125 src0_sel:WORD_0 src1_sel:DWORD
	s_nop 1
	v_cndmask_b32_e64 v21, v21, v22, s[10:11]
; %bb.136:                              ;   in Loop: Header=BB288_19 Depth=1
	s_or_b64 exec, exec, s[36:37]
	v_add_u32_e32 v22, 1, v124
	v_mov_b32_e32 v23, v125
	v_lshl_add_u64 v[22:23], v[22:23], 1, s[18:19]
	global_store_short_d16_hi v[22:23], v21, off
	s_or_b64 exec, exec, s[34:35]
	s_and_saveexec_b64 s[34:35], s[6:7]
	s_cbranch_execz .LBB288_62
.LBB288_137:                            ;   in Loop: Header=BB288_19 Depth=1
	v_cvt_f32_i32_e32 v20, v20
	v_add_f32_e32 v19, v19, v20
	s_waitcnt vmcnt(5)
	v_lshlrev_b32_e32 v20, 16, v28
	v_add_f32_e32 v20, v19, v20
	v_and_b32_e32 v19, 0x7f800000, v20
	v_cmp_ne_u32_e64 s[10:11], s48, v19
                                        ; implicit-def: $vgpr19
	s_and_saveexec_b64 s[36:37], s[10:11]
	s_xor_b64 s[10:11], exec, s[36:37]
; %bb.138:                              ;   in Loop: Header=BB288_19 Depth=1
	v_bfe_u32 v19, v20, 16, 1
	v_add3_u32 v19, v20, v19, s14
                                        ; implicit-def: $vgpr20
; %bb.139:                              ;   in Loop: Header=BB288_19 Depth=1
	s_andn2_saveexec_b64 s[36:37], s[10:11]
; %bb.140:                              ;   in Loop: Header=BB288_19 Depth=1
	v_or_b32_e32 v19, 0x10000, v20
	v_cmp_eq_u32_sdwa s[10:11], v20, v125 src0_sel:WORD_0 src1_sel:DWORD
	s_nop 1
	v_cndmask_b32_e64 v19, v19, v20, s[10:11]
; %bb.141:                              ;   in Loop: Header=BB288_19 Depth=1
	s_or_b64 exec, exec, s[36:37]
	v_add_u32_e32 v20, 2, v124
	v_mov_b32_e32 v21, v125
	v_lshl_add_u64 v[20:21], v[20:21], 1, s[18:19]
	global_store_short_d16_hi v[20:21], v19, off
	s_or_b64 exec, exec, s[34:35]
	s_and_saveexec_b64 s[34:35], s[8:9]
	s_cbranch_execz .LBB288_63
.LBB288_142:                            ;   in Loop: Header=BB288_19 Depth=1
	v_cvt_f32_i32_e32 v12, v12
	v_add_f32_e32 v12, v18, v12
	s_waitcnt vmcnt(4)
	v_lshlrev_b32_e32 v18, 16, v25
	v_add_f32_e32 v18, v12, v18
	v_and_b32_e32 v12, 0x7f800000, v18
	v_cmp_ne_u32_e64 s[10:11], s48, v12
                                        ; implicit-def: $vgpr12
	s_and_saveexec_b64 s[36:37], s[10:11]
	s_xor_b64 s[10:11], exec, s[36:37]
; %bb.143:                              ;   in Loop: Header=BB288_19 Depth=1
	v_bfe_u32 v12, v18, 16, 1
	v_add3_u32 v12, v18, v12, s14
                                        ; implicit-def: $vgpr18
; %bb.144:                              ;   in Loop: Header=BB288_19 Depth=1
	s_andn2_saveexec_b64 s[36:37], s[10:11]
; %bb.145:                              ;   in Loop: Header=BB288_19 Depth=1
	v_or_b32_e32 v12, 0x10000, v18
	v_cmp_eq_u32_sdwa s[10:11], v18, v125 src0_sel:WORD_0 src1_sel:DWORD
	s_nop 1
	v_cndmask_b32_e64 v12, v12, v18, s[10:11]
; %bb.146:                              ;   in Loop: Header=BB288_19 Depth=1
	s_or_b64 exec, exec, s[36:37]
	v_add_u32_e32 v18, 3, v124
	v_mov_b32_e32 v19, v125
	v_lshl_add_u64 v[18:19], v[18:19], 1, s[18:19]
	global_store_short_d16_hi v[18:19], v12, off
	s_or_b64 exec, exec, s[34:35]
	v_add_u32_e32 v124, s15, v124
	s_and_saveexec_b64 s[10:11], vcc
	s_cbranch_execz .LBB288_64
.LBB288_147:                            ;   in Loop: Header=BB288_19 Depth=1
	v_cvt_f32_i32_e32 v12, v14
	v_add_f32_e32 v12, v13, v12
	s_waitcnt vmcnt(3)
	v_lshlrev_b32_e32 v13, 16, v24
	v_add_f32_e32 v13, v12, v13
	v_and_b32_e32 v12, 0x7f800000, v13
	v_cmp_ne_u32_e32 vcc, s48, v12
                                        ; implicit-def: $vgpr12
	s_and_saveexec_b64 s[34:35], vcc
	s_xor_b64 s[34:35], exec, s[34:35]
; %bb.148:                              ;   in Loop: Header=BB288_19 Depth=1
	v_bfe_u32 v12, v13, 16, 1
	v_add3_u32 v12, v13, v12, s14
                                        ; implicit-def: $vgpr13
; %bb.149:                              ;   in Loop: Header=BB288_19 Depth=1
	s_andn2_saveexec_b64 s[34:35], s[34:35]
; %bb.150:                              ;   in Loop: Header=BB288_19 Depth=1
	v_or_b32_e32 v12, 0x10000, v13
	v_cmp_eq_u32_sdwa vcc, v13, v125 src0_sel:WORD_0 src1_sel:DWORD
	s_nop 1
	v_cndmask_b32_e32 v12, v12, v13, vcc
; %bb.151:                              ;   in Loop: Header=BB288_19 Depth=1
	s_or_b64 exec, exec, s[34:35]
	v_lshl_add_u64 v[18:19], v[124:125], 1, s[18:19]
	global_store_short_d16_hi v[18:19], v12, off
	s_or_b64 exec, exec, s[10:11]
	s_and_saveexec_b64 s[10:11], s[4:5]
	s_cbranch_execz .LBB288_65
.LBB288_152:                            ;   in Loop: Header=BB288_19 Depth=1
	v_cvt_f32_i32_e32 v11, v11
	v_add_f32_e32 v10, v10, v11
	s_waitcnt vmcnt(2)
	v_lshlrev_b32_e32 v11, 16, v17
	v_add_f32_e32 v11, v10, v11
	v_and_b32_e32 v10, 0x7f800000, v11
	v_cmp_ne_u32_e32 vcc, s48, v10
                                        ; implicit-def: $vgpr10
	s_and_saveexec_b64 s[4:5], vcc
	s_xor_b64 s[4:5], exec, s[4:5]
; %bb.153:                              ;   in Loop: Header=BB288_19 Depth=1
	v_bfe_u32 v10, v11, 16, 1
	v_add3_u32 v10, v11, v10, s14
                                        ; implicit-def: $vgpr11
; %bb.154:                              ;   in Loop: Header=BB288_19 Depth=1
	s_andn2_saveexec_b64 s[4:5], s[4:5]
; %bb.155:                              ;   in Loop: Header=BB288_19 Depth=1
	v_or_b32_e32 v10, 0x10000, v11
	v_cmp_eq_u32_sdwa vcc, v11, v125 src0_sel:WORD_0 src1_sel:DWORD
	s_nop 1
	v_cndmask_b32_e32 v10, v10, v11, vcc
; %bb.156:                              ;   in Loop: Header=BB288_19 Depth=1
	s_or_b64 exec, exec, s[4:5]
	v_add_u32_e32 v12, 1, v124
	v_mov_b32_e32 v13, v125
	v_lshl_add_u64 v[12:13], v[12:13], 1, s[18:19]
	global_store_short_d16_hi v[12:13], v10, off
	s_or_b64 exec, exec, s[10:11]
	s_and_saveexec_b64 s[4:5], s[6:7]
	s_cbranch_execz .LBB288_66
.LBB288_157:                            ;   in Loop: Header=BB288_19 Depth=1
	v_cvt_f32_i32_e32 v9, v9
	v_add_f32_e32 v8, v8, v9
	s_waitcnt vmcnt(1)
	v_lshlrev_b32_e32 v9, 16, v16
	v_add_f32_e32 v9, v8, v9
	v_and_b32_e32 v8, 0x7f800000, v9
	v_cmp_ne_u32_e32 vcc, s48, v8
                                        ; implicit-def: $vgpr8
	s_and_saveexec_b64 s[6:7], vcc
	s_xor_b64 s[6:7], exec, s[6:7]
; %bb.158:                              ;   in Loop: Header=BB288_19 Depth=1
	v_bfe_u32 v8, v9, 16, 1
	v_add3_u32 v8, v9, v8, s14
                                        ; implicit-def: $vgpr9
; %bb.159:                              ;   in Loop: Header=BB288_19 Depth=1
	s_andn2_saveexec_b64 s[6:7], s[6:7]
; %bb.160:                              ;   in Loop: Header=BB288_19 Depth=1
	v_or_b32_e32 v8, 0x10000, v9
	v_cmp_eq_u32_sdwa vcc, v9, v125 src0_sel:WORD_0 src1_sel:DWORD
	s_nop 1
	v_cndmask_b32_e32 v8, v8, v9, vcc
; %bb.161:                              ;   in Loop: Header=BB288_19 Depth=1
	s_or_b64 exec, exec, s[6:7]
	v_add_u32_e32 v10, 2, v124
	v_mov_b32_e32 v11, v125
	v_lshl_add_u64 v[10:11], v[10:11], 1, s[18:19]
	global_store_short_d16_hi v[10:11], v8, off
	s_or_b64 exec, exec, s[4:5]
	s_and_b64 exec, exec, s[8:9]
	s_cbranch_execz .LBB288_167
.LBB288_162:                            ;   in Loop: Header=BB288_19 Depth=1
	v_cvt_f32_i32_e32 v7, v7
	v_add_f32_e32 v6, v6, v7
	s_waitcnt vmcnt(0)
	v_lshlrev_b32_e32 v7, 16, v15
	v_add_f32_e32 v7, v6, v7
	v_and_b32_e32 v6, 0x7f800000, v7
	v_cmp_ne_u32_e32 vcc, s48, v6
                                        ; implicit-def: $vgpr6
	s_and_saveexec_b64 s[4:5], vcc
	s_xor_b64 s[4:5], exec, s[4:5]
; %bb.163:                              ;   in Loop: Header=BB288_19 Depth=1
	v_bfe_u32 v6, v7, 16, 1
	v_add3_u32 v6, v7, v6, s14
                                        ; implicit-def: $vgpr7
; %bb.164:                              ;   in Loop: Header=BB288_19 Depth=1
	s_andn2_saveexec_b64 s[4:5], s[4:5]
; %bb.165:                              ;   in Loop: Header=BB288_19 Depth=1
	v_or_b32_e32 v6, 0x10000, v7
	v_cmp_eq_u32_sdwa vcc, v7, v125 src0_sel:WORD_0 src1_sel:DWORD
	s_nop 1
	v_cndmask_b32_e32 v6, v6, v7, vcc
; %bb.166:                              ;   in Loop: Header=BB288_19 Depth=1
	s_or_b64 exec, exec, s[4:5]
	v_add_u32_e32 v124, 3, v124
	v_lshl_add_u64 v[8:9], v[124:125], 1, s[18:19]
	global_store_short_d16_hi v[8:9], v6, off
.LBB288_167:                            ;   in Loop: Header=BB288_19 Depth=1
	s_or_b64 exec, exec, s[30:31]
	v_add_u32_e32 v122, s39, v122
	v_add_u32_e32 v6, 4, v122
	v_cmp_gt_u32_e32 vcc, s15, v122
	v_cmp_le_u32_e64 s[4:5], s15, v6
	s_and_b64 s[4:5], vcc, s[4:5]
	s_and_saveexec_b64 s[6:7], s[4:5]
	s_cbranch_execz .LBB288_18
; %bb.168:                              ;   in Loop: Header=BB288_19 Depth=1
	v_cmp_ne_u32_e32 vcc, s23, v122
	s_and_saveexec_b64 s[8:9], vcc
	s_cbranch_execz .LBB288_17
; %bb.169:                              ;   in Loop: Header=BB288_19 Depth=1
	v_subrev_u32_e32 v6, s23, v122
	v_cmp_lt_u32_e32 vcc, 1, v6
	s_mov_b64 s[10:11], 0
	s_mov_b64 s[30:31], 0
	v_cndmask_b32_e32 v6, 1, v6, vcc
.LBB288_170:                            ;   Parent Loop BB288_19 Depth=1
                                        ; =>  This Inner Loop Header: Depth=2
	s_cmp_lg_u32 s30, 3
	s_cselect_b64 vcc, -1, 0
	s_cmp_lg_u32 s30, 2
	v_cndmask_b32_e32 v5, 0, v5, vcc
	s_cselect_b64 vcc, -1, 0
	s_cmp_lg_u32 s30, 1
	v_cndmask_b32_e32 v4, 0, v4, vcc
	s_cselect_b64 vcc, -1, 0
	s_cmp_lg_u32 s30, 0
	v_cndmask_b32_e32 v3, 0, v3, vcc
	s_cselect_b64 vcc, -1, 0
	s_add_u32 s30, s30, 1
	s_addc_u32 s31, s31, 0
	v_cmp_eq_u32_e64 s[4:5], s30, v6
	s_or_b64 s[10:11], s[4:5], s[10:11]
	v_cndmask_b32_e32 v2, 0, v2, vcc
	s_andn2_b64 exec, exec, s[10:11]
	s_cbranch_execnz .LBB288_170
; %bb.171:                              ;   in Loop: Header=BB288_19 Depth=1
	s_or_b64 exec, exec, s[10:11]
	s_branch .LBB288_17
.LBB288_172:
	s_endpgm
	.section	.rodata,"a",@progbits
	.p2align	6, 0x0
	.amdhsa_kernel _Z12wvSplitK_hf_I14__hip_bfloat16Li32ELi4ELi16ELi8ELi1ELi5EEviiiiiiPKT_S3_S3_PS1_ii
		.amdhsa_group_segment_fixed_size 65536
		.amdhsa_private_segment_fixed_size 0
		.amdhsa_kernarg_size 64
		.amdhsa_user_sgpr_count 2
		.amdhsa_user_sgpr_dispatch_ptr 0
		.amdhsa_user_sgpr_queue_ptr 0
		.amdhsa_user_sgpr_kernarg_segment_ptr 1
		.amdhsa_user_sgpr_dispatch_id 0
		.amdhsa_user_sgpr_kernarg_preload_length 0
		.amdhsa_user_sgpr_kernarg_preload_offset 0
		.amdhsa_user_sgpr_private_segment_size 0
		.amdhsa_uses_dynamic_stack 0
		.amdhsa_enable_private_segment 0
		.amdhsa_system_sgpr_workgroup_id_x 1
		.amdhsa_system_sgpr_workgroup_id_y 0
		.amdhsa_system_sgpr_workgroup_id_z 0
		.amdhsa_system_sgpr_workgroup_info 0
		.amdhsa_system_vgpr_workitem_id 1
		.amdhsa_next_free_vgpr 147
		.amdhsa_next_free_sgpr 49
		.amdhsa_accum_offset 148
		.amdhsa_reserve_vcc 1
		.amdhsa_float_round_mode_32 0
		.amdhsa_float_round_mode_16_64 0
		.amdhsa_float_denorm_mode_32 3
		.amdhsa_float_denorm_mode_16_64 3
		.amdhsa_dx10_clamp 1
		.amdhsa_ieee_mode 1
		.amdhsa_fp16_overflow 0
		.amdhsa_tg_split 0
		.amdhsa_exception_fp_ieee_invalid_op 0
		.amdhsa_exception_fp_denorm_src 0
		.amdhsa_exception_fp_ieee_div_zero 0
		.amdhsa_exception_fp_ieee_overflow 0
		.amdhsa_exception_fp_ieee_underflow 0
		.amdhsa_exception_fp_ieee_inexact 0
		.amdhsa_exception_int_div_zero 0
	.end_amdhsa_kernel
	.section	.text._Z12wvSplitK_hf_I14__hip_bfloat16Li32ELi4ELi16ELi8ELi1ELi5EEviiiiiiPKT_S3_S3_PS1_ii,"axG",@progbits,_Z12wvSplitK_hf_I14__hip_bfloat16Li32ELi4ELi16ELi8ELi1ELi5EEviiiiiiPKT_S3_S3_PS1_ii,comdat
.Lfunc_end288:
	.size	_Z12wvSplitK_hf_I14__hip_bfloat16Li32ELi4ELi16ELi8ELi1ELi5EEviiiiiiPKT_S3_S3_PS1_ii, .Lfunc_end288-_Z12wvSplitK_hf_I14__hip_bfloat16Li32ELi4ELi16ELi8ELi1ELi5EEviiiiiiPKT_S3_S3_PS1_ii
                                        ; -- End function
	.section	.AMDGPU.csdata,"",@progbits
; Kernel info:
; codeLenInByte = 8900
; NumSgprs: 55
; NumVgprs: 147
; NumAgprs: 0
; TotalNumVgprs: 147
; ScratchSize: 0
; MemoryBound: 1
; FloatMode: 240
; IeeeMode: 1
; LDSByteSize: 65536 bytes/workgroup (compile time only)
; SGPRBlocks: 6
; VGPRBlocks: 18
; NumSGPRsForWavesPerEU: 55
; NumVGPRsForWavesPerEU: 147
; AccumOffset: 148
; Occupancy: 2
; WaveLimiterHint : 0
; COMPUTE_PGM_RSRC2:SCRATCH_EN: 0
; COMPUTE_PGM_RSRC2:USER_SGPR: 2
; COMPUTE_PGM_RSRC2:TRAP_HANDLER: 0
; COMPUTE_PGM_RSRC2:TGID_X_EN: 1
; COMPUTE_PGM_RSRC2:TGID_Y_EN: 0
; COMPUTE_PGM_RSRC2:TGID_Z_EN: 0
; COMPUTE_PGM_RSRC2:TIDIG_COMP_CNT: 1
; COMPUTE_PGM_RSRC3_GFX90A:ACCUM_OFFSET: 36
; COMPUTE_PGM_RSRC3_GFX90A:TG_SPLIT: 0
	.section	.text._Z16wvSplitK_hf_big_I14__hip_bfloat16Li32ELi4ELi16ELi8ELi1ELi5EEviiiiiiPKT_S3_S3_PS1_ii,"axG",@progbits,_Z16wvSplitK_hf_big_I14__hip_bfloat16Li32ELi4ELi16ELi8ELi1ELi5EEviiiiiiPKT_S3_S3_PS1_ii,comdat
	.protected	_Z16wvSplitK_hf_big_I14__hip_bfloat16Li32ELi4ELi16ELi8ELi1ELi5EEviiiiiiPKT_S3_S3_PS1_ii ; -- Begin function _Z16wvSplitK_hf_big_I14__hip_bfloat16Li32ELi4ELi16ELi8ELi1ELi5EEviiiiiiPKT_S3_S3_PS1_ii
	.globl	_Z16wvSplitK_hf_big_I14__hip_bfloat16Li32ELi4ELi16ELi8ELi1ELi5EEviiiiiiPKT_S3_S3_PS1_ii
	.p2align	8
	.type	_Z16wvSplitK_hf_big_I14__hip_bfloat16Li32ELi4ELi16ELi8ELi1ELi5EEviiiiiiPKT_S3_S3_PS1_ii,@function
_Z16wvSplitK_hf_big_I14__hip_bfloat16Li32ELi4ELi16ELi8ELi1ELi5EEviiiiiiPKT_S3_S3_PS1_ii: ; @_Z16wvSplitK_hf_big_I14__hip_bfloat16Li32ELi4ELi16ELi8ELi1ELi5EEviiiiiiPKT_S3_S3_PS1_ii
; %bb.0:
	s_load_dwordx2 s[8:9], s[0:1], 0x38
	v_bfe_u32 v7, v0, 10, 10
	s_waitcnt lgkmcnt(0)
	v_cmp_gt_u32_e32 vcc, s8, v7
	s_and_saveexec_b64 s[4:5], vcc
	s_cbranch_execz .LBB289_158
; %bb.1:
	s_load_dwordx4 s[24:27], s[0:1], 0x0
	s_mul_i32 s2, s2, s8
	v_add_lshl_u32 v122, s2, v7, 2
	s_mov_b32 s4, 1
	v_add_u32_e32 v1, 4, v122
	s_mov_b32 s5, s4
	s_waitcnt lgkmcnt(0)
	v_cmp_gt_u32_e32 vcc, s27, v122
	v_cmp_le_u32_e64 s[2:3], s27, v1
	s_mov_b32 s6, s4
	s_mov_b32 s7, s4
	v_mov_b64_e32 v[2:3], s[4:5]
	s_and_b64 s[10:11], vcc, s[2:3]
	v_mov_b64_e32 v[4:5], s[6:7]
	s_and_saveexec_b64 s[2:3], s[10:11]
	s_cbranch_execz .LBB289_7
; %bb.2:
	s_add_i32 s16, s27, -4
	v_mov_b64_e32 v[2:3], s[4:5]
	v_cmp_ne_u32_e32 vcc, s16, v122
	v_mov_b64_e32 v[4:5], s[6:7]
	s_and_saveexec_b64 s[10:11], vcc
	s_cbranch_execz .LBB289_6
; %bb.3:
	v_subrev_u32_e32 v1, s16, v122
	v_cmp_lt_u32_e32 vcc, 1, v1
	s_mov_b64 s[12:13], 0
	s_mov_b64 s[14:15], 0
	v_cndmask_b32_e32 v6, 1, v1, vcc
	s_mov_b32 s5, s4
	s_mov_b32 s6, s4
	;; [unrolled: 1-line block ×3, first 2 shown]
.LBB289_4:                              ; =>This Inner Loop Header: Depth=1
	s_cmp_lg_u32 s14, 3
	s_cselect_b32 s7, s7, 0
	s_cmp_lg_u32 s14, 2
	s_cselect_b32 s6, s6, 0
	;; [unrolled: 2-line block ×4, first 2 shown]
	s_add_u32 s14, s14, 1
	s_addc_u32 s15, s15, 0
	v_cmp_eq_u32_e32 vcc, s14, v6
	v_mov_b64_e32 v[2:3], s[4:5]
	s_or_b64 s[12:13], vcc, s[12:13]
	v_mov_b64_e32 v[4:5], s[6:7]
	s_andn2_b64 exec, exec, s[12:13]
	s_cbranch_execnz .LBB289_4
; %bb.5:
	s_or_b64 exec, exec, s[12:13]
	v_mov_b32_e32 v122, s16
.LBB289_6:
	s_or_b64 exec, exec, s[10:11]
.LBB289_7:
	s_or_b64 exec, exec, s[2:3]
	s_lshl_b32 s2, s8, 2
	s_abs_i32 s3, s2
	v_cvt_f32_u32_e32 v1, s3
	s_sub_i32 s6, 0, s3
	s_abs_i32 s5, s27
	s_ashr_i32 s4, s27, 31
	v_rcp_iflag_f32_e32 v1, v1
	s_nop 0
	v_mul_f32_e32 v1, 0x4f7ffffe, v1
	v_cvt_u32_f32_e32 v1, v1
	s_nop 0
	v_readfirstlane_b32 s7, v1
	s_mul_i32 s6, s6, s7
	s_mul_hi_u32 s6, s7, s6
	s_add_i32 s7, s7, s6
	s_mul_hi_u32 s6, s5, s7
	s_mul_i32 s6, s6, s3
	s_sub_i32 s5, s5, s6
	s_sub_i32 s6, s5, s3
	s_cmp_ge_u32 s5, s3
	s_cselect_b32 s5, s6, s5
	s_sub_i32 s6, s5, s3
	s_cmp_ge_u32 s5, s3
	s_cselect_b32 s3, s6, s5
	s_xor_b32 s3, s3, s4
	s_sub_i32 s3, s3, s4
	s_add_i32 s2, s2, s27
	s_sub_i32 s2, s2, s3
	s_cmp_eq_u32 s3, 0
	s_cselect_b32 s33, s27, s2
	v_cmp_gt_u32_e32 vcc, s33, v122
	s_and_b64 exec, exec, vcc
	s_cbranch_execz .LBB289_158
; %bb.8:
	s_load_dwordx8 s[16:23], s[0:1], 0x10
	s_min_u32 s44, s26, 0x1900
	s_cmp_lg_u32 s24, 0
	s_load_dwordx2 s[14:15], s[0:1], 0x30
	s_cselect_b64 s[2:3], -1, 0
	s_cmp_lg_u32 s26, 0
	s_mul_i32 s0, s9, s8
	s_cselect_b64 s[4:5], -1, 0
	s_lshl_b32 s45, s8, 8
	s_add_i32 s46, s24, -8
	s_add_i32 s47, s27, -1
	s_lshl_b32 s48, s0, 2
	s_waitcnt lgkmcnt(0)
	s_cmp_lg_u64 s[22:23], 0
	s_cselect_b64 s[30:31], -1, 0
	s_abs_i32 s6, s17
	v_cvt_f32_u32_e32 v1, s16
	v_cvt_f32_u32_e32 v6, s6
	s_sub_i32 s7, 0, s16
	s_add_i32 s17, s27, -4
	v_rcp_iflag_f32_e32 v1, v1
	v_rcp_iflag_f32_e32 v6, v6
	v_and_b32_e32 v0, 0x3ff, v0
	v_lshlrev_b32_e32 v125, 3, v0
	v_mul_f32_e32 v1, 0x4f7ffffe, v1
	v_mul_f32_e32 v6, 0x4f7ffffe, v6
	v_cvt_u32_f32_e32 v1, v1
	v_cvt_u32_f32_e32 v6, v6
	v_cmp_eq_u32_e64 s[0:1], 31, v0
	v_lshlrev_b32_e32 v0, 4, v0
	v_mul_lo_u32 v8, s7, v1
	s_sub_i32 s7, 0, s6
	v_readfirstlane_b32 s9, v6
	s_mul_i32 s7, s7, s9
	s_mul_hi_u32 s7, s9, s7
	s_add_i32 s9, s9, s7
	s_sub_i32 s7, 1, s6
	s_cmp_lt_u32 s6, 2
	s_cselect_b32 s7, s7, 1
	s_sub_i32 s10, s7, s6
	s_cmp_ge_u32 s7, s6
	s_cselect_b32 s49, s10, s7
	s_lshr_b32 s7, s9, 31
	s_mul_i32 s7, s7, s6
	s_sub_i32 s7, 2, s7
	s_sub_i32 s10, s7, s6
	s_cmp_ge_u32 s7, s6
	s_cselect_b32 s7, s10, s7
	s_sub_i32 s10, s7, s6
	s_cmp_ge_u32 s7, s6
	s_cselect_b32 s50, s10, s7
	s_mul_hi_u32 s7, s9, 3
	s_mul_i32 s7, s7, s6
	s_sub_i32 s7, 3, s7
	s_sub_i32 s10, s7, s6
	s_cmp_ge_u32 s7, s6
	s_cselect_b32 s7, s10, s7
	s_sub_i32 s10, s7, s6
	s_cmp_ge_u32 s7, s6
	s_cselect_b32 s51, s10, s7
	s_lshr_b32 s7, s9, 30
	s_mul_i32 s7, s7, s6
	s_sub_i32 s7, 4, s7
	s_sub_i32 s9, s7, s6
	s_cmp_ge_u32 s7, s6
	s_cselect_b32 s7, s9, s7
	s_sub_i32 s9, s7, s6
	s_cmp_ge_u32 s7, s6
	v_lshl_add_u32 v137, v7, 9, v0
	v_lshl_add_u32 v124, v7, 8, v125
	v_cndmask_b32_e64 v0, 0, 1, s[2:3]
	v_mul_hi_u32 v8, v1, v8
	s_cselect_b32 s52, s9, s7
	s_add_u32 s34, s14, 2
	v_mad_u64_u32 v[126:127], s[6:7], s26, 3, v[124:125]
	v_cmp_ne_u32_e64 s[2:3], 1, v0
	v_cndmask_b32_e64 v0, 0, 1, s[4:5]
	s_mov_b64 s[28:29], 0
	v_add_u32_e32 v136, v1, v8
	v_mov_b32_e32 v1, 0
	s_mul_i32 s49, s49, s16
	s_mul_i32 s50, s50, s16
	;; [unrolled: 1-line block ×4, first 2 shown]
	s_addc_u32 s35, s15, 0
	s_lshl_b32 s53, s44, 3
	s_lshl_b32 s54, s8, 9
	s_mul_i32 s55, s44, 6
	s_lshl_b32 s56, s44, 2
	s_lshl_b32 s57, s44, 1
	v_lshl_add_u32 v138, s26, 1, v124
	v_lshl_add_u32 v127, s26, 2, v124
	v_add_u32_e32 v139, s26, v124
	s_mov_b32 s58, 0x7f800000
	s_movk_i32 s59, 0x7fff
	v_cmp_ne_u32_e64 s[4:5], 1, v0
	s_branch .LBB289_12
.LBB289_9:                              ;   in Loop: Header=BB289_12 Depth=1
	s_or_b64 exec, exec, s[10:11]
	v_mov_b32_e32 v122, s17
.LBB289_10:                             ;   in Loop: Header=BB289_12 Depth=1
	s_or_b64 exec, exec, s[8:9]
.LBB289_11:                             ;   in Loop: Header=BB289_12 Depth=1
	s_or_b64 exec, exec, s[36:37]
	v_cmp_le_u32_e32 vcc, s33, v122
	s_or_b64 s[28:29], vcc, s[28:29]
	s_andn2_b64 exec, exec, s[28:29]
	s_cbranch_execz .LBB289_158
.LBB289_12:                             ; =>This Loop Header: Depth=1
                                        ;     Child Loop BB289_16 Depth 2
                                        ;       Child Loop BB289_21 Depth 3
                                        ;     Child Loop BB289_156 Depth 2
	s_and_b64 vcc, exec, s[2:3]
	v_mov_b32_e32 v9, v1
	v_mov_b32_e32 v8, v1
	s_waitcnt vmcnt(16)
	v_mov_b32_e32 v7, v1
	v_mov_b32_e32 v6, v1
	;; [unrolled: 1-line block ×10, first 2 shown]
	s_waitcnt vmcnt(0)
	v_mov_b32_e32 v21, v1
	v_mov_b32_e32 v20, v1
	;; [unrolled: 1-line block ×68, first 2 shown]
	s_cbranch_vccnz .LBB289_27
; %bb.13:                               ;   in Loop: Header=BB289_12 Depth=1
	v_min_u32_e32 v0, s47, v122
	v_mul_lo_u32 v128, v0, s25
	v_add_u32_e32 v0, 1, v122
	v_min_u32_e32 v0, s47, v0
	v_mul_lo_u32 v130, v0, s25
	v_add_u32_e32 v0, 2, v122
	v_min_u32_e32 v0, s47, v0
	v_mul_lo_u32 v132, v0, s25
	v_add_u32_e32 v0, 3, v122
	v_min_u32_e32 v0, s47, v0
	v_mov_b32_e32 v22, 0
	v_cmp_gt_u32_e64 s[6:7], s27, v122
	v_mov_b32_e32 v129, v1
	v_mov_b32_e32 v131, v1
	;; [unrolled: 1-line block ×3, first 2 shown]
	v_mul_lo_u32 v134, v0, s25
	v_mov_b32_e32 v135, v1
	s_mov_b32 s36, 0
	s_mov_b32 s37, 0
	v_mov_b32_e32 v23, v22
	v_mov_b32_e32 v24, v22
	;; [unrolled: 1-line block ×79, first 2 shown]
	s_branch .LBB289_16
.LBB289_14:                             ;   in Loop: Header=BB289_16 Depth=2
	s_or_b64 exec, exec, s[10:11]
	s_waitcnt vmcnt(3) lgkmcnt(4)
	v_mfma_f32_4x4x4_16b_bf16 v[82:85], v[118:119], v[90:91], v[82:85]
	s_waitcnt vmcnt(2)
	v_mfma_f32_4x4x4_16b_bf16 v[78:81], v[118:119], v[86:87], v[78:81]
	s_waitcnt vmcnt(1)
	;; [unrolled: 2-line block ×3, first 2 shown]
	v_mfma_f32_4x4x4_16b_bf16 v[70:73], v[118:119], v[94:95], v[70:73]
	s_waitcnt lgkmcnt(3)
	v_mfma_f32_4x4x4_16b_bf16 v[66:69], v[110:111], v[90:91], v[66:69]
	v_mfma_f32_4x4x4_16b_bf16 v[62:65], v[110:111], v[86:87], v[62:65]
	v_mfma_f32_4x4x4_16b_bf16 v[58:61], v[110:111], v[98:99], v[58:61]
	v_mfma_f32_4x4x4_16b_bf16 v[54:57], v[110:111], v[94:95], v[54:57]
	s_waitcnt lgkmcnt(2)
	v_mfma_f32_4x4x4_16b_bf16 v[50:53], v[114:115], v[90:91], v[50:53]
	v_mfma_f32_4x4x4_16b_bf16 v[46:49], v[114:115], v[86:87], v[46:49]
	v_mfma_f32_4x4x4_16b_bf16 v[42:45], v[114:115], v[98:99], v[42:45]
	;; [unrolled: 5-line block ×4, first 2 shown]
	v_mfma_f32_4x4x4_16b_bf16 v[6:9], v[102:103], v[94:95], v[6:9]
	v_mfma_f32_4x4x4_16b_bf16 v[82:85], v[120:121], v[92:93], v[82:85]
	;; [unrolled: 1-line block ×21, first 2 shown]
.LBB289_15:                             ;   in Loop: Header=BB289_16 Depth=2
	s_or_b64 exec, exec, s[8:9]
	s_addk_i32 s37, 0x100
	s_cmp_ge_u32 s37, s24
	s_cbranch_scc1 .LBB289_27
.LBB289_16:                             ;   Parent Loop BB289_12 Depth=1
                                        ; =>  This Loop Header: Depth=2
                                        ;       Child Loop BB289_21 Depth 3
	s_cmp_eq_u32 s37, 0
	s_cselect_b64 s[8:9], -1, 0
	s_add_i32 s10, s36, s44
	s_cmp_eq_u32 s37, s10
	s_cselect_b64 s[12:13], -1, 0
	s_or_b64 s[12:13], s[8:9], s[12:13]
	s_andn2_b64 vcc, exec, s[12:13]
	s_cbranch_vccz .LBB289_18
; %bb.17:                               ;   in Loop: Header=BB289_16 Depth=2
	s_and_saveexec_b64 s[8:9], s[6:7]
	s_cbranch_execz .LBB289_15
	s_branch .LBB289_25
.LBB289_18:                             ;   in Loop: Header=BB289_16 Depth=2
	s_and_b64 s[8:9], s[8:9], exec
	s_cselect_b32 s36, s36, s10
	s_and_b64 vcc, exec, s[4:5]
	s_barrier
	s_cbranch_vccnz .LBB289_24
; %bb.19:                               ;   in Loop: Header=BB289_16 Depth=2
	v_add_u32_e32 v86, s36, v138
	v_add_u32_e32 v87, s36, v126
	;; [unrolled: 1-line block ×5, first 2 shown]
	s_mov_b32 s38, 0
	s_mov_b64 s[10:11], 0
	v_mov_b32_e32 v91, v137
                                        ; implicit-def: $sgpr12_sgpr13
	s_branch .LBB289_21
.LBB289_20:                             ;   in Loop: Header=BB289_21 Depth=3
	s_or_b64 exec, exec, s[8:9]
	s_and_b64 s[8:9], exec, s[12:13]
	s_or_b64 s[10:11], s[8:9], s[10:11]
	s_andn2_b64 exec, exec, s[10:11]
	s_cbranch_execz .LBB289_23
.LBB289_21:                             ;   Parent Loop BB289_12 Depth=1
                                        ;     Parent Loop BB289_16 Depth=2
                                        ; =>    This Inner Loop Header: Depth=3
	v_add_u32_e32 v92, s38, v124
	v_add_u32_e32 v0, s38, v90
	v_cmp_gt_u32_e32 vcc, s26, v0
	v_cmp_gt_u32_e64 s[8:9], s44, v92
	s_and_b64 s[40:41], s[8:9], vcc
	s_or_b64 s[12:13], s[12:13], exec
	s_and_saveexec_b64 s[8:9], s[40:41]
	s_cbranch_execz .LBB289_20
; %bb.22:                               ;   in Loop: Header=BB289_21 Depth=3
	v_lshl_add_u64 v[92:93], v[0:1], 1, s[20:21]
	v_add_u32_e32 v0, s38, v89
	v_lshl_add_u64 v[96:97], v[0:1], 1, s[20:21]
	v_add_u32_e32 v0, s38, v86
	;; [unrolled: 2-line block ×3, first 2 shown]
	v_lshl_add_u64 v[104:105], v[0:1], 1, s[20:21]
	global_load_dwordx4 v[92:95], v[92:93], off
	s_nop 0
	global_load_dwordx4 v[96:99], v[96:97], off
	s_nop 0
	;; [unrolled: 2-line block ×3, first 2 shown]
	global_load_dwordx4 v[104:107], v[104:105], off
	v_add_u32_e32 v0, s38, v88
	v_lshl_add_u64 v[108:109], v[0:1], 1, s[20:21]
	global_load_dwordx4 v[108:111], v[108:109], off
	s_add_i32 s38, s38, s45
	s_cmp_ge_u32 s38, s44
	s_cselect_b64 s[40:41], -1, 0
	s_andn2_b64 s[12:13], s[12:13], exec
	s_and_b64 s[40:41], s[40:41], exec
	v_add_u32_e32 v0, s57, v91
	v_add_u32_e32 v112, s56, v91
	;; [unrolled: 1-line block ×4, first 2 shown]
	s_or_b64 s[12:13], s[12:13], s[40:41]
	s_waitcnt vmcnt(4)
	ds_write_b128 v91, v[92:95]
	v_add_u32_e32 v91, s54, v91
	s_waitcnt vmcnt(3)
	ds_write2_b64 v0, v[96:97], v[98:99] offset1:1
	s_waitcnt vmcnt(2)
	ds_write2_b32 v112, v100, v101 offset1:1
	ds_write2_b32 v112, v102, v103 offset0:2 offset1:3
	s_waitcnt vmcnt(1)
	ds_write2_b64 v113, v[104:105], v[106:107] offset1:1
	s_waitcnt vmcnt(0)
	ds_write2_b64 v114, v[108:109], v[110:111] offset1:1
	s_branch .LBB289_20
.LBB289_23:                             ;   in Loop: Header=BB289_16 Depth=2
	s_or_b64 exec, exec, s[10:11]
.LBB289_24:                             ;   in Loop: Header=BB289_16 Depth=2
	s_waitcnt lgkmcnt(0)
	s_barrier
	s_and_saveexec_b64 s[8:9], s[6:7]
	s_cbranch_execz .LBB289_15
.LBB289_25:                             ;   in Loop: Header=BB289_16 Depth=2
	v_add_u32_e32 v123, s37, v125
	v_min_u32_e32 v0, s46, v123
	v_lshl_add_u64 v[94:95], v[0:1], 1, s[18:19]
	v_lshl_add_u64 v[96:97], v[128:129], 1, v[94:95]
	;; [unrolled: 1-line block ×4, first 2 shown]
	global_load_dwordx4 v[90:93], v[96:97], off nt
	global_load_dwordx4 v[86:89], v[98:99], off nt
	v_lshl_add_u64 v[104:105], v[134:135], 1, v[94:95]
	global_load_dwordx4 v[98:101], v[102:103], off nt
	global_load_dwordx4 v[94:97], v[104:105], off nt
	v_cmp_gt_u32_e32 vcc, s24, v123
	v_mov_b32_e32 v104, 0
	v_mov_b32_e32 v105, 0
	;; [unrolled: 1-line block ×20, first 2 shown]
	s_and_saveexec_b64 s[10:11], vcc
	s_cbranch_execz .LBB289_14
; %bb.26:                               ;   in Loop: Header=BB289_16 Depth=2
	v_subrev_u32_e32 v0, s36, v123
	v_lshlrev_b32_e32 v0, 1, v0
	v_add_u32_e32 v102, s57, v0
	ds_read_b128 v[118:121], v0
	ds_read_b128 v[110:113], v102
	v_add_u32_e32 v0, s57, v102
	v_add_u32_e32 v102, s57, v0
	ds_read_b128 v[114:117], v0
	ds_read_b128 v[106:109], v102
	v_add_u32_e32 v0, s57, v102
	ds_read_b128 v[102:105], v0
	s_branch .LBB289_14
.LBB289_27:                             ;   in Loop: Header=BB289_12 Depth=1
	v_cmp_le_u32_e32 vcc, s27, v122
	s_and_saveexec_b64 s[6:7], vcc
	s_xor_b64 s[6:7], exec, s[6:7]
; %bb.28:                               ;   in Loop: Header=BB289_12 Depth=1
	v_add_u32_e32 v122, s48, v122
                                        ; implicit-def: $vgpr9
                                        ; implicit-def: $vgpr13
                                        ; implicit-def: $vgpr17
                                        ; implicit-def: $vgpr21
                                        ; implicit-def: $vgpr85
                                        ; implicit-def: $vgpr81
                                        ; implicit-def: $vgpr77
                                        ; implicit-def: $vgpr73
                                        ; implicit-def: $vgpr69
                                        ; implicit-def: $vgpr65
                                        ; implicit-def: $vgpr61
                                        ; implicit-def: $vgpr57
                                        ; implicit-def: $vgpr53
                                        ; implicit-def: $vgpr49
                                        ; implicit-def: $vgpr45
                                        ; implicit-def: $vgpr41
                                        ; implicit-def: $vgpr37
                                        ; implicit-def: $vgpr33
                                        ; implicit-def: $vgpr29
                                        ; implicit-def: $vgpr25
; %bb.29:                               ;   in Loop: Header=BB289_12 Depth=1
	s_andn2_saveexec_b64 s[36:37], s[6:7]
	s_cbranch_execz .LBB289_11
; %bb.30:                               ;   in Loop: Header=BB289_12 Depth=1
	v_cvt_i32_f32_e32 v0, v83
	v_cvt_i32_f32_e32 v83, v84
	v_cvt_i32_f32_e32 v84, v85
	v_cvt_i32_f32_e32 v79, v79
	v_cvt_f32_i32_dpp v0, v0 row_shl:1 row_mask:0xf bank_mask:0xf bound_ctrl:1
	v_cvt_f32_i32_dpp v83, v83 row_shl:2 row_mask:0xf bank_mask:0xf bound_ctrl:1
	;; [unrolled: 1-line block ×3, first 2 shown]
	v_cvt_i32_f32_e32 v80, v80
	v_add_f32_e32 v0, v82, v0
	v_add_f32_e32 v0, v0, v83
	;; [unrolled: 1-line block ×3, first 2 shown]
	v_cvt_i32_f32_e32 v82, v0
	v_cvt_i32_f32_e32 v81, v81
	v_cvt_f32_i32_dpp v79, v79 row_shl:1 row_mask:0xf bank_mask:0xf bound_ctrl:1
	v_cvt_f32_i32_dpp v80, v80 row_shl:2 row_mask:0xf bank_mask:0xf bound_ctrl:1
	;; [unrolled: 1-line block ×4, first 2 shown]
	v_add_f32_e32 v78, v78, v79
	v_cvt_i32_f32_e32 v75, v75
	v_add_f32_e32 v0, v0, v82
	v_cvt_i32_f32_e32 v79, v0
	;; [unrolled: 2-line block ×4, first 2 shown]
	v_cvt_i32_f32_e32 v80, v78
	v_cvt_f32_i32_dpp v79, v79 row_shl:8 row_mask:0xf bank_mask:0xf bound_ctrl:1
	v_cvt_f32_i32_dpp v75, v75 row_shl:1 row_mask:0xf bank_mask:0xf bound_ctrl:1
	;; [unrolled: 1-line block ×5, first 2 shown]
	v_add_f32_e32 v0, v0, v79
	v_cvt_i32_f32_e32 v0, v0
	v_add_f32_e32 v74, v74, v75
	v_add_f32_e32 v74, v74, v76
	;; [unrolled: 1-line block ×4, first 2 shown]
	v_cvt_i32_f32_e32 v75, v74
	v_cvt_f32_i32_dpp v0, v0 row_shr:15 row_mask:0xf bank_mask:0xf bound_ctrl:1
	v_cvt_i32_f32_e32 v79, v78
	v_cvt_i32_f32_e32 v71, v71
	v_cvt_f32_i32_dpp v75, v75 row_shl:4 row_mask:0xf bank_mask:0xf bound_ctrl:1
	v_cvt_i32_f32_e32 v76, v0
	v_cvt_f32_i32_dpp v77, v79 row_shl:8 row_mask:0xf bank_mask:0xf bound_ctrl:1
	v_cvt_i32_f32_e32 v72, v72
	v_add_f32_e32 v75, v74, v75
	v_cvt_i32_f32_e32 v73, v73
	v_cvt_f32_i32_dpp v76, v76 row_bcast:15 row_mask:0xf bank_mask:0xf bound_ctrl:1
	v_add_f32_e32 v77, v78, v77
	v_cvt_i32_f32_e32 v78, v75
	v_cvt_f32_i32_dpp v71, v71 row_shl:1 row_mask:0xf bank_mask:0xf bound_ctrl:1
	v_cvt_f32_i32_dpp v72, v72 row_shl:2 row_mask:0xf bank_mask:0xf bound_ctrl:1
	;; [unrolled: 1-line block ×3, first 2 shown]
	v_add_f32_e32 v74, v0, v76
	v_cvt_f32_i32_dpp v76, v78 row_shl:8 row_mask:0xf bank_mask:0xf bound_ctrl:1
	v_cvt_i32_f32_e32 v77, v77
	v_add_f32_e32 v70, v70, v71
	v_add_f32_e32 v70, v70, v72
	;; [unrolled: 1-line block ×4, first 2 shown]
	v_cvt_i32_f32_e32 v71, v70
	v_cvt_f32_i32_dpp v0, v77 row_shr:15 row_mask:0xf bank_mask:0xf bound_ctrl:1
	v_cvt_i32_f32_e32 v75, v75
	v_cvt_i32_f32_e32 v67, v67
	;; [unrolled: 1-line block ×4, first 2 shown]
	v_cvt_f32_i32_dpp v76, v71 row_shl:4 row_mask:0xf bank_mask:0xf bound_ctrl:1
	v_cvt_i32_f32_e32 v72, v74
	v_cvt_i32_f32_e32 v73, v0
	v_cvt_f32_i32_dpp v75, v75 row_shr:15 row_mask:0xf bank_mask:0xf bound_ctrl:1
	v_cvt_f32_i32_dpp v67, v67 row_shl:1 row_mask:0xf bank_mask:0xf bound_ctrl:1
	v_cvt_f32_i32_dpp v68, v68 row_shl:2 row_mask:0xf bank_mask:0xf bound_ctrl:1
	v_cvt_f32_i32_dpp v69, v69 row_shl:3 row_mask:0xf bank_mask:0xf bound_ctrl:1
	v_add_f32_e32 v76, v70, v76
	v_mov_b32_dpp v71, v72 row_bcast:31 row_mask:0xf bank_mask:0xf bound_ctrl:1
	v_cvt_f32_i32_dpp v72, v73 row_bcast:15 row_mask:0xf bank_mask:0xf bound_ctrl:1
	v_cvt_i32_f32_e32 v73, v75
	v_cvt_i32_f32_e32 v77, v76
	v_add_f32_e32 v66, v66, v67
	v_add_f32_e32 v66, v66, v68
	v_cvt_i32_f32_e32 v63, v63
	v_add_f32_e32 v68, v66, v69
	v_cvt_i32_f32_e32 v64, v64
	v_cvt_i32_f32_e32 v69, v68
	;; [unrolled: 1-line block ×3, first 2 shown]
	v_add_f32_e32 v70, v0, v72
	v_cvt_f32_i32_dpp v72, v73 row_bcast:15 row_mask:0xf bank_mask:0xf bound_ctrl:1
	v_cvt_f32_i32_dpp v73, v77 row_shl:8 row_mask:0xf bank_mask:0xf bound_ctrl:1
	v_cvt_f32_i32_dpp v63, v63 row_shl:1 row_mask:0xf bank_mask:0xf bound_ctrl:1
	;; [unrolled: 1-line block ×5, first 2 shown]
	v_add_f32_e32 v73, v76, v73
	v_cvt_i32_f32_e32 v0, v70
	v_cvt_i32_f32_e32 v73, v73
	v_add_f32_e32 v62, v62, v63
	v_add_f32_e32 v62, v62, v64
	;; [unrolled: 1-line block ×4, first 2 shown]
	v_cvt_i32_f32_e32 v69, v68
	v_cvt_i32_f32_e32 v63, v62
	v_mov_b32_dpp v67, v0 row_bcast:31 row_mask:0xf bank_mask:0xf bound_ctrl:1
	v_cvt_f32_i32_dpp v0, v73 row_shr:15 row_mask:0xf bank_mask:0xf bound_ctrl:1
	v_cvt_f32_i32_dpp v65, v69 row_shl:8 row_mask:0xf bank_mask:0xf bound_ctrl:1
	v_cvt_f32_i32_dpp v63, v63 row_shl:4 row_mask:0xf bank_mask:0xf bound_ctrl:1
	v_add_f32_e32 v66, v75, v72
	v_cvt_i32_f32_e32 v64, v0
	v_add_f32_e32 v65, v68, v65
	v_add_f32_e32 v68, v62, v63
	v_cvt_i32_f32_e32 v72, v68
	v_cvt_f32_i32_dpp v64, v64 row_bcast:15 row_mask:0xf bank_mask:0xf bound_ctrl:1
	v_cvt_i32_f32_e32 v59, v59
	v_cvt_i32_f32_e32 v60, v60
	;; [unrolled: 1-line block ×3, first 2 shown]
	v_add_f32_e32 v62, v0, v64
	v_cvt_f32_i32_dpp v64, v72 row_shl:8 row_mask:0xf bank_mask:0xf bound_ctrl:1
	v_cvt_i32_f32_e32 v65, v65
	v_cvt_f32_i32_dpp v59, v59 row_shl:1 row_mask:0xf bank_mask:0xf bound_ctrl:1
	v_cvt_f32_i32_dpp v60, v60 row_shl:2 row_mask:0xf bank_mask:0xf bound_ctrl:1
	;; [unrolled: 1-line block ×3, first 2 shown]
	v_add_f32_e32 v64, v68, v64
	v_cvt_f32_i32_dpp v0, v65 row_shr:15 row_mask:0xf bank_mask:0xf bound_ctrl:1
	v_cvt_i32_f32_e32 v64, v64
	v_add_f32_e32 v58, v58, v59
	v_add_f32_e32 v58, v58, v60
	v_cvt_i32_f32_e32 v55, v55
	v_add_f32_e32 v58, v58, v61
	v_cvt_i32_f32_e32 v56, v56
	v_cvt_i32_f32_e32 v59, v58
	;; [unrolled: 1-line block ×5, first 2 shown]
	v_cvt_f32_i32_dpp v64, v64 row_shr:15 row_mask:0xf bank_mask:0xf bound_ctrl:1
	v_cvt_f32_i32_dpp v55, v55 row_shl:1 row_mask:0xf bank_mask:0xf bound_ctrl:1
	v_cvt_f32_i32_dpp v56, v56 row_shl:2 row_mask:0xf bank_mask:0xf bound_ctrl:1
	;; [unrolled: 1-line block ×4, first 2 shown]
	v_mov_b32_dpp v59, v60 row_bcast:31 row_mask:0xf bank_mask:0xf bound_ctrl:1
	v_cvt_f32_i32_dpp v60, v61 row_bcast:15 row_mask:0xf bank_mask:0xf bound_ctrl:1
	v_cvt_i32_f32_e32 v61, v64
	v_add_f32_e32 v54, v54, v55
	v_cvt_i32_f32_e32 v51, v51
	v_add_f32_e32 v54, v54, v56
	;; [unrolled: 2-line block ×3, first 2 shown]
	v_add_f32_e32 v57, v54, v57
	v_cvt_i32_f32_e32 v53, v53
	v_cvt_i32_f32_e32 v68, v65
	v_add_f32_e32 v58, v0, v60
	v_cvt_f32_i32_dpp v60, v61 row_bcast:15 row_mask:0xf bank_mask:0xf bound_ctrl:1
	v_cvt_i32_f32_e32 v55, v57
	v_cvt_f32_i32_dpp v51, v51 row_shl:1 row_mask:0xf bank_mask:0xf bound_ctrl:1
	v_cvt_f32_i32_dpp v52, v52 row_shl:2 row_mask:0xf bank_mask:0xf bound_ctrl:1
	v_cvt_f32_i32_dpp v53, v53 row_shl:3 row_mask:0xf bank_mask:0xf bound_ctrl:1
	v_cvt_f32_i32_dpp v61, v68 row_shl:8 row_mask:0xf bank_mask:0xf bound_ctrl:1
	v_add_f32_e32 v54, v64, v60
	v_cvt_f32_i32_dpp v64, v55 row_shl:4 row_mask:0xf bank_mask:0xf bound_ctrl:1
	v_cvt_i32_f32_e32 v60, v54
	v_add_f32_e32 v50, v50, v51
	v_add_f32_e32 v50, v50, v52
	;; [unrolled: 1-line block ×5, first 2 shown]
	v_cvt_i32_f32_e32 v50, v51
	v_cvt_i32_f32_e32 v61, v61
	v_mov_b32_dpp v55, v60 row_bcast:31 row_mask:0xf bank_mask:0xf bound_ctrl:1
	v_cvt_i32_f32_e32 v60, v57
	v_cvt_i32_f32_e32 v47, v47
	v_cvt_f32_i32_dpp v53, v50 row_shl:4 row_mask:0xf bank_mask:0xf bound_ctrl:1
	v_cvt_i32_f32_e32 v48, v48
	v_cvt_i32_f32_e32 v0, v58
	v_cvt_f32_i32_dpp v61, v61 row_shr:15 row_mask:0xf bank_mask:0xf bound_ctrl:1
	v_cvt_f32_i32_dpp v60, v60 row_shl:8 row_mask:0xf bank_mask:0xf bound_ctrl:1
	v_cvt_i32_f32_e32 v49, v49
	v_cvt_f32_i32_dpp v47, v47 row_shl:1 row_mask:0xf bank_mask:0xf bound_ctrl:1
	v_add_f32_e32 v51, v51, v53
	v_cvt_f32_i32_dpp v48, v48 row_shl:2 row_mask:0xf bank_mask:0xf bound_ctrl:1
	v_mov_b32_dpp v56, v0 row_bcast:31 row_mask:0xf bank_mask:0xf bound_ctrl:1
	v_cvt_i32_f32_e32 v0, v61
	v_add_f32_e32 v52, v57, v60
	v_cvt_i32_f32_e32 v53, v51
	v_cvt_f32_i32_dpp v49, v49 row_shl:3 row_mask:0xf bank_mask:0xf bound_ctrl:1
	v_cvt_i32_f32_e32 v52, v52
	v_add_f32_e32 v46, v46, v47
	v_add_f32_e32 v46, v46, v48
	v_cvt_f32_i32_dpp v0, v0 row_bcast:15 row_mask:0xf bank_mask:0xf bound_ctrl:1
	v_cvt_f32_i32_dpp v53, v53 row_shl:8 row_mask:0xf bank_mask:0xf bound_ctrl:1
	v_add_f32_e32 v46, v46, v49
	v_cvt_f32_i32_dpp v52, v52 row_shr:15 row_mask:0xf bank_mask:0xf bound_ctrl:1
	v_cvt_i32_f32_e32 v47, v46
	v_add_f32_e32 v50, v61, v0
	v_add_f32_e32 v49, v51, v53
	v_cvt_i32_f32_e32 v0, v50
	v_cvt_i32_f32_e32 v48, v52
	;; [unrolled: 1-line block ×3, first 2 shown]
	v_cvt_f32_i32_dpp v51, v47 row_shl:4 row_mask:0xf bank_mask:0xf bound_ctrl:1
	v_cvt_i32_f32_e32 v43, v43
	v_mov_b32_dpp v47, v0 row_bcast:31 row_mask:0xf bank_mask:0xf bound_ctrl:1
	v_cvt_f32_i32_dpp v0, v48 row_bcast:15 row_mask:0xf bank_mask:0xf bound_ctrl:1
	v_cvt_f32_i32_dpp v48, v49 row_shr:15 row_mask:0xf bank_mask:0xf bound_ctrl:1
	v_add_f32_e32 v49, v46, v51
	v_cvt_i32_f32_e32 v44, v44
	v_cvt_i32_f32_e32 v51, v49
	;; [unrolled: 1-line block ×3, first 2 shown]
	v_cvt_f32_i32_dpp v43, v43 row_shl:1 row_mask:0xf bank_mask:0xf bound_ctrl:1
	v_cvt_f32_i32_dpp v44, v44 row_shl:2 row_mask:0xf bank_mask:0xf bound_ctrl:1
	;; [unrolled: 1-line block ×4, first 2 shown]
	v_add_f32_e32 v42, v42, v43
	v_add_f32_e32 v42, v42, v44
	v_cvt_i32_f32_e32 v39, v39
	v_add_f32_e32 v46, v52, v0
	v_add_f32_e32 v49, v49, v51
	;; [unrolled: 1-line block ×3, first 2 shown]
	v_cvt_i32_f32_e32 v40, v40
	v_cvt_i32_f32_e32 v0, v46
	;; [unrolled: 1-line block ×6, first 2 shown]
	v_cvt_f32_i32_dpp v39, v39 row_shl:1 row_mask:0xf bank_mask:0xf bound_ctrl:1
	v_cvt_f32_i32_dpp v40, v40 row_shl:2 row_mask:0xf bank_mask:0xf bound_ctrl:1
	v_mov_b32_dpp v43, v0 row_bcast:31 row_mask:0xf bank_mask:0xf bound_ctrl:1
	v_cvt_f32_i32_dpp v0, v49 row_shr:15 row_mask:0xf bank_mask:0xf bound_ctrl:1
	v_cvt_f32_i32_dpp v49, v42 row_shl:4 row_mask:0xf bank_mask:0xf bound_ctrl:1
	v_cvt_f32_i32_dpp v41, v41 row_shl:3 row_mask:0xf bank_mask:0xf bound_ctrl:1
	v_cvt_f32_i32_dpp v45, v52 row_bcast:15 row_mask:0xf bank_mask:0xf bound_ctrl:1
	v_add_f32_e32 v38, v38, v39
	v_add_f32_e32 v38, v38, v40
	;; [unrolled: 1-line block ×5, first 2 shown]
	v_cvt_i32_f32_e32 v48, v0
	v_cvt_i32_f32_e32 v49, v44
	;; [unrolled: 1-line block ×4, first 2 shown]
	v_cvt_f32_i32_dpp v41, v48 row_bcast:15 row_mask:0xf bank_mask:0xf bound_ctrl:1
	v_cvt_f32_i32_dpp v49, v49 row_shl:8 row_mask:0xf bank_mask:0xf bound_ctrl:1
	v_cvt_f32_i32_dpp v48, v38 row_shl:4 row_mask:0xf bank_mask:0xf bound_ctrl:1
	v_cvt_i32_f32_e32 v36, v36
	v_cvt_i32_f32_e32 v37, v37
	v_add_f32_e32 v39, v44, v49
	v_add_f32_e32 v40, v40, v48
	v_cvt_i32_f32_e32 v44, v39
	v_add_f32_e32 v38, v0, v41
	v_cvt_i32_f32_e32 v41, v40
	v_cvt_f32_i32_dpp v35, v35 row_shl:1 row_mask:0xf bank_mask:0xf bound_ctrl:1
	v_cvt_f32_i32_dpp v36, v36 row_shl:2 row_mask:0xf bank_mask:0xf bound_ctrl:1
	;; [unrolled: 1-line block ×3, first 2 shown]
	v_cvt_f32_i32_dpp v0, v44 row_shr:15 row_mask:0xf bank_mask:0xf bound_ctrl:1
	v_cvt_f32_i32_dpp v41, v41 row_shl:8 row_mask:0xf bank_mask:0xf bound_ctrl:1
	v_add_f32_e32 v34, v34, v35
	v_add_f32_e32 v34, v34, v36
	;; [unrolled: 1-line block ×3, first 2 shown]
	v_cvt_i32_f32_e32 v35, v34
	v_cvt_i32_f32_e32 v36, v0
	v_add_f32_e32 v37, v40, v41
	v_cvt_i32_f32_e32 v37, v37
	v_cvt_f32_i32_dpp v35, v35 row_shl:4 row_mask:0xf bank_mask:0xf bound_ctrl:1
	v_cvt_f32_i32_dpp v36, v36 row_bcast:15 row_mask:0xf bank_mask:0xf bound_ctrl:1
	v_cvt_i32_f32_e32 v31, v31
	v_cvt_f32_i32_dpp v37, v37 row_shr:15 row_mask:0xf bank_mask:0xf bound_ctrl:1
	v_cvt_i32_f32_e32 v27, v27
	v_add_f32_e32 v41, v34, v35
	v_add_f32_e32 v34, v0, v36
	v_cvt_i32_f32_e32 v32, v32
	v_cvt_i32_f32_e32 v28, v28
	;; [unrolled: 1-line block ×8, first 2 shown]
	v_cvt_f32_i32_dpp v31, v31 row_shl:1 row_mask:0xf bank_mask:0xf bound_ctrl:1
	v_cvt_f32_i32_dpp v27, v27 row_shl:1 row_mask:0xf bank_mask:0xf bound_ctrl:1
	;; [unrolled: 1-line block ×4, first 2 shown]
	v_mov_b32_dpp v39, v45 row_bcast:31 row_mask:0xf bank_mask:0xf bound_ctrl:1
	v_cvt_f32_i32_dpp v45, v35 row_shl:8 row_mask:0xf bank_mask:0xf bound_ctrl:1
	v_mov_b32_dpp v35, v0 row_bcast:31 row_mask:0xf bank_mask:0xf bound_ctrl:1
	v_cvt_f32_i32_dpp v0, v44 row_bcast:15 row_mask:0xf bank_mask:0xf bound_ctrl:1
	v_cvt_f32_i32_dpp v33, v33 row_shl:3 row_mask:0xf bank_mask:0xf bound_ctrl:1
	v_cvt_f32_i32_dpp v29, v29 row_shl:3 row_mask:0xf bank_mask:0xf bound_ctrl:1
	v_add_f32_e32 v30, v30, v31
	v_add_f32_e32 v26, v26, v27
	;; [unrolled: 1-line block ×7, first 2 shown]
	v_cvt_i32_f32_e32 v40, v38
	v_cvt_i32_f32_e32 v0, v30
	;; [unrolled: 1-line block ×4, first 2 shown]
	v_mov_b32_dpp v36, v40 row_bcast:31 row_mask:0xf bank_mask:0xf bound_ctrl:1
	v_add_f32_e32 v40, v41, v45
	v_mov_b32_dpp v27, v0 row_bcast:31 row_mask:0xf bank_mask:0xf bound_ctrl:1
	v_cvt_f32_i32_dpp v0, v26 row_shl:4 row_mask:0xf bank_mask:0xf bound_ctrl:1
	v_cvt_i32_f32_e32 v40, v40
	v_cvt_i32_f32_e32 v23, v23
	v_cvt_f32_i32_dpp v32, v32 row_shl:4 row_mask:0xf bank_mask:0xf bound_ctrl:1
	v_add_f32_e32 v0, v28, v0
	v_cvt_i32_f32_e32 v24, v24
	v_cvt_f32_i32_dpp v40, v40 row_shr:15 row_mask:0xf bank_mask:0xf bound_ctrl:1
	v_cvt_i32_f32_e32 v25, v25
	v_cvt_i32_f32_e32 v28, v0
	v_cvt_f32_i32_dpp v23, v23 row_shl:1 row_mask:0xf bank_mask:0xf bound_ctrl:1
	v_add_f32_e32 v31, v31, v32
	v_cvt_f32_i32_dpp v24, v24 row_shl:2 row_mask:0xf bank_mask:0xf bound_ctrl:1
	v_cvt_i32_f32_e32 v33, v40
	v_cvt_i32_f32_e32 v32, v31
	v_cvt_f32_i32_dpp v25, v25 row_shl:3 row_mask:0xf bank_mask:0xf bound_ctrl:1
	v_cvt_f32_i32_dpp v28, v28 row_shl:8 row_mask:0xf bank_mask:0xf bound_ctrl:1
	v_add_f32_e32 v22, v22, v23
	v_add_f32_e32 v22, v22, v24
	v_cvt_f32_i32_dpp v29, v33 row_bcast:15 row_mask:0xf bank_mask:0xf bound_ctrl:1
	v_cvt_f32_i32_dpp v32, v32 row_shl:8 row_mask:0xf bank_mask:0xf bound_ctrl:1
	v_add_f32_e32 v22, v22, v25
	v_add_f32_e32 v0, v0, v28
	v_cvt_i32_f32_e32 v23, v22
	v_cvt_i32_f32_e32 v0, v0
	;; [unrolled: 1-line block ×4, first 2 shown]
	v_add_f32_e32 v26, v40, v29
	v_add_f32_e32 v29, v31, v32
	v_cvt_i32_f32_e32 v21, v21
	v_cvt_i32_f32_e32 v29, v29
	v_cvt_f32_i32_dpp v23, v23 row_shl:4 row_mask:0xf bank_mask:0xf bound_ctrl:1
	v_cvt_i32_f32_e32 v25, v26
	v_cvt_f32_i32_dpp v0, v0 row_shr:15 row_mask:0xf bank_mask:0xf bound_ctrl:1
	v_cvt_f32_i32_dpp v19, v19 row_shl:1 row_mask:0xf bank_mask:0xf bound_ctrl:1
	v_cvt_i32_f32_e32 v15, v15
	v_cvt_f32_i32_dpp v20, v20 row_shl:2 row_mask:0xf bank_mask:0xf bound_ctrl:1
	v_cvt_i32_f32_e32 v16, v16
	;; [unrolled: 2-line block ×3, first 2 shown]
	v_cvt_i32_f32_e32 v11, v11
	v_cvt_f32_i32_dpp v24, v29 row_shr:15 row_mask:0xf bank_mask:0xf bound_ctrl:1
	v_add_f32_e32 v29, v22, v23
	v_mov_b32_dpp v23, v25 row_bcast:31 row_mask:0xf bank_mask:0xf bound_ctrl:1
	v_cvt_i32_f32_e32 v25, v0
	v_add_f32_e32 v18, v18, v19
	v_cvt_f32_i32_dpp v15, v15 row_shl:1 row_mask:0xf bank_mask:0xf bound_ctrl:1
	v_cvt_i32_f32_e32 v7, v7
	v_add_f32_e32 v18, v18, v20
	v_cvt_f32_i32_dpp v16, v16 row_shl:2 row_mask:0xf bank_mask:0xf bound_ctrl:1
	v_cvt_i32_f32_e32 v12, v12
	v_cvt_i32_f32_e32 v8, v8
	v_add_f32_e32 v21, v18, v21
	v_cvt_f32_i32_dpp v17, v17 row_shl:3 row_mask:0xf bank_mask:0xf bound_ctrl:1
	v_cvt_f32_i32_dpp v11, v11 row_shl:1 row_mask:0xf bank_mask:0xf bound_ctrl:1
	v_cvt_i32_f32_e32 v13, v13
	v_cvt_i32_f32_e32 v9, v9
	v_cvt_f32_i32_dpp v25, v25 row_bcast:15 row_mask:0xf bank_mask:0xf bound_ctrl:1
	v_cvt_i32_f32_e32 v18, v21
	v_add_f32_e32 v14, v14, v15
	v_cvt_f32_i32_dpp v7, v7 row_shl:1 row_mask:0xf bank_mask:0xf bound_ctrl:1
	v_add_f32_e32 v14, v14, v16
	v_cvt_f32_i32_dpp v12, v12 row_shl:2 row_mask:0xf bank_mask:0xf bound_ctrl:1
	v_cvt_f32_i32_dpp v8, v8 row_shl:2 row_mask:0xf bank_mask:0xf bound_ctrl:1
	v_add_f32_e32 v15, v14, v17
	v_add_f32_e32 v10, v10, v11
	v_cvt_f32_i32_dpp v11, v13 row_shl:3 row_mask:0xf bank_mask:0xf bound_ctrl:1
	v_cvt_f32_i32_dpp v9, v9 row_shl:3 row_mask:0xf bank_mask:0xf bound_ctrl:1
	v_add_f32_e32 v19, v0, v25
	v_cvt_f32_i32_dpp v0, v18 row_shl:4 row_mask:0xf bank_mask:0xf bound_ctrl:1
	v_cvt_i32_f32_e32 v16, v15
	v_add_f32_e32 v6, v6, v7
	v_add_f32_e32 v10, v10, v12
	;; [unrolled: 1-line block ×6, first 2 shown]
	v_cvt_f32_i32_dpp v16, v16 row_shl:4 row_mask:0xf bank_mask:0xf bound_ctrl:1
	v_cvt_i32_f32_e32 v11, v10
	v_cvt_i32_f32_e32 v7, v6
	;; [unrolled: 1-line block ×3, first 2 shown]
	v_add_f32_e32 v15, v15, v16
	v_cvt_f32_i32_dpp v9, v11 row_shl:4 row_mask:0xf bank_mask:0xf bound_ctrl:1
	v_cvt_f32_i32_dpp v7, v7 row_shl:4 row_mask:0xf bank_mask:0xf bound_ctrl:1
	;; [unrolled: 1-line block ×3, first 2 shown]
	v_cvt_i32_f32_e32 v16, v15
	v_add_f32_e32 v9, v10, v9
	v_add_f32_e32 v6, v6, v7
	v_cvt_i32_f32_e32 v28, v24
	v_cvt_i32_f32_e32 v22, v29
	v_add_f32_e32 v0, v0, v21
	v_cvt_f32_i32_dpp v8, v16 row_shl:8 row_mask:0xf bank_mask:0xf bound_ctrl:1
	v_cvt_i32_f32_e32 v10, v9
	v_cvt_i32_f32_e32 v7, v6
	;; [unrolled: 1-line block ×3, first 2 shown]
	v_cvt_f32_i32_dpp v28, v28 row_bcast:15 row_mask:0xf bank_mask:0xf bound_ctrl:1
	v_cvt_f32_i32_dpp v31, v22 row_shl:8 row_mask:0xf bank_mask:0xf bound_ctrl:1
	v_add_f32_e32 v8, v15, v8
	v_cvt_f32_i32_dpp v10, v10 row_shl:8 row_mask:0xf bank_mask:0xf bound_ctrl:1
	v_cvt_f32_i32_dpp v7, v7 row_shl:8 row_mask:0xf bank_mask:0xf bound_ctrl:1
	v_cvt_f32_i32_dpp v0, v0 row_shr:15 row_mask:0xf bank_mask:0xf bound_ctrl:1
	v_cvt_i32_f32_e32 v8, v8
	v_add_f32_e32 v22, v24, v28
	v_add_f32_e32 v28, v29, v31
	;; [unrolled: 1-line block ×4, first 2 shown]
	v_cvt_i32_f32_e32 v28, v28
	v_cvt_i32_f32_e32 v11, v0
	v_cvt_f32_i32_dpp v8, v8 row_shr:15 row_mask:0xf bank_mask:0xf bound_ctrl:1
	v_cvt_i32_f32_e32 v9, v9
	v_cvt_i32_f32_e32 v6, v6
	v_cvt_f32_i32_dpp v28, v28 row_shr:15 row_mask:0xf bank_mask:0xf bound_ctrl:1
	v_cvt_f32_i32_dpp v7, v11 row_bcast:15 row_mask:0xf bank_mask:0xf bound_ctrl:1
	v_cvt_f32_i32_dpp v9, v9 row_shr:15 row_mask:0xf bank_mask:0xf bound_ctrl:1
	v_cvt_i32_f32_e32 v10, v8
	v_cvt_f32_i32_dpp v6, v6 row_shr:15 row_mask:0xf bank_mask:0xf bound_ctrl:1
	v_cvt_i32_f32_e32 v24, v22
	v_cvt_i32_f32_e32 v29, v28
	v_add_f32_e32 v15, v0, v7
	v_cvt_i32_f32_e32 v0, v9
	v_cvt_f32_i32_dpp v7, v10 row_bcast:15 row_mask:0xf bank_mask:0xf bound_ctrl:1
	v_cvt_i32_f32_e32 v10, v6
	v_mov_b32_dpp v20, v24 row_bcast:31 row_mask:0xf bank_mask:0xf bound_ctrl:1
	v_cvt_f32_i32_dpp v24, v29 row_bcast:15 row_mask:0xf bank_mask:0xf bound_ctrl:1
	v_cvt_f32_i32_dpp v0, v0 row_bcast:15 row_mask:0xf bank_mask:0xf bound_ctrl:1
	v_add_f32_e32 v12, v8, v7
	v_cvt_f32_i32_dpp v7, v10 row_bcast:15 row_mask:0xf bank_mask:0xf bound_ctrl:1
	v_add_f32_e32 v18, v28, v24
	v_add_f32_e32 v10, v9, v0
	v_cvt_i32_f32_e32 v69, v66
	v_add_f32_e32 v8, v6, v7
	v_cvt_i32_f32_e32 v25, v19
	v_cvt_i32_f32_e32 v24, v18
	;; [unrolled: 1-line block ×6, first 2 shown]
	v_mov_b32_dpp v63, v69 row_bcast:31 row_mask:0xf bank_mask:0xf bound_ctrl:1
	v_mov_b32_dpp v17, v25 row_bcast:31 row_mask:0xf bank_mask:0xf bound_ctrl:1
	v_mov_b32_dpp v14, v24 row_bcast:31 row_mask:0xf bank_mask:0xf bound_ctrl:1
	v_mov_b32_dpp v16, v11 row_bcast:31 row_mask:0xf bank_mask:0xf bound_ctrl:1
	v_mov_b32_dpp v13, v13 row_bcast:31 row_mask:0xf bank_mask:0xf bound_ctrl:1
	v_mov_b32_dpp v11, v0 row_bcast:31 row_mask:0xf bank_mask:0xf bound_ctrl:1
	v_mov_b32_dpp v9, v6 row_bcast:31 row_mask:0xf bank_mask:0xf bound_ctrl:1
	s_and_saveexec_b64 s[38:39], s[0:1]
	s_cbranch_execz .LBB289_153
; %bb.31:                               ;   in Loop: Header=BB289_12 Depth=1
	s_andn2_b64 vcc, exec, s[30:31]
	v_mov_b32_e32 v57, 0
	v_add_u32_e32 v0, 2, v122
	v_add_u32_e32 v6, 3, v122
	v_mov_b32_e32 v53, 0
	v_mov_b32_e32 v52, 0
	;; [unrolled: 1-line block ×19, first 2 shown]
	s_cbranch_vccnz .LBB289_33
; %bb.32:                               ;   in Loop: Header=BB289_12 Depth=1
	v_mul_hi_u32 v7, v122, v136
	v_mul_lo_u32 v7, v7, s16
	v_sub_u32_e32 v7, v122, v7
	v_subrev_u32_e32 v21, s16, v7
	v_cmp_le_u32_e32 vcc, s16, v7
	v_mov_b32_e32 v45, v1
	v_mov_b32_e32 v25, v1
	v_cndmask_b32_e32 v7, v7, v21, vcc
	v_subrev_u32_e32 v21, s16, v7
	v_cmp_le_u32_e32 vcc, s16, v7
	v_mov_b32_e32 v61, v1
	v_mov_b32_e32 v65, v1
	v_cndmask_b32_e32 v24, v7, v21, vcc
	v_add_u32_e32 v7, 1, v122
	v_mul_hi_u32 v21, v7, v136
	v_mul_lo_u32 v21, v21, s16
	v_sub_u32_e32 v7, v7, v21
	v_subrev_u32_e32 v21, s16, v7
	v_cmp_le_u32_e32 vcc, s16, v7
	v_add_u32_e32 v44, s49, v24
	v_lshl_add_u64 v[76:77], v[44:45], 1, s[22:23]
	v_cndmask_b32_e32 v7, v7, v21, vcc
	v_subrev_u32_e32 v21, s16, v7
	v_cmp_le_u32_e32 vcc, s16, v7
	v_lshl_add_u64 v[28:29], v[24:25], 1, s[22:23]
	v_mov_b32_e32 v69, v1
	v_cndmask_b32_e32 v60, v7, v21, vcc
	v_mul_hi_u32 v7, v0, v136
	v_mul_lo_u32 v7, v7, s16
	v_sub_u32_e32 v7, v0, v7
	v_subrev_u32_e32 v21, s16, v7
	v_cmp_le_u32_e32 vcc, s16, v7
	v_add_u32_e32 v44, s49, v60
	v_lshl_add_u64 v[78:79], v[44:45], 1, s[22:23]
	v_cndmask_b32_e32 v7, v7, v21, vcc
	v_subrev_u32_e32 v21, s16, v7
	v_cmp_le_u32_e32 vcc, s16, v7
	v_lshl_add_u64 v[32:33], v[60:61], 1, s[22:23]
	s_nop 0
	v_cndmask_b32_e32 v64, v7, v21, vcc
	v_mul_hi_u32 v7, v6, v136
	v_mul_lo_u32 v7, v7, s16
	v_sub_u32_e32 v7, v6, v7
	v_subrev_u32_e32 v21, s16, v7
	v_cmp_le_u32_e32 vcc, s16, v7
	v_add_u32_e32 v44, s49, v64
	v_lshl_add_u64 v[80:81], v[44:45], 1, s[22:23]
	v_cndmask_b32_e32 v7, v7, v21, vcc
	v_subrev_u32_e32 v21, s16, v7
	v_cmp_le_u32_e32 vcc, s16, v7
	v_lshl_add_u64 v[40:41], v[64:65], 1, s[22:23]
	s_nop 0
	v_cndmask_b32_e32 v68, v7, v21, vcc
	v_add_u32_e32 v44, s49, v68
	v_lshl_add_u64 v[72:73], v[68:69], 1, s[22:23]
	v_lshl_add_u64 v[82:83], v[44:45], 1, s[22:23]
	global_load_ushort v57, v[28:29], off
	global_load_ushort v53, v[32:33], off
	global_load_ushort v52, v[40:41], off
	global_load_ushort v7, v[72:73], off
	global_load_ushort v51, v[76:77], off
	global_load_ushort v49, v[78:79], off
	global_load_ushort v48, v[80:81], off
	global_load_ushort v45, v[82:83], off
	v_add_u32_e32 v28, s50, v24
	v_mov_b32_e32 v29, v1
	v_lshl_add_u64 v[72:73], v[28:29], 1, s[22:23]
	v_add_u32_e32 v28, s50, v60
	v_lshl_add_u64 v[76:77], v[28:29], 1, s[22:23]
	v_add_u32_e32 v28, s50, v64
	;; [unrolled: 2-line block ×7, first 2 shown]
	v_lshl_add_u64 v[88:89], v[28:29], 1, s[22:23]
	global_load_ushort v44, v[72:73], off
	global_load_ushort v41, v[76:77], off
	;; [unrolled: 1-line block ×8, first 2 shown]
	v_add_u32_e32 v24, s52, v24
	v_lshl_add_u64 v[72:73], v[24:25], 1, s[22:23]
	v_add_u32_e32 v24, s52, v60
	v_lshl_add_u64 v[60:61], v[24:25], 1, s[22:23]
	;; [unrolled: 2-line block ×4, first 2 shown]
	global_load_ushort v28, v[72:73], off
	global_load_ushort v25, v[60:61], off
	;; [unrolled: 1-line block ×4, first 2 shown]
.LBB289_33:                             ;   in Loop: Header=BB289_12 Depth=1
	v_cmp_ne_u32_e32 vcc, 0, v2
	s_and_saveexec_b64 s[8:9], vcc
	s_cbranch_execnz .LBB289_53
; %bb.34:                               ;   in Loop: Header=BB289_12 Depth=1
	s_or_b64 exec, exec, s[8:9]
	v_cmp_ne_u32_e64 s[6:7], 0, v3
	s_and_saveexec_b64 s[10:11], s[6:7]
	s_cbranch_execnz .LBB289_58
.LBB289_35:                             ;   in Loop: Header=BB289_12 Depth=1
	s_or_b64 exec, exec, s[10:11]
	v_cmp_ne_u32_e64 s[8:9], 0, v4
	s_and_saveexec_b64 s[12:13], s[8:9]
	s_cbranch_execnz .LBB289_63
.LBB289_36:                             ;   in Loop: Header=BB289_12 Depth=1
	s_or_b64 exec, exec, s[12:13]
	v_cmp_ne_u32_e64 s[10:11], 0, v5
	s_and_saveexec_b64 s[40:41], s[10:11]
	s_cbranch_execnz .LBB289_68
.LBB289_37:                             ;   in Loop: Header=BB289_12 Depth=1
	s_or_b64 exec, exec, s[40:41]
	v_add_u32_e32 v0, s27, v122
	s_and_saveexec_b64 s[40:41], vcc
	s_cbranch_execnz .LBB289_73
.LBB289_38:                             ;   in Loop: Header=BB289_12 Depth=1
	s_or_b64 exec, exec, s[40:41]
	s_and_saveexec_b64 s[40:41], s[6:7]
	s_cbranch_execnz .LBB289_78
.LBB289_39:                             ;   in Loop: Header=BB289_12 Depth=1
	s_or_b64 exec, exec, s[40:41]
	s_and_saveexec_b64 s[40:41], s[8:9]
	s_cbranch_execnz .LBB289_83
.LBB289_40:                             ;   in Loop: Header=BB289_12 Depth=1
	s_or_b64 exec, exec, s[40:41]
	s_and_saveexec_b64 s[40:41], s[10:11]
	s_cbranch_execnz .LBB289_88
.LBB289_41:                             ;   in Loop: Header=BB289_12 Depth=1
	s_or_b64 exec, exec, s[40:41]
	v_add_u32_e32 v0, s27, v0
	s_and_saveexec_b64 s[40:41], vcc
	s_cbranch_execnz .LBB289_93
.LBB289_42:                             ;   in Loop: Header=BB289_12 Depth=1
	s_or_b64 exec, exec, s[40:41]
	s_and_saveexec_b64 s[40:41], s[6:7]
	s_cbranch_execnz .LBB289_98
.LBB289_43:                             ;   in Loop: Header=BB289_12 Depth=1
	s_or_b64 exec, exec, s[40:41]
	s_and_saveexec_b64 s[40:41], s[8:9]
	s_cbranch_execnz .LBB289_103
.LBB289_44:                             ;   in Loop: Header=BB289_12 Depth=1
	s_or_b64 exec, exec, s[40:41]
	s_and_saveexec_b64 s[40:41], s[10:11]
	s_cbranch_execnz .LBB289_108
.LBB289_45:                             ;   in Loop: Header=BB289_12 Depth=1
	s_or_b64 exec, exec, s[40:41]
	v_add_u32_e32 v0, s27, v0
	s_and_saveexec_b64 s[40:41], vcc
	s_cbranch_execnz .LBB289_113
.LBB289_46:                             ;   in Loop: Header=BB289_12 Depth=1
	s_or_b64 exec, exec, s[40:41]
	s_and_saveexec_b64 s[40:41], s[6:7]
	s_cbranch_execnz .LBB289_118
.LBB289_47:                             ;   in Loop: Header=BB289_12 Depth=1
	s_or_b64 exec, exec, s[40:41]
	s_and_saveexec_b64 s[40:41], s[8:9]
	s_cbranch_execnz .LBB289_123
.LBB289_48:                             ;   in Loop: Header=BB289_12 Depth=1
	s_or_b64 exec, exec, s[40:41]
	s_and_saveexec_b64 s[40:41], s[10:11]
	s_cbranch_execnz .LBB289_128
.LBB289_49:                             ;   in Loop: Header=BB289_12 Depth=1
	s_or_b64 exec, exec, s[40:41]
	v_add_u32_e32 v0, s27, v0
	s_and_saveexec_b64 s[12:13], vcc
	s_cbranch_execnz .LBB289_133
.LBB289_50:                             ;   in Loop: Header=BB289_12 Depth=1
	s_or_b64 exec, exec, s[12:13]
	s_and_saveexec_b64 s[12:13], s[6:7]
	s_cbranch_execnz .LBB289_138
.LBB289_51:                             ;   in Loop: Header=BB289_12 Depth=1
	s_or_b64 exec, exec, s[12:13]
	s_and_saveexec_b64 s[6:7], s[8:9]
	s_cbranch_execnz .LBB289_143
.LBB289_52:                             ;   in Loop: Header=BB289_12 Depth=1
	s_or_b64 exec, exec, s[6:7]
	s_and_b64 exec, exec, s[10:11]
	s_cbranch_execnz .LBB289_148
	s_branch .LBB289_153
.LBB289_53:                             ;   in Loop: Header=BB289_12 Depth=1
	v_cvt_f32_i32_e32 v60, v71
	s_waitcnt vmcnt(19)
	v_lshlrev_b32_e32 v57, 16, v57
	v_add_f32_e32 v60, v74, v60
	v_add_f32_e32 v60, v60, v57
	v_and_b32_e32 v57, 0x7f800000, v60
	v_cmp_ne_u32_e64 s[6:7], s58, v57
                                        ; implicit-def: $vgpr57
	s_and_saveexec_b64 s[10:11], s[6:7]
	s_xor_b64 s[6:7], exec, s[10:11]
; %bb.54:                               ;   in Loop: Header=BB289_12 Depth=1
	v_bfe_u32 v57, v60, 16, 1
	v_add3_u32 v57, v60, v57, s59
                                        ; implicit-def: $vgpr60
; %bb.55:                               ;   in Loop: Header=BB289_12 Depth=1
	s_andn2_saveexec_b64 s[10:11], s[6:7]
; %bb.56:                               ;   in Loop: Header=BB289_12 Depth=1
	v_or_b32_e32 v57, 0x10000, v60
	v_cmp_eq_u32_sdwa s[6:7], v60, v1 src0_sel:WORD_0 src1_sel:DWORD
	s_nop 1
	v_cndmask_b32_e64 v57, v57, v60, s[6:7]
; %bb.57:                               ;   in Loop: Header=BB289_12 Depth=1
	s_or_b64 exec, exec, s[10:11]
	v_mov_b32_e32 v123, v1
	v_lshl_add_u64 v[60:61], v[122:123], 1, s[14:15]
	global_store_short_d16_hi v[60:61], v57, off
	s_or_b64 exec, exec, s[8:9]
	v_cmp_ne_u32_e64 s[6:7], 0, v3
	s_and_saveexec_b64 s[10:11], s[6:7]
	s_cbranch_execz .LBB289_35
.LBB289_58:                             ;   in Loop: Header=BB289_12 Depth=1
	s_waitcnt vmcnt(19)
	v_cvt_f32_i32_e32 v57, v67
	s_waitcnt vmcnt(18)
	v_lshlrev_b32_e32 v53, 16, v53
	v_add_f32_e32 v57, v70, v57
	v_add_f32_e32 v57, v57, v53
	v_and_b32_e32 v53, 0x7f800000, v57
	v_cmp_ne_u32_e64 s[8:9], s58, v53
                                        ; implicit-def: $vgpr53
	s_and_saveexec_b64 s[12:13], s[8:9]
	s_xor_b64 s[8:9], exec, s[12:13]
; %bb.59:                               ;   in Loop: Header=BB289_12 Depth=1
	v_bfe_u32 v53, v57, 16, 1
	v_add3_u32 v53, v57, v53, s59
                                        ; implicit-def: $vgpr57
; %bb.60:                               ;   in Loop: Header=BB289_12 Depth=1
	s_andn2_saveexec_b64 s[12:13], s[8:9]
; %bb.61:                               ;   in Loop: Header=BB289_12 Depth=1
	v_or_b32_e32 v53, 0x10000, v57
	v_cmp_eq_u32_sdwa s[8:9], v57, v1 src0_sel:WORD_0 src1_sel:DWORD
	s_nop 1
	v_cndmask_b32_e64 v53, v53, v57, s[8:9]
; %bb.62:                               ;   in Loop: Header=BB289_12 Depth=1
	s_or_b64 exec, exec, s[12:13]
	v_mov_b32_e32 v123, v1
	v_lshl_add_u64 v[60:61], v[122:123], 1, s[34:35]
	global_store_short_d16_hi v[60:61], v53, off
	s_or_b64 exec, exec, s[10:11]
	v_cmp_ne_u32_e64 s[8:9], 0, v4
	s_and_saveexec_b64 s[12:13], s[8:9]
	s_cbranch_execz .LBB289_36
.LBB289_63:                             ;   in Loop: Header=BB289_12 Depth=1
	s_waitcnt vmcnt(18)
	v_cvt_f32_i32_e32 v53, v63
	s_waitcnt vmcnt(17)
	v_lshlrev_b32_e32 v52, 16, v52
	v_add_f32_e32 v53, v66, v53
	v_add_f32_e32 v53, v53, v52
	v_and_b32_e32 v52, 0x7f800000, v53
	v_cmp_ne_u32_e64 s[10:11], s58, v52
                                        ; implicit-def: $vgpr52
	s_and_saveexec_b64 s[40:41], s[10:11]
	s_xor_b64 s[10:11], exec, s[40:41]
; %bb.64:                               ;   in Loop: Header=BB289_12 Depth=1
	v_bfe_u32 v52, v53, 16, 1
	v_add3_u32 v52, v53, v52, s59
                                        ; implicit-def: $vgpr53
; %bb.65:                               ;   in Loop: Header=BB289_12 Depth=1
	s_andn2_saveexec_b64 s[40:41], s[10:11]
; %bb.66:                               ;   in Loop: Header=BB289_12 Depth=1
	v_or_b32_e32 v52, 0x10000, v53
	v_cmp_eq_u32_sdwa s[10:11], v53, v1 src0_sel:WORD_0 src1_sel:DWORD
	s_nop 1
	v_cndmask_b32_e64 v52, v52, v53, s[10:11]
; %bb.67:                               ;   in Loop: Header=BB289_12 Depth=1
	s_or_b64 exec, exec, s[40:41]
	v_lshl_add_u64 v[60:61], v[0:1], 1, s[14:15]
	global_store_short_d16_hi v[60:61], v52, off
	s_or_b64 exec, exec, s[12:13]
	v_cmp_ne_u32_e64 s[10:11], 0, v5
	s_and_saveexec_b64 s[40:41], s[10:11]
	s_cbranch_execz .LBB289_37
.LBB289_68:                             ;   in Loop: Header=BB289_12 Depth=1
	v_cvt_f32_i32_e32 v0, v59
	s_waitcnt vmcnt(16)
	v_lshlrev_b32_e32 v7, 16, v7
	v_add_f32_e32 v0, v62, v0
	v_add_f32_e32 v7, v0, v7
	v_and_b32_e32 v0, 0x7f800000, v7
	v_cmp_ne_u32_e64 s[12:13], s58, v0
                                        ; implicit-def: $vgpr0
	s_and_saveexec_b64 s[42:43], s[12:13]
	s_xor_b64 s[12:13], exec, s[42:43]
; %bb.69:                               ;   in Loop: Header=BB289_12 Depth=1
	v_bfe_u32 v0, v7, 16, 1
	v_add3_u32 v0, v7, v0, s59
                                        ; implicit-def: $vgpr7
; %bb.70:                               ;   in Loop: Header=BB289_12 Depth=1
	s_andn2_saveexec_b64 s[42:43], s[12:13]
; %bb.71:                               ;   in Loop: Header=BB289_12 Depth=1
	v_or_b32_e32 v0, 0x10000, v7
	v_cmp_eq_u32_sdwa s[12:13], v7, v1 src0_sel:WORD_0 src1_sel:DWORD
	s_nop 1
	v_cndmask_b32_e64 v0, v0, v7, s[12:13]
; %bb.72:                               ;   in Loop: Header=BB289_12 Depth=1
	s_or_b64 exec, exec, s[42:43]
	v_mov_b32_e32 v7, v1
	v_lshl_add_u64 v[6:7], v[6:7], 1, s[14:15]
	global_store_short_d16_hi v[6:7], v0, off
	s_or_b64 exec, exec, s[40:41]
	v_add_u32_e32 v0, s27, v122
	s_and_saveexec_b64 s[40:41], vcc
	s_cbranch_execz .LBB289_38
.LBB289_73:                             ;   in Loop: Header=BB289_12 Depth=1
	v_cvt_f32_i32_e32 v6, v56
	s_waitcnt vmcnt(15)
	v_lshlrev_b32_e32 v7, 16, v51
	v_add_f32_e32 v6, v58, v6
	v_add_f32_e32 v7, v6, v7
	v_and_b32_e32 v6, 0x7f800000, v7
	v_cmp_ne_u32_e64 s[12:13], s58, v6
                                        ; implicit-def: $vgpr6
	s_and_saveexec_b64 s[42:43], s[12:13]
	s_xor_b64 s[12:13], exec, s[42:43]
; %bb.74:                               ;   in Loop: Header=BB289_12 Depth=1
	v_bfe_u32 v6, v7, 16, 1
	v_add3_u32 v6, v7, v6, s59
                                        ; implicit-def: $vgpr7
; %bb.75:                               ;   in Loop: Header=BB289_12 Depth=1
	s_andn2_saveexec_b64 s[42:43], s[12:13]
; %bb.76:                               ;   in Loop: Header=BB289_12 Depth=1
	v_or_b32_e32 v6, 0x10000, v7
	v_cmp_eq_u32_sdwa s[12:13], v7, v1 src0_sel:WORD_0 src1_sel:DWORD
	s_nop 1
	v_cndmask_b32_e64 v6, v6, v7, s[12:13]
; %bb.77:                               ;   in Loop: Header=BB289_12 Depth=1
	s_or_b64 exec, exec, s[42:43]
	v_lshl_add_u64 v[52:53], v[0:1], 1, s[14:15]
	global_store_short_d16_hi v[52:53], v6, off
	s_or_b64 exec, exec, s[40:41]
	s_and_saveexec_b64 s[40:41], s[6:7]
	s_cbranch_execz .LBB289_39
.LBB289_78:                             ;   in Loop: Header=BB289_12 Depth=1
	v_cvt_f32_i32_e32 v6, v55
	s_waitcnt vmcnt(14)
	v_lshlrev_b32_e32 v7, 16, v49
	v_add_f32_e32 v6, v54, v6
	v_add_f32_e32 v7, v6, v7
	v_and_b32_e32 v6, 0x7f800000, v7
	v_cmp_ne_u32_e64 s[12:13], s58, v6
                                        ; implicit-def: $vgpr6
	s_and_saveexec_b64 s[42:43], s[12:13]
	s_xor_b64 s[12:13], exec, s[42:43]
; %bb.79:                               ;   in Loop: Header=BB289_12 Depth=1
	v_bfe_u32 v6, v7, 16, 1
	v_add3_u32 v6, v7, v6, s59
                                        ; implicit-def: $vgpr7
; %bb.80:                               ;   in Loop: Header=BB289_12 Depth=1
	s_andn2_saveexec_b64 s[42:43], s[12:13]
; %bb.81:                               ;   in Loop: Header=BB289_12 Depth=1
	v_or_b32_e32 v6, 0x10000, v7
	v_cmp_eq_u32_sdwa s[12:13], v7, v1 src0_sel:WORD_0 src1_sel:DWORD
	s_nop 1
	v_cndmask_b32_e64 v6, v6, v7, s[12:13]
; %bb.82:                               ;   in Loop: Header=BB289_12 Depth=1
	s_or_b64 exec, exec, s[42:43]
	v_add_u32_e32 v52, 1, v0
	v_mov_b32_e32 v53, v1
	v_lshl_add_u64 v[52:53], v[52:53], 1, s[14:15]
	global_store_short_d16_hi v[52:53], v6, off
	s_or_b64 exec, exec, s[40:41]
	s_and_saveexec_b64 s[40:41], s[8:9]
	s_cbranch_execz .LBB289_40
.LBB289_83:                             ;   in Loop: Header=BB289_12 Depth=1
	v_cvt_f32_i32_e32 v6, v47
	s_waitcnt vmcnt(13)
	v_lshlrev_b32_e32 v7, 16, v48
	v_add_f32_e32 v6, v50, v6
	v_add_f32_e32 v7, v6, v7
	v_and_b32_e32 v6, 0x7f800000, v7
	v_cmp_ne_u32_e64 s[12:13], s58, v6
                                        ; implicit-def: $vgpr6
	s_and_saveexec_b64 s[42:43], s[12:13]
	s_xor_b64 s[12:13], exec, s[42:43]
; %bb.84:                               ;   in Loop: Header=BB289_12 Depth=1
	v_bfe_u32 v6, v7, 16, 1
	v_add3_u32 v6, v7, v6, s59
                                        ; implicit-def: $vgpr7
; %bb.85:                               ;   in Loop: Header=BB289_12 Depth=1
	s_andn2_saveexec_b64 s[42:43], s[12:13]
; %bb.86:                               ;   in Loop: Header=BB289_12 Depth=1
	v_or_b32_e32 v6, 0x10000, v7
	v_cmp_eq_u32_sdwa s[12:13], v7, v1 src0_sel:WORD_0 src1_sel:DWORD
	s_nop 1
	v_cndmask_b32_e64 v6, v6, v7, s[12:13]
; %bb.87:                               ;   in Loop: Header=BB289_12 Depth=1
	s_or_b64 exec, exec, s[42:43]
	v_add_u32_e32 v48, 2, v0
	v_mov_b32_e32 v49, v1
	v_lshl_add_u64 v[48:49], v[48:49], 1, s[14:15]
	global_store_short_d16_hi v[48:49], v6, off
	s_or_b64 exec, exec, s[40:41]
	s_and_saveexec_b64 s[40:41], s[10:11]
	s_cbranch_execz .LBB289_41
.LBB289_88:                             ;   in Loop: Header=BB289_12 Depth=1
	v_cvt_f32_i32_e32 v6, v43
	s_waitcnt vmcnt(12)
	v_lshlrev_b32_e32 v7, 16, v45
	v_add_f32_e32 v6, v46, v6
	v_add_f32_e32 v7, v6, v7
	v_and_b32_e32 v6, 0x7f800000, v7
	v_cmp_ne_u32_e64 s[12:13], s58, v6
                                        ; implicit-def: $vgpr6
	s_and_saveexec_b64 s[42:43], s[12:13]
	s_xor_b64 s[12:13], exec, s[42:43]
; %bb.89:                               ;   in Loop: Header=BB289_12 Depth=1
	v_bfe_u32 v6, v7, 16, 1
	v_add3_u32 v6, v7, v6, s59
                                        ; implicit-def: $vgpr7
; %bb.90:                               ;   in Loop: Header=BB289_12 Depth=1
	s_andn2_saveexec_b64 s[42:43], s[12:13]
; %bb.91:                               ;   in Loop: Header=BB289_12 Depth=1
	v_or_b32_e32 v6, 0x10000, v7
	v_cmp_eq_u32_sdwa s[12:13], v7, v1 src0_sel:WORD_0 src1_sel:DWORD
	s_nop 1
	v_cndmask_b32_e64 v6, v6, v7, s[12:13]
; %bb.92:                               ;   in Loop: Header=BB289_12 Depth=1
	s_or_b64 exec, exec, s[42:43]
	v_add_u32_e32 v46, 3, v0
	v_mov_b32_e32 v47, v1
	v_lshl_add_u64 v[46:47], v[46:47], 1, s[14:15]
	global_store_short_d16_hi v[46:47], v6, off
	s_or_b64 exec, exec, s[40:41]
	v_add_u32_e32 v0, s27, v0
	s_and_saveexec_b64 s[40:41], vcc
	s_cbranch_execz .LBB289_42
.LBB289_93:                             ;   in Loop: Header=BB289_12 Depth=1
	v_cvt_f32_i32_e32 v6, v39
	s_waitcnt vmcnt(11)
	v_lshlrev_b32_e32 v7, 16, v44
	v_add_f32_e32 v6, v42, v6
	v_add_f32_e32 v7, v6, v7
	v_and_b32_e32 v6, 0x7f800000, v7
	v_cmp_ne_u32_e64 s[12:13], s58, v6
                                        ; implicit-def: $vgpr6
	s_and_saveexec_b64 s[42:43], s[12:13]
	s_xor_b64 s[12:13], exec, s[42:43]
; %bb.94:                               ;   in Loop: Header=BB289_12 Depth=1
	v_bfe_u32 v6, v7, 16, 1
	v_add3_u32 v6, v7, v6, s59
                                        ; implicit-def: $vgpr7
; %bb.95:                               ;   in Loop: Header=BB289_12 Depth=1
	s_andn2_saveexec_b64 s[42:43], s[12:13]
; %bb.96:                               ;   in Loop: Header=BB289_12 Depth=1
	v_or_b32_e32 v6, 0x10000, v7
	v_cmp_eq_u32_sdwa s[12:13], v7, v1 src0_sel:WORD_0 src1_sel:DWORD
	s_nop 1
	v_cndmask_b32_e64 v6, v6, v7, s[12:13]
; %bb.97:                               ;   in Loop: Header=BB289_12 Depth=1
	s_or_b64 exec, exec, s[42:43]
	v_lshl_add_u64 v[42:43], v[0:1], 1, s[14:15]
	global_store_short_d16_hi v[42:43], v6, off
	s_or_b64 exec, exec, s[40:41]
	s_and_saveexec_b64 s[40:41], s[6:7]
	s_cbranch_execz .LBB289_43
.LBB289_98:                             ;   in Loop: Header=BB289_12 Depth=1
	v_cvt_f32_i32_e32 v6, v36
	s_waitcnt vmcnt(10)
	v_lshlrev_b32_e32 v7, 16, v41
	v_add_f32_e32 v6, v38, v6
	v_add_f32_e32 v7, v6, v7
	v_and_b32_e32 v6, 0x7f800000, v7
	v_cmp_ne_u32_e64 s[12:13], s58, v6
                                        ; implicit-def: $vgpr6
	s_and_saveexec_b64 s[42:43], s[12:13]
	s_xor_b64 s[12:13], exec, s[42:43]
; %bb.99:                               ;   in Loop: Header=BB289_12 Depth=1
	v_bfe_u32 v6, v7, 16, 1
	v_add3_u32 v6, v7, v6, s59
                                        ; implicit-def: $vgpr7
; %bb.100:                              ;   in Loop: Header=BB289_12 Depth=1
	s_andn2_saveexec_b64 s[42:43], s[12:13]
; %bb.101:                              ;   in Loop: Header=BB289_12 Depth=1
	v_or_b32_e32 v6, 0x10000, v7
	v_cmp_eq_u32_sdwa s[12:13], v7, v1 src0_sel:WORD_0 src1_sel:DWORD
	s_nop 1
	v_cndmask_b32_e64 v6, v6, v7, s[12:13]
; %bb.102:                              ;   in Loop: Header=BB289_12 Depth=1
	s_or_b64 exec, exec, s[42:43]
	v_add_u32_e32 v38, 1, v0
	v_mov_b32_e32 v39, v1
	v_lshl_add_u64 v[38:39], v[38:39], 1, s[14:15]
	global_store_short_d16_hi v[38:39], v6, off
	s_or_b64 exec, exec, s[40:41]
	s_and_saveexec_b64 s[40:41], s[8:9]
	s_cbranch_execz .LBB289_44
.LBB289_103:                            ;   in Loop: Header=BB289_12 Depth=1
	v_cvt_f32_i32_e32 v6, v35
	s_waitcnt vmcnt(9)
	v_lshlrev_b32_e32 v7, 16, v40
	v_add_f32_e32 v6, v34, v6
	v_add_f32_e32 v7, v6, v7
	v_and_b32_e32 v6, 0x7f800000, v7
	v_cmp_ne_u32_e64 s[12:13], s58, v6
                                        ; implicit-def: $vgpr6
	s_and_saveexec_b64 s[42:43], s[12:13]
	s_xor_b64 s[12:13], exec, s[42:43]
; %bb.104:                              ;   in Loop: Header=BB289_12 Depth=1
	v_bfe_u32 v6, v7, 16, 1
	v_add3_u32 v6, v7, v6, s59
                                        ; implicit-def: $vgpr7
; %bb.105:                              ;   in Loop: Header=BB289_12 Depth=1
	s_andn2_saveexec_b64 s[42:43], s[12:13]
; %bb.106:                              ;   in Loop: Header=BB289_12 Depth=1
	v_or_b32_e32 v6, 0x10000, v7
	v_cmp_eq_u32_sdwa s[12:13], v7, v1 src0_sel:WORD_0 src1_sel:DWORD
	s_nop 1
	v_cndmask_b32_e64 v6, v6, v7, s[12:13]
; %bb.107:                              ;   in Loop: Header=BB289_12 Depth=1
	s_or_b64 exec, exec, s[42:43]
	v_add_u32_e32 v34, 2, v0
	v_mov_b32_e32 v35, v1
	v_lshl_add_u64 v[34:35], v[34:35], 1, s[14:15]
	global_store_short_d16_hi v[34:35], v6, off
	s_or_b64 exec, exec, s[40:41]
	s_and_saveexec_b64 s[40:41], s[10:11]
	s_cbranch_execz .LBB289_45
.LBB289_108:                            ;   in Loop: Header=BB289_12 Depth=1
	v_cvt_f32_i32_e32 v6, v27
	s_waitcnt vmcnt(8)
	v_lshlrev_b32_e32 v7, 16, v37
	v_add_f32_e32 v6, v30, v6
	v_add_f32_e32 v7, v6, v7
	v_and_b32_e32 v6, 0x7f800000, v7
	v_cmp_ne_u32_e64 s[12:13], s58, v6
                                        ; implicit-def: $vgpr6
	s_and_saveexec_b64 s[42:43], s[12:13]
	s_xor_b64 s[12:13], exec, s[42:43]
; %bb.109:                              ;   in Loop: Header=BB289_12 Depth=1
	v_bfe_u32 v6, v7, 16, 1
	v_add3_u32 v6, v7, v6, s59
                                        ; implicit-def: $vgpr7
; %bb.110:                              ;   in Loop: Header=BB289_12 Depth=1
	s_andn2_saveexec_b64 s[42:43], s[12:13]
; %bb.111:                              ;   in Loop: Header=BB289_12 Depth=1
	v_or_b32_e32 v6, 0x10000, v7
	v_cmp_eq_u32_sdwa s[12:13], v7, v1 src0_sel:WORD_0 src1_sel:DWORD
	s_nop 1
	v_cndmask_b32_e64 v6, v6, v7, s[12:13]
; %bb.112:                              ;   in Loop: Header=BB289_12 Depth=1
	s_or_b64 exec, exec, s[42:43]
	v_add_u32_e32 v34, 3, v0
	v_mov_b32_e32 v35, v1
	v_lshl_add_u64 v[34:35], v[34:35], 1, s[14:15]
	global_store_short_d16_hi v[34:35], v6, off
	s_or_b64 exec, exec, s[40:41]
	v_add_u32_e32 v0, s27, v0
	s_and_saveexec_b64 s[40:41], vcc
	s_cbranch_execz .LBB289_46
.LBB289_113:                            ;   in Loop: Header=BB289_12 Depth=1
	v_cvt_f32_i32_e32 v6, v23
	s_waitcnt vmcnt(7)
	v_lshlrev_b32_e32 v7, 16, v33
	v_add_f32_e32 v6, v26, v6
	v_add_f32_e32 v7, v6, v7
	v_and_b32_e32 v6, 0x7f800000, v7
	v_cmp_ne_u32_e64 s[12:13], s58, v6
                                        ; implicit-def: $vgpr6
	s_and_saveexec_b64 s[42:43], s[12:13]
	s_xor_b64 s[12:13], exec, s[42:43]
; %bb.114:                              ;   in Loop: Header=BB289_12 Depth=1
	v_bfe_u32 v6, v7, 16, 1
	v_add3_u32 v6, v7, v6, s59
                                        ; implicit-def: $vgpr7
; %bb.115:                              ;   in Loop: Header=BB289_12 Depth=1
	s_andn2_saveexec_b64 s[42:43], s[12:13]
; %bb.116:                              ;   in Loop: Header=BB289_12 Depth=1
	v_or_b32_e32 v6, 0x10000, v7
	v_cmp_eq_u32_sdwa s[12:13], v7, v1 src0_sel:WORD_0 src1_sel:DWORD
	s_nop 1
	v_cndmask_b32_e64 v6, v6, v7, s[12:13]
; %bb.117:                              ;   in Loop: Header=BB289_12 Depth=1
	s_or_b64 exec, exec, s[42:43]
	v_lshl_add_u64 v[26:27], v[0:1], 1, s[14:15]
	global_store_short_d16_hi v[26:27], v6, off
	s_or_b64 exec, exec, s[40:41]
	s_and_saveexec_b64 s[40:41], s[6:7]
	s_cbranch_execz .LBB289_47
.LBB289_118:                            ;   in Loop: Header=BB289_12 Depth=1
	v_cvt_f32_i32_e32 v6, v20
	s_waitcnt vmcnt(6)
	v_lshlrev_b32_e32 v7, 16, v32
	v_add_f32_e32 v6, v22, v6
	v_add_f32_e32 v7, v6, v7
	v_and_b32_e32 v6, 0x7f800000, v7
	v_cmp_ne_u32_e64 s[12:13], s58, v6
                                        ; implicit-def: $vgpr6
	s_and_saveexec_b64 s[42:43], s[12:13]
	s_xor_b64 s[12:13], exec, s[42:43]
; %bb.119:                              ;   in Loop: Header=BB289_12 Depth=1
	v_bfe_u32 v6, v7, 16, 1
	v_add3_u32 v6, v7, v6, s59
                                        ; implicit-def: $vgpr7
; %bb.120:                              ;   in Loop: Header=BB289_12 Depth=1
	s_andn2_saveexec_b64 s[42:43], s[12:13]
; %bb.121:                              ;   in Loop: Header=BB289_12 Depth=1
	v_or_b32_e32 v6, 0x10000, v7
	v_cmp_eq_u32_sdwa s[12:13], v7, v1 src0_sel:WORD_0 src1_sel:DWORD
	s_nop 1
	v_cndmask_b32_e64 v6, v6, v7, s[12:13]
; %bb.122:                              ;   in Loop: Header=BB289_12 Depth=1
	s_or_b64 exec, exec, s[42:43]
	v_add_u32_e32 v22, 1, v0
	v_mov_b32_e32 v23, v1
	v_lshl_add_u64 v[22:23], v[22:23], 1, s[14:15]
	global_store_short_d16_hi v[22:23], v6, off
	s_or_b64 exec, exec, s[40:41]
	s_and_saveexec_b64 s[40:41], s[8:9]
	s_cbranch_execz .LBB289_48
.LBB289_123:                            ;   in Loop: Header=BB289_12 Depth=1
	v_cvt_f32_i32_e32 v6, v17
	s_waitcnt vmcnt(5)
	v_lshlrev_b32_e32 v7, 16, v31
	v_add_f32_e32 v6, v19, v6
	v_add_f32_e32 v7, v6, v7
	v_and_b32_e32 v6, 0x7f800000, v7
	v_cmp_ne_u32_e64 s[12:13], s58, v6
                                        ; implicit-def: $vgpr6
	s_and_saveexec_b64 s[42:43], s[12:13]
	s_xor_b64 s[12:13], exec, s[42:43]
; %bb.124:                              ;   in Loop: Header=BB289_12 Depth=1
	v_bfe_u32 v6, v7, 16, 1
	v_add3_u32 v6, v7, v6, s59
                                        ; implicit-def: $vgpr7
; %bb.125:                              ;   in Loop: Header=BB289_12 Depth=1
	s_andn2_saveexec_b64 s[42:43], s[12:13]
; %bb.126:                              ;   in Loop: Header=BB289_12 Depth=1
	v_or_b32_e32 v6, 0x10000, v7
	v_cmp_eq_u32_sdwa s[12:13], v7, v1 src0_sel:WORD_0 src1_sel:DWORD
	s_nop 1
	v_cndmask_b32_e64 v6, v6, v7, s[12:13]
; %bb.127:                              ;   in Loop: Header=BB289_12 Depth=1
	s_or_b64 exec, exec, s[42:43]
	v_add_u32_e32 v22, 2, v0
	v_mov_b32_e32 v23, v1
	v_lshl_add_u64 v[22:23], v[22:23], 1, s[14:15]
	global_store_short_d16_hi v[22:23], v6, off
	s_or_b64 exec, exec, s[40:41]
	s_and_saveexec_b64 s[40:41], s[10:11]
	s_cbranch_execz .LBB289_49
.LBB289_128:                            ;   in Loop: Header=BB289_12 Depth=1
	v_cvt_f32_i32_e32 v6, v14
	s_waitcnt vmcnt(4)
	v_lshlrev_b32_e32 v7, 16, v29
	v_add_f32_e32 v6, v18, v6
	v_add_f32_e32 v7, v6, v7
	v_and_b32_e32 v6, 0x7f800000, v7
	v_cmp_ne_u32_e64 s[12:13], s58, v6
                                        ; implicit-def: $vgpr6
	s_and_saveexec_b64 s[42:43], s[12:13]
	s_xor_b64 s[12:13], exec, s[42:43]
; %bb.129:                              ;   in Loop: Header=BB289_12 Depth=1
	v_bfe_u32 v6, v7, 16, 1
	v_add3_u32 v6, v7, v6, s59
                                        ; implicit-def: $vgpr7
; %bb.130:                              ;   in Loop: Header=BB289_12 Depth=1
	s_andn2_saveexec_b64 s[42:43], s[12:13]
; %bb.131:                              ;   in Loop: Header=BB289_12 Depth=1
	v_or_b32_e32 v6, 0x10000, v7
	v_cmp_eq_u32_sdwa s[12:13], v7, v1 src0_sel:WORD_0 src1_sel:DWORD
	s_nop 1
	v_cndmask_b32_e64 v6, v6, v7, s[12:13]
; %bb.132:                              ;   in Loop: Header=BB289_12 Depth=1
	s_or_b64 exec, exec, s[42:43]
	v_add_u32_e32 v18, 3, v0
	v_mov_b32_e32 v19, v1
	v_lshl_add_u64 v[18:19], v[18:19], 1, s[14:15]
	global_store_short_d16_hi v[18:19], v6, off
	s_or_b64 exec, exec, s[40:41]
	v_add_u32_e32 v0, s27, v0
	s_and_saveexec_b64 s[12:13], vcc
	s_cbranch_execz .LBB289_50
.LBB289_133:                            ;   in Loop: Header=BB289_12 Depth=1
	v_cvt_f32_i32_e32 v6, v16
	s_waitcnt vmcnt(3)
	v_lshlrev_b32_e32 v7, 16, v28
	v_add_f32_e32 v6, v15, v6
	v_add_f32_e32 v7, v6, v7
	v_and_b32_e32 v6, 0x7f800000, v7
	v_cmp_ne_u32_e32 vcc, s58, v6
                                        ; implicit-def: $vgpr6
	s_and_saveexec_b64 s[40:41], vcc
	s_xor_b64 s[40:41], exec, s[40:41]
; %bb.134:                              ;   in Loop: Header=BB289_12 Depth=1
	v_bfe_u32 v6, v7, 16, 1
	v_add3_u32 v6, v7, v6, s59
                                        ; implicit-def: $vgpr7
; %bb.135:                              ;   in Loop: Header=BB289_12 Depth=1
	s_andn2_saveexec_b64 s[40:41], s[40:41]
; %bb.136:                              ;   in Loop: Header=BB289_12 Depth=1
	v_or_b32_e32 v6, 0x10000, v7
	v_cmp_eq_u32_sdwa vcc, v7, v1 src0_sel:WORD_0 src1_sel:DWORD
	s_nop 1
	v_cndmask_b32_e32 v6, v6, v7, vcc
; %bb.137:                              ;   in Loop: Header=BB289_12 Depth=1
	s_or_b64 exec, exec, s[40:41]
	v_lshl_add_u64 v[14:15], v[0:1], 1, s[14:15]
	global_store_short_d16_hi v[14:15], v6, off
	s_or_b64 exec, exec, s[12:13]
	s_and_saveexec_b64 s[12:13], s[6:7]
	s_cbranch_execz .LBB289_51
.LBB289_138:                            ;   in Loop: Header=BB289_12 Depth=1
	v_cvt_f32_i32_e32 v6, v13
	s_waitcnt vmcnt(2)
	v_lshlrev_b32_e32 v7, 16, v25
	v_add_f32_e32 v6, v12, v6
	v_add_f32_e32 v7, v6, v7
	v_and_b32_e32 v6, 0x7f800000, v7
	v_cmp_ne_u32_e32 vcc, s58, v6
                                        ; implicit-def: $vgpr6
	s_and_saveexec_b64 s[6:7], vcc
	s_xor_b64 s[6:7], exec, s[6:7]
; %bb.139:                              ;   in Loop: Header=BB289_12 Depth=1
	v_bfe_u32 v6, v7, 16, 1
	v_add3_u32 v6, v7, v6, s59
                                        ; implicit-def: $vgpr7
; %bb.140:                              ;   in Loop: Header=BB289_12 Depth=1
	s_andn2_saveexec_b64 s[6:7], s[6:7]
; %bb.141:                              ;   in Loop: Header=BB289_12 Depth=1
	v_or_b32_e32 v6, 0x10000, v7
	v_cmp_eq_u32_sdwa vcc, v7, v1 src0_sel:WORD_0 src1_sel:DWORD
	s_nop 1
	v_cndmask_b32_e32 v6, v6, v7, vcc
; %bb.142:                              ;   in Loop: Header=BB289_12 Depth=1
	s_or_b64 exec, exec, s[6:7]
	v_add_u32_e32 v12, 1, v0
	v_mov_b32_e32 v13, v1
	v_lshl_add_u64 v[12:13], v[12:13], 1, s[14:15]
	global_store_short_d16_hi v[12:13], v6, off
	s_or_b64 exec, exec, s[12:13]
	s_and_saveexec_b64 s[6:7], s[8:9]
	s_cbranch_execz .LBB289_52
.LBB289_143:                            ;   in Loop: Header=BB289_12 Depth=1
	v_cvt_f32_i32_e32 v6, v11
	s_waitcnt vmcnt(1)
	v_lshlrev_b32_e32 v7, 16, v24
	v_add_f32_e32 v6, v10, v6
	v_add_f32_e32 v7, v6, v7
	v_and_b32_e32 v6, 0x7f800000, v7
	v_cmp_ne_u32_e32 vcc, s58, v6
                                        ; implicit-def: $vgpr6
	s_and_saveexec_b64 s[8:9], vcc
	s_xor_b64 s[8:9], exec, s[8:9]
; %bb.144:                              ;   in Loop: Header=BB289_12 Depth=1
	v_bfe_u32 v6, v7, 16, 1
	v_add3_u32 v6, v7, v6, s59
                                        ; implicit-def: $vgpr7
; %bb.145:                              ;   in Loop: Header=BB289_12 Depth=1
	s_andn2_saveexec_b64 s[8:9], s[8:9]
; %bb.146:                              ;   in Loop: Header=BB289_12 Depth=1
	v_or_b32_e32 v6, 0x10000, v7
	v_cmp_eq_u32_sdwa vcc, v7, v1 src0_sel:WORD_0 src1_sel:DWORD
	s_nop 1
	v_cndmask_b32_e32 v6, v6, v7, vcc
; %bb.147:                              ;   in Loop: Header=BB289_12 Depth=1
	s_or_b64 exec, exec, s[8:9]
	v_add_u32_e32 v10, 2, v0
	v_mov_b32_e32 v11, v1
	v_lshl_add_u64 v[10:11], v[10:11], 1, s[14:15]
	global_store_short_d16_hi v[10:11], v6, off
	s_or_b64 exec, exec, s[6:7]
	s_and_b64 exec, exec, s[10:11]
	s_cbranch_execz .LBB289_153
.LBB289_148:                            ;   in Loop: Header=BB289_12 Depth=1
	v_cvt_f32_i32_e32 v6, v9
	s_waitcnt vmcnt(0)
	v_lshlrev_b32_e32 v7, 16, v21
	v_add_f32_e32 v6, v8, v6
	v_add_f32_e32 v7, v6, v7
	v_and_b32_e32 v6, 0x7f800000, v7
	v_cmp_ne_u32_e32 vcc, s58, v6
                                        ; implicit-def: $vgpr6
	s_and_saveexec_b64 s[6:7], vcc
	s_xor_b64 s[6:7], exec, s[6:7]
; %bb.149:                              ;   in Loop: Header=BB289_12 Depth=1
	v_bfe_u32 v6, v7, 16, 1
	v_add3_u32 v6, v7, v6, s59
                                        ; implicit-def: $vgpr7
; %bb.150:                              ;   in Loop: Header=BB289_12 Depth=1
	s_andn2_saveexec_b64 s[6:7], s[6:7]
; %bb.151:                              ;   in Loop: Header=BB289_12 Depth=1
	v_or_b32_e32 v6, 0x10000, v7
	v_cmp_eq_u32_sdwa vcc, v7, v1 src0_sel:WORD_0 src1_sel:DWORD
	s_nop 1
	v_cndmask_b32_e32 v6, v6, v7, vcc
; %bb.152:                              ;   in Loop: Header=BB289_12 Depth=1
	s_or_b64 exec, exec, s[6:7]
	v_add_u32_e32 v0, 3, v0
	v_lshl_add_u64 v[8:9], v[0:1], 1, s[14:15]
	global_store_short_d16_hi v[8:9], v6, off
.LBB289_153:                            ;   in Loop: Header=BB289_12 Depth=1
	s_or_b64 exec, exec, s[38:39]
	v_add_u32_e32 v122, s48, v122
	v_add_u32_e32 v0, 4, v122
	v_cmp_gt_u32_e32 vcc, s27, v122
	v_cmp_le_u32_e64 s[6:7], s27, v0
	s_and_b64 s[6:7], vcc, s[6:7]
	s_and_saveexec_b64 s[8:9], s[6:7]
	s_cbranch_execz .LBB289_10
; %bb.154:                              ;   in Loop: Header=BB289_12 Depth=1
	v_cmp_ne_u32_e32 vcc, s17, v122
	s_and_saveexec_b64 s[10:11], vcc
	s_cbranch_execz .LBB289_9
; %bb.155:                              ;   in Loop: Header=BB289_12 Depth=1
	v_subrev_u32_e32 v0, s17, v122
	v_cmp_lt_u32_e32 vcc, 1, v0
	s_mov_b64 s[12:13], 0
	s_mov_b64 s[38:39], 0
	v_cndmask_b32_e32 v0, 1, v0, vcc
.LBB289_156:                            ;   Parent Loop BB289_12 Depth=1
                                        ; =>  This Inner Loop Header: Depth=2
	s_cmp_lg_u32 s38, 3
	s_cselect_b64 vcc, -1, 0
	s_cmp_lg_u32 s38, 2
	v_cndmask_b32_e32 v5, 0, v5, vcc
	s_cselect_b64 vcc, -1, 0
	s_cmp_lg_u32 s38, 1
	v_cndmask_b32_e32 v4, 0, v4, vcc
	;; [unrolled: 3-line block ×3, first 2 shown]
	s_cselect_b64 vcc, -1, 0
	s_add_u32 s38, s38, 1
	s_addc_u32 s39, s39, 0
	v_cmp_eq_u32_e64 s[6:7], s38, v0
	s_or_b64 s[12:13], s[6:7], s[12:13]
	v_cndmask_b32_e32 v2, 0, v2, vcc
	s_andn2_b64 exec, exec, s[12:13]
	s_cbranch_execnz .LBB289_156
; %bb.157:                              ;   in Loop: Header=BB289_12 Depth=1
	s_or_b64 exec, exec, s[12:13]
	s_branch .LBB289_9
.LBB289_158:
	s_endpgm
	.section	.rodata,"a",@progbits
	.p2align	6, 0x0
	.amdhsa_kernel _Z16wvSplitK_hf_big_I14__hip_bfloat16Li32ELi4ELi16ELi8ELi1ELi5EEviiiiiiPKT_S3_S3_PS1_ii
		.amdhsa_group_segment_fixed_size 65536
		.amdhsa_private_segment_fixed_size 0
		.amdhsa_kernarg_size 64
		.amdhsa_user_sgpr_count 2
		.amdhsa_user_sgpr_dispatch_ptr 0
		.amdhsa_user_sgpr_queue_ptr 0
		.amdhsa_user_sgpr_kernarg_segment_ptr 1
		.amdhsa_user_sgpr_dispatch_id 0
		.amdhsa_user_sgpr_kernarg_preload_length 0
		.amdhsa_user_sgpr_kernarg_preload_offset 0
		.amdhsa_user_sgpr_private_segment_size 0
		.amdhsa_uses_dynamic_stack 0
		.amdhsa_enable_private_segment 0
		.amdhsa_system_sgpr_workgroup_id_x 1
		.amdhsa_system_sgpr_workgroup_id_y 0
		.amdhsa_system_sgpr_workgroup_id_z 0
		.amdhsa_system_sgpr_workgroup_info 0
		.amdhsa_system_vgpr_workitem_id 1
		.amdhsa_next_free_vgpr 140
		.amdhsa_next_free_sgpr 60
		.amdhsa_accum_offset 140
		.amdhsa_reserve_vcc 1
		.amdhsa_float_round_mode_32 0
		.amdhsa_float_round_mode_16_64 0
		.amdhsa_float_denorm_mode_32 3
		.amdhsa_float_denorm_mode_16_64 3
		.amdhsa_dx10_clamp 1
		.amdhsa_ieee_mode 1
		.amdhsa_fp16_overflow 0
		.amdhsa_tg_split 0
		.amdhsa_exception_fp_ieee_invalid_op 0
		.amdhsa_exception_fp_denorm_src 0
		.amdhsa_exception_fp_ieee_div_zero 0
		.amdhsa_exception_fp_ieee_overflow 0
		.amdhsa_exception_fp_ieee_underflow 0
		.amdhsa_exception_fp_ieee_inexact 0
		.amdhsa_exception_int_div_zero 0
	.end_amdhsa_kernel
	.section	.text._Z16wvSplitK_hf_big_I14__hip_bfloat16Li32ELi4ELi16ELi8ELi1ELi5EEviiiiiiPKT_S3_S3_PS1_ii,"axG",@progbits,_Z16wvSplitK_hf_big_I14__hip_bfloat16Li32ELi4ELi16ELi8ELi1ELi5EEviiiiiiPKT_S3_S3_PS1_ii,comdat
.Lfunc_end289:
	.size	_Z16wvSplitK_hf_big_I14__hip_bfloat16Li32ELi4ELi16ELi8ELi1ELi5EEviiiiiiPKT_S3_S3_PS1_ii, .Lfunc_end289-_Z16wvSplitK_hf_big_I14__hip_bfloat16Li32ELi4ELi16ELi8ELi1ELi5EEviiiiiiPKT_S3_S3_PS1_ii
                                        ; -- End function
	.section	.AMDGPU.csdata,"",@progbits
; Kernel info:
; codeLenInByte = 8792
; NumSgprs: 66
; NumVgprs: 140
; NumAgprs: 0
; TotalNumVgprs: 140
; ScratchSize: 0
; MemoryBound: 0
; FloatMode: 240
; IeeeMode: 1
; LDSByteSize: 65536 bytes/workgroup (compile time only)
; SGPRBlocks: 8
; VGPRBlocks: 17
; NumSGPRsForWavesPerEU: 66
; NumVGPRsForWavesPerEU: 140
; AccumOffset: 140
; Occupancy: 2
; WaveLimiterHint : 0
; COMPUTE_PGM_RSRC2:SCRATCH_EN: 0
; COMPUTE_PGM_RSRC2:USER_SGPR: 2
; COMPUTE_PGM_RSRC2:TRAP_HANDLER: 0
; COMPUTE_PGM_RSRC2:TGID_X_EN: 1
; COMPUTE_PGM_RSRC2:TGID_Y_EN: 0
; COMPUTE_PGM_RSRC2:TGID_Z_EN: 0
; COMPUTE_PGM_RSRC2:TIDIG_COMP_CNT: 1
; COMPUTE_PGM_RSRC3_GFX90A:ACCUM_OFFSET: 34
; COMPUTE_PGM_RSRC3_GFX90A:TG_SPLIT: 0
	.section	.text._Z16wvSplitK_hf_sml_I14__hip_bfloat16Li32ELi4ELi16ELi8ELi2ELi5EEviiiiiiPKT_S3_S3_PS1_ii,"axG",@progbits,_Z16wvSplitK_hf_sml_I14__hip_bfloat16Li32ELi4ELi16ELi8ELi2ELi5EEviiiiiiPKT_S3_S3_PS1_ii,comdat
	.protected	_Z16wvSplitK_hf_sml_I14__hip_bfloat16Li32ELi4ELi16ELi8ELi2ELi5EEviiiiiiPKT_S3_S3_PS1_ii ; -- Begin function _Z16wvSplitK_hf_sml_I14__hip_bfloat16Li32ELi4ELi16ELi8ELi2ELi5EEviiiiiiPKT_S3_S3_PS1_ii
	.globl	_Z16wvSplitK_hf_sml_I14__hip_bfloat16Li32ELi4ELi16ELi8ELi2ELi5EEviiiiiiPKT_S3_S3_PS1_ii
	.p2align	8
	.type	_Z16wvSplitK_hf_sml_I14__hip_bfloat16Li32ELi4ELi16ELi8ELi2ELi5EEviiiiiiPKT_S3_S3_PS1_ii,@function
_Z16wvSplitK_hf_sml_I14__hip_bfloat16Li32ELi4ELi16ELi8ELi2ELi5EEviiiiiiPKT_S3_S3_PS1_ii: ; @_Z16wvSplitK_hf_sml_I14__hip_bfloat16Li32ELi4ELi16ELi8ELi2ELi5EEviiiiiiPKT_S3_S3_PS1_ii
; %bb.0:
	s_load_dwordx4 s[4:7], s[0:1], 0x0
	v_and_b32_e32 v4, 0x3ff, v0
	v_bfe_u32 v5, v0, 10, 10
	v_lshlrev_b32_e32 v164, 3, v4
	v_lshl_add_u32 v6, v5, 8, v164
	s_waitcnt lgkmcnt(0)
	s_mul_i32 s3, s6, 5
	s_min_u32 s3, s3, 0x8000
	v_cmp_gt_u32_e32 vcc, s3, v6
	s_and_saveexec_b64 s[8:9], vcc
	s_cbranch_execz .LBB290_9
; %bb.1:
	s_load_dwordx2 s[10:11], s[0:1], 0x20
	v_lshlrev_b32_e32 v0, 1, v6
	v_add_u32_e32 v1, 0x1000, v6
	v_cmp_gt_u32_e32 vcc, s3, v1
	s_waitcnt lgkmcnt(0)
	global_load_dwordx4 v[8:11], v0, s[10:11]
	s_waitcnt vmcnt(0)
	ds_write_b128 v0, v[8:11]
	s_and_saveexec_b64 s[12:13], vcc
	s_xor_b64 s[12:13], exec, s[12:13]
	s_cbranch_execz .LBB290_9
; %bb.2:
	v_mov_b32_e32 v1, 0
	v_lshl_add_u64 v[2:3], s[10:11], 0, v[0:1]
	v_add_co_u32_e32 v8, vcc, 0x2000, v2
	v_add_u32_e32 v1, 0x2000, v6
	s_nop 0
	v_addc_co_u32_e32 v9, vcc, 0, v3, vcc
	global_load_dwordx4 v[8:11], v[8:9], off
	v_cmp_gt_u32_e32 vcc, s3, v1
	s_waitcnt vmcnt(0)
	ds_write_b128 v0, v[8:11] offset:8192
	s_and_saveexec_b64 s[10:11], vcc
	s_xor_b64 s[10:11], exec, s[10:11]
	s_cbranch_execz .LBB290_9
; %bb.3:
	v_add_co_u32_e32 v8, vcc, 0x4000, v2
	v_add_u32_e32 v1, 0x3000, v6
	s_nop 0
	v_addc_co_u32_e32 v9, vcc, 0, v3, vcc
	global_load_dwordx4 v[8:11], v[8:9], off
	v_cmp_gt_u32_e32 vcc, s3, v1
	s_waitcnt vmcnt(0)
	ds_write_b128 v0, v[8:11] offset:16384
	s_and_saveexec_b64 s[10:11], vcc
	s_xor_b64 s[10:11], exec, s[10:11]
	s_cbranch_execz .LBB290_9
; %bb.4:
	;; [unrolled: 12-line block ×6, first 2 shown]
	v_add_co_u32_e32 v2, vcc, 0xe000, v2
	s_nop 1
	v_addc_co_u32_e32 v3, vcc, 0, v3, vcc
	global_load_dwordx4 v[6:9], v[2:3], off
	s_waitcnt vmcnt(0)
	ds_write_b128 v0, v[6:9] offset:57344
.LBB290_9:
	s_or_b64 exec, exec, s[8:9]
	s_load_dwordx2 s[16:17], s[0:1], 0x38
	s_waitcnt lgkmcnt(0)
	s_barrier
	v_cmp_gt_u32_e32 vcc, s16, v5
	s_and_saveexec_b64 s[8:9], vcc
	s_cbranch_execz .LBB290_104
; %bb.10:
	s_load_dwordx2 s[12:13], s[0:1], 0x10
	s_mul_i32 s2, s2, s16
	v_add_lshl_u32 v144, s2, v5, 2
	v_cmp_gt_u32_e32 vcc, s7, v144
	s_and_b64 exec, exec, vcc
	s_cbranch_execz .LBB290_104
; %bb.11:
	s_load_dwordx4 s[8:11], s[0:1], 0x28
	s_load_dwordx2 s[14:15], s[0:1], 0x18
	s_cmp_lg_u32 s4, 0
	s_cselect_b64 s[2:3], -1, 0
	s_add_i32 s24, s4, -8
	s_add_i32 s25, s7, -1
	s_waitcnt lgkmcnt(0)
	s_cmp_lg_u64 s[8:9], 0
	s_cselect_b64 s[18:19], -1, 0
	s_abs_i32 s21, s13
	v_cvt_f32_u32_e32 v0, s12
	v_cvt_f32_u32_e32 v1, s21
	s_mul_i32 s20, s16, s17
	s_lshl_b32 s13, s20, 2
	v_rcp_iflag_f32_e32 v0, v0
	v_rcp_iflag_f32_e32 v1, v1
	s_sub_i32 s20, 0, s12
	v_cmp_eq_u32_e64 s[0:1], 31, v4
	v_mul_f32_e32 v0, 0x4f7ffffe, v0
	v_mul_f32_e32 v1, 0x4f7ffffe, v1
	v_cvt_u32_f32_e32 v0, v0
	v_cvt_u32_f32_e32 v1, v1
	s_mov_b64 s[16:17], 0
	v_mov_b32_e32 v147, 0
	v_mul_lo_u32 v2, s20, v0
	s_sub_i32 s20, 0, s21
	v_readfirstlane_b32 s22, v1
	s_mul_i32 s20, s20, s22
	s_mul_hi_u32 s20, s22, s20
	s_add_i32 s22, s22, s20
	s_sub_i32 s20, 1, s21
	s_cmp_lt_u32 s21, 2
	s_cselect_b32 s20, s20, 1
	s_sub_i32 s23, s20, s21
	s_cmp_ge_u32 s20, s21
	s_cselect_b32 s26, s23, s20
	s_lshr_b32 s20, s22, 31
	s_mul_i32 s20, s20, s21
	s_sub_i32 s20, 2, s20
	s_sub_i32 s23, s20, s21
	s_cmp_ge_u32 s20, s21
	s_cselect_b32 s20, s23, s20
	s_sub_i32 s23, s20, s21
	s_cmp_ge_u32 s20, s21
	s_cselect_b32 s27, s23, s20
	s_mul_hi_u32 s20, s22, 3
	s_mul_i32 s20, s20, s21
	s_sub_i32 s20, 3, s20
	s_sub_i32 s23, s20, s21
	s_cmp_ge_u32 s20, s21
	s_cselect_b32 s20, s23, s20
	s_sub_i32 s23, s20, s21
	s_cmp_ge_u32 s20, s21
	s_cselect_b32 s28, s23, s20
	s_lshr_b32 s20, s22, 30
	s_mul_i32 s20, s20, s21
	s_sub_i32 s20, 4, s20
	s_sub_i32 s22, s20, s21
	s_cmp_ge_u32 s20, s21
	s_cselect_b32 s20, s22, s20
	s_sub_i32 s22, s20, s21
	v_mul_hi_u32 v2, v0, v2
	s_cmp_ge_u32 s20, s21
	v_add_u32_e32 v165, v0, v2
	s_cselect_b32 s29, s22, s20
	v_cndmask_b32_e64 v0, 0, 1, s[2:3]
	s_mul_i32 s26, s26, s12
	s_mul_i32 s27, s27, s12
	;; [unrolled: 1-line block ×4, first 2 shown]
	s_lshl_b32 s30, s6, 3
	v_lshlrev_b32_e32 v166, 4, v4
	s_mul_i32 s31, s6, 6
	s_lshl_b32 s33, s6, 2
	s_lshl_b32 s6, s6, 1
	v_cmp_ne_u32_e64 s[2:3], 1, v0
	s_mov_b32 s34, 0x7f800000
	s_movk_i32 s35, 0x7fff
	s_branch .LBB290_14
.LBB290_12:                             ;   in Loop: Header=BB290_14 Depth=1
	s_or_b64 exec, exec, s[22:23]
	global_store_short_d16_hi v[0:1], v3, off offset:6
.LBB290_13:                             ;   in Loop: Header=BB290_14 Depth=1
	s_or_b64 exec, exec, s[20:21]
	v_add_u32_e32 v144, s13, v144
	v_cmp_le_u32_e32 vcc, s7, v144
	s_or_b64 s[16:17], vcc, s[16:17]
	s_andn2_b64 exec, exec, s[16:17]
	s_cbranch_execz .LBB290_104
.LBB290_14:                             ; =>This Loop Header: Depth=1
                                        ;     Child Loop BB290_18 Depth 2
	s_and_b64 vcc, exec, s[2:3]
	v_mov_b32_e32 v11, v147
	v_mov_b32_e32 v10, v147
	;; [unrolled: 1-line block ×80, first 2 shown]
	s_cbranch_vccnz .LBB290_21
; %bb.15:                               ;   in Loop: Header=BB290_14 Depth=1
	v_min_u32_e32 v0, s25, v144
	v_mul_lo_u32 v146, v0, s5
	v_or_b32_e32 v0, 1, v144
	v_or_b32_e32 v2, 2, v144
	;; [unrolled: 1-line block ×3, first 2 shown]
	v_min_u32_e32 v0, s25, v0
	v_min_u32_e32 v2, s25, v2
	;; [unrolled: 1-line block ×3, first 2 shown]
	v_mul_lo_u32 v0, v0, s5
	v_mov_b32_e32 v1, v147
	v_mul_lo_u32 v2, v2, s5
	v_mov_b32_e32 v3, v147
	;; [unrolled: 2-line block ×3, first 2 shown]
	v_mov_b32_e32 v33, 0
	s_mov_b32 s36, 0
	v_lshlrev_b64 v[148:149], 1, v[146:147]
	v_lshlrev_b64 v[150:151], 1, v[0:1]
	;; [unrolled: 1-line block ×4, first 2 shown]
	v_mov_b32_e32 v145, v166
	v_mov_b32_e32 v32, 0
	;; [unrolled: 1-line block ×80, first 2 shown]
	s_branch .LBB290_18
.LBB290_16:                             ;   in Loop: Header=BB290_18 Depth=2
	s_or_b64 exec, exec, s[22:23]
.LBB290_17:                             ;   in Loop: Header=BB290_18 Depth=2
	s_or_b64 exec, exec, s[20:21]
	s_waitcnt vmcnt(7) lgkmcnt(1)
	v_mfma_f32_4x4x4_16b_bf16 v[76:79], v[140:141], v[104:105], v[76:79]
	s_addk_i32 s36, 0x200
	s_waitcnt vmcnt(6)
	v_mfma_f32_4x4x4_16b_bf16 v[72:75], v[140:141], v[100:101], v[72:75]
	v_add_u32_e32 v145, 0x400, v145
	s_waitcnt vmcnt(5)
	v_mfma_f32_4x4x4_16b_bf16 v[68:71], v[140:141], v[112:113], v[68:71]
	s_cmp_ge_u32 s36, s4
	s_waitcnt vmcnt(4)
	v_mfma_f32_4x4x4_16b_bf16 v[64:67], v[140:141], v[108:109], v[64:67]
	v_mfma_f32_4x4x4_16b_bf16 v[60:63], v[136:137], v[104:105], v[60:63]
	;; [unrolled: 1-line block ×13, first 2 shown]
	s_waitcnt lgkmcnt(0)
	v_mfma_f32_4x4x4_16b_bf16 v[12:15], v[124:125], v[104:105], v[12:15]
	v_mfma_f32_4x4x4_16b_bf16 v[4:7], v[124:125], v[100:101], v[4:7]
	;; [unrolled: 1-line block ×24, first 2 shown]
	s_waitcnt vmcnt(3)
	v_mfma_f32_4x4x4_16b_bf16 v[76:79], v[128:129], v[92:93], v[76:79]
	s_waitcnt vmcnt(2)
	v_mfma_f32_4x4x4_16b_bf16 v[72:75], v[128:129], v[88:89], v[72:75]
	;; [unrolled: 2-line block ×4, first 2 shown]
	v_mfma_f32_4x4x4_16b_bf16 v[60:63], v[120:121], v[92:93], v[60:63]
	v_mfma_f32_4x4x4_16b_bf16 v[56:59], v[120:121], v[88:89], v[56:59]
	v_mfma_f32_4x4x4_16b_bf16 v[52:55], v[120:121], v[96:97], v[52:55]
	v_mfma_f32_4x4x4_16b_bf16 v[48:51], v[120:121], v[80:81], v[48:51]
	v_mfma_f32_4x4x4_16b_bf16 v[44:47], v[158:159], v[92:93], v[44:47]
	v_mfma_f32_4x4x4_16b_bf16 v[40:43], v[158:159], v[88:89], v[40:43]
	v_mfma_f32_4x4x4_16b_bf16 v[36:39], v[158:159], v[96:97], v[36:39]
	v_mfma_f32_4x4x4_16b_bf16 v[32:35], v[158:159], v[80:81], v[32:35]
	v_mfma_f32_4x4x4_16b_bf16 v[28:31], v[116:117], v[92:93], v[28:31]
	v_mfma_f32_4x4x4_16b_bf16 v[24:27], v[116:117], v[88:89], v[24:27]
	v_mfma_f32_4x4x4_16b_bf16 v[20:23], v[116:117], v[96:97], v[20:23]
	v_mfma_f32_4x4x4_16b_bf16 v[16:19], v[116:117], v[80:81], v[16:19]
	v_mfma_f32_4x4x4_16b_bf16 v[12:15], v[84:85], v[92:93], v[12:15]
	v_mfma_f32_4x4x4_16b_bf16 v[4:7], v[84:85], v[88:89], v[4:7]
	v_mfma_f32_4x4x4_16b_bf16 v[0:3], v[84:85], v[96:97], v[0:3]
	v_mfma_f32_4x4x4_16b_bf16 v[8:11], v[84:85], v[80:81], v[8:11]
	v_mfma_f32_4x4x4_16b_bf16 v[76:79], v[130:131], v[94:95], v[76:79]
	v_mfma_f32_4x4x4_16b_bf16 v[72:75], v[130:131], v[90:91], v[72:75]
	v_mfma_f32_4x4x4_16b_bf16 v[68:71], v[130:131], v[98:99], v[68:71]
	v_mfma_f32_4x4x4_16b_bf16 v[64:67], v[130:131], v[82:83], v[64:67]
	v_mfma_f32_4x4x4_16b_bf16 v[60:63], v[122:123], v[94:95], v[60:63]
	v_mfma_f32_4x4x4_16b_bf16 v[56:59], v[122:123], v[90:91], v[56:59]
	v_mfma_f32_4x4x4_16b_bf16 v[52:55], v[122:123], v[98:99], v[52:55]
	v_mfma_f32_4x4x4_16b_bf16 v[48:51], v[122:123], v[82:83], v[48:51]
	v_mfma_f32_4x4x4_16b_bf16 v[44:47], v[156:157], v[94:95], v[44:47]
	v_mfma_f32_4x4x4_16b_bf16 v[40:43], v[156:157], v[90:91], v[40:43]
	v_mfma_f32_4x4x4_16b_bf16 v[36:39], v[156:157], v[98:99], v[36:39]
	v_mfma_f32_4x4x4_16b_bf16 v[32:35], v[156:157], v[82:83], v[32:35]
	v_mfma_f32_4x4x4_16b_bf16 v[28:31], v[118:119], v[94:95], v[28:31]
	v_mfma_f32_4x4x4_16b_bf16 v[24:27], v[118:119], v[90:91], v[24:27]
	v_mfma_f32_4x4x4_16b_bf16 v[20:23], v[118:119], v[98:99], v[20:23]
	v_mfma_f32_4x4x4_16b_bf16 v[16:19], v[118:119], v[82:83], v[16:19]
	v_mfma_f32_4x4x4_16b_bf16 v[12:15], v[86:87], v[94:95], v[12:15]
	v_mfma_f32_4x4x4_16b_bf16 v[4:7], v[86:87], v[90:91], v[4:7]
	v_mfma_f32_4x4x4_16b_bf16 v[0:3], v[86:87], v[98:99], v[0:3]
	v_mfma_f32_4x4x4_16b_bf16 v[8:11], v[86:87], v[82:83], v[8:11]
	s_cbranch_scc1 .LBB290_21
.LBB290_18:                             ;   Parent Loop BB290_14 Depth=1
                                        ; =>  This Inner Loop Header: Depth=2
	v_add_u32_e32 v86, s36, v164
	v_min_u32_e32 v146, s24, v86
	v_lshl_add_u64 v[80:81], v[146:147], 1, s[14:15]
	v_lshl_add_u64 v[82:83], v[80:81], 0, v[148:149]
	v_add_u32_e32 v167, 0x100, v86
	v_lshl_add_u64 v[84:85], v[80:81], 0, v[150:151]
	global_load_dwordx4 v[104:107], v[82:83], off nt
	global_load_dwordx4 v[100:103], v[84:85], off nt
	v_lshl_add_u64 v[82:83], v[80:81], 0, v[152:153]
	v_lshl_add_u64 v[80:81], v[80:81], 0, v[154:155]
	v_min_u32_e32 v146, s24, v167
	global_load_dwordx4 v[112:115], v[82:83], off nt
	global_load_dwordx4 v[108:111], v[80:81], off nt
	v_lshl_add_u64 v[80:81], v[146:147], 1, s[14:15]
	v_lshl_add_u64 v[82:83], v[80:81], 0, v[148:149]
	;; [unrolled: 1-line block ×3, first 2 shown]
	global_load_dwordx4 v[92:95], v[82:83], off nt
	global_load_dwordx4 v[88:91], v[84:85], off nt
	v_lshl_add_u64 v[82:83], v[80:81], 0, v[152:153]
	v_lshl_add_u64 v[80:81], v[80:81], 0, v[154:155]
	global_load_dwordx4 v[96:99], v[82:83], off nt
	s_nop 0
	global_load_dwordx4 v[80:83], v[80:81], off nt
	v_cmp_gt_u32_e32 vcc, s4, v86
	v_mov_b32_e32 v86, 0
	v_mov_b32_e32 v87, 0
	;; [unrolled: 1-line block ×40, first 2 shown]
	s_and_saveexec_b64 s[20:21], vcc
	s_cbranch_execz .LBB290_17
; %bb.19:                               ;   in Loop: Header=BB290_18 Depth=2
	v_add_u32_e32 v170, s6, v145
	v_add_u32_e32 v146, s33, v145
	ds_read_b128 v[136:139], v170
	ds_read2_b32 v[162:163], v146 offset1:1
	v_add_u32_e32 v169, s31, v145
	ds_read2_b32 v[160:161], v146 offset0:2 offset1:3
	ds_read_b128 v[132:135], v169
	v_add_u32_e32 v168, s30, v145
	ds_read_b128 v[140:143], v145
	ds_read2_b64 v[124:127], v168 offset1:1
	v_cmp_gt_u32_e32 vcc, s4, v167
	v_mov_b32_e32 v129, 0
	v_mov_b32_e32 v128, 0
	;; [unrolled: 1-line block ×20, first 2 shown]
	s_and_saveexec_b64 s[22:23], vcc
	s_cbranch_execz .LBB290_16
; %bb.20:                               ;   in Loop: Header=BB290_18 Depth=2
	ds_read_b128 v[120:123], v170 offset:512
	ds_read2_b32 v[158:159], v146 offset0:128 offset1:129
	ds_read2_b32 v[156:157], v146 offset0:130 offset1:131
	ds_read_b128 v[116:119], v169 offset:512
	ds_read_b128 v[128:131], v145 offset:512
	ds_read2_b64 v[84:87], v168 offset0:64 offset1:65
	s_branch .LBB290_16
.LBB290_21:                             ;   in Loop: Header=BB290_14 Depth=1
	; sched_barrier mask(0x00000000)
	v_cvt_i32_f32_e32 v77, v77
	v_cvt_i32_f32_e32 v78, v78
	;; [unrolled: 1-line block ×4, first 2 shown]
	v_cvt_f32_i32_dpp v77, v77 row_shl:1 row_mask:0xf bank_mask:0xf bound_ctrl:1
	v_cvt_f32_i32_dpp v78, v78 row_shl:2 row_mask:0xf bank_mask:0xf bound_ctrl:1
	v_cvt_f32_i32_dpp v79, v79 row_shl:3 row_mask:0xf bank_mask:0xf bound_ctrl:1
	v_cvt_i32_f32_e32 v74, v74
	v_add_f32_e32 v76, v76, v77
	v_add_f32_e32 v76, v76, v78
	v_add_f32_e32 v76, v76, v79
	v_cvt_i32_f32_e32 v77, v76
	v_cvt_i32_f32_e32 v75, v75
	v_cvt_f32_i32_dpp v73, v73 row_shl:1 row_mask:0xf bank_mask:0xf bound_ctrl:1
	v_cvt_f32_i32_dpp v74, v74 row_shl:2 row_mask:0xf bank_mask:0xf bound_ctrl:1
	;; [unrolled: 1-line block ×4, first 2 shown]
	v_add_f32_e32 v72, v72, v73
	v_cvt_i32_f32_e32 v69, v69
	v_add_f32_e32 v73, v76, v77
	v_cvt_i32_f32_e32 v76, v73
	v_add_f32_e32 v72, v72, v74
	v_add_f32_e32 v72, v72, v75
	v_cvt_i32_f32_e32 v70, v70
	v_cvt_i32_f32_e32 v74, v72
	;; [unrolled: 1-line block ×3, first 2 shown]
	v_cvt_f32_i32_dpp v75, v76 row_shl:8 row_mask:0xf bank_mask:0xf bound_ctrl:1
	v_cvt_f32_i32_dpp v69, v69 row_shl:1 row_mask:0xf bank_mask:0xf bound_ctrl:1
	;; [unrolled: 1-line block ×5, first 2 shown]
	v_add_f32_e32 v73, v73, v75
	v_cvt_i32_f32_e32 v73, v73
	v_add_f32_e32 v68, v68, v69
	v_add_f32_e32 v68, v68, v70
	;; [unrolled: 1-line block ×4, first 2 shown]
	v_cvt_i32_f32_e32 v74, v72
	v_cvt_i32_f32_e32 v69, v68
	v_cvt_f32_i32_dpp v73, v73 row_shr:15 row_mask:0xf bank_mask:0xf bound_ctrl:1
	v_cvt_i32_f32_e32 v65, v65
	v_cvt_i32_f32_e32 v66, v66
	v_cvt_f32_i32_dpp v71, v74 row_shl:8 row_mask:0xf bank_mask:0xf bound_ctrl:1
	v_cvt_f32_i32_dpp v69, v69 row_shl:4 row_mask:0xf bank_mask:0xf bound_ctrl:1
	v_cvt_i32_f32_e32 v67, v67
	v_cvt_i32_f32_e32 v70, v73
	v_cvt_f32_i32_dpp v65, v65 row_shl:1 row_mask:0xf bank_mask:0xf bound_ctrl:1
	v_cvt_f32_i32_dpp v66, v66 row_shl:2 row_mask:0xf bank_mask:0xf bound_ctrl:1
	v_add_f32_e32 v71, v72, v71
	v_add_f32_e32 v69, v68, v69
	v_cvt_f32_i32_dpp v67, v67 row_shl:3 row_mask:0xf bank_mask:0xf bound_ctrl:1
	v_cvt_f32_i32_dpp v70, v70 row_bcast:15 row_mask:0xf bank_mask:0xf bound_ctrl:1
	v_cvt_i32_f32_e32 v71, v71
	v_cvt_i32_f32_e32 v72, v69
	v_add_f32_e32 v64, v64, v65
	v_add_f32_e32 v64, v64, v66
	v_add_f32_e32 v64, v64, v67
	v_add_f32_e32 v68, v73, v70
	v_cvt_f32_i32_dpp v70, v71 row_shr:15 row_mask:0xf bank_mask:0xf bound_ctrl:1
	v_cvt_f32_i32_dpp v71, v72 row_shl:8 row_mask:0xf bank_mask:0xf bound_ctrl:1
	v_cvt_i32_f32_e32 v65, v64
	v_cvt_i32_f32_e32 v61, v61
	;; [unrolled: 1-line block ×4, first 2 shown]
	v_add_f32_e32 v69, v69, v71
	v_cvt_f32_i32_dpp v71, v65 row_shl:4 row_mask:0xf bank_mask:0xf bound_ctrl:1
	v_cvt_i32_f32_e32 v66, v68
	v_cvt_i32_f32_e32 v67, v70
	v_cvt_f32_i32_dpp v61, v61 row_shl:1 row_mask:0xf bank_mask:0xf bound_ctrl:1
	v_cvt_f32_i32_dpp v62, v62 row_shl:2 row_mask:0xf bank_mask:0xf bound_ctrl:1
	;; [unrolled: 1-line block ×3, first 2 shown]
	v_add_f32_e32 v71, v64, v71
	v_mov_b32_dpp v65, v66 row_bcast:31 row_mask:0xf bank_mask:0xf bound_ctrl:1
	v_cvt_f32_i32_dpp v66, v67 row_bcast:15 row_mask:0xf bank_mask:0xf bound_ctrl:1
	v_cvt_i32_f32_e32 v72, v71
	v_add_f32_e32 v60, v60, v61
	v_add_f32_e32 v60, v60, v62
	v_cvt_i32_f32_e32 v57, v57
	v_add_f32_e32 v62, v60, v63
	v_cvt_i32_f32_e32 v58, v58
	v_cvt_i32_f32_e32 v63, v62
	;; [unrolled: 1-line block ×3, first 2 shown]
	v_add_f32_e32 v64, v70, v66
	v_cvt_f32_i32_dpp v70, v72 row_shl:8 row_mask:0xf bank_mask:0xf bound_ctrl:1
	v_cvt_i32_f32_e32 v69, v69
	v_cvt_f32_i32_dpp v57, v57 row_shl:1 row_mask:0xf bank_mask:0xf bound_ctrl:1
	v_cvt_f32_i32_dpp v58, v58 row_shl:2 row_mask:0xf bank_mask:0xf bound_ctrl:1
	;; [unrolled: 1-line block ×4, first 2 shown]
	v_add_f32_e32 v70, v71, v70
	v_cvt_f32_i32_dpp v69, v69 row_shr:15 row_mask:0xf bank_mask:0xf bound_ctrl:1
	v_cvt_i32_f32_e32 v66, v64
	v_cvt_i32_f32_e32 v70, v70
	v_add_f32_e32 v56, v56, v57
	v_add_f32_e32 v56, v56, v58
	;; [unrolled: 1-line block ×4, first 2 shown]
	v_cvt_i32_f32_e32 v63, v62
	v_cvt_i32_f32_e32 v57, v56
	;; [unrolled: 1-line block ×3, first 2 shown]
	v_mov_b32_dpp v61, v66 row_bcast:31 row_mask:0xf bank_mask:0xf bound_ctrl:1
	v_cvt_f32_i32_dpp v66, v70 row_shr:15 row_mask:0xf bank_mask:0xf bound_ctrl:1
	v_cvt_f32_i32_dpp v59, v63 row_shl:8 row_mask:0xf bank_mask:0xf bound_ctrl:1
	v_cvt_f32_i32_dpp v57, v57 row_shl:4 row_mask:0xf bank_mask:0xf bound_ctrl:1
	v_cvt_f32_i32_dpp v67, v67 row_bcast:15 row_mask:0xf bank_mask:0xf bound_ctrl:1
	v_cvt_i32_f32_e32 v58, v66
	v_add_f32_e32 v59, v62, v59
	v_add_f32_e32 v62, v56, v57
	;; [unrolled: 1-line block ×3, first 2 shown]
	v_cvt_f32_i32_dpp v58, v58 row_bcast:15 row_mask:0xf bank_mask:0xf bound_ctrl:1
	v_cvt_i32_f32_e32 v59, v59
	v_cvt_i32_f32_e32 v67, v62
	;; [unrolled: 1-line block ×4, first 2 shown]
	v_add_f32_e32 v56, v66, v58
	v_cvt_f32_i32_dpp v58, v59 row_shr:15 row_mask:0xf bank_mask:0xf bound_ctrl:1
	v_cvt_f32_i32_dpp v59, v67 row_shl:8 row_mask:0xf bank_mask:0xf bound_ctrl:1
	v_cvt_i32_f32_e32 v55, v55
	v_cvt_f32_i32_dpp v53, v53 row_shl:1 row_mask:0xf bank_mask:0xf bound_ctrl:1
	v_cvt_f32_i32_dpp v54, v54 row_shl:2 row_mask:0xf bank_mask:0xf bound_ctrl:1
	v_add_f32_e32 v59, v62, v59
	v_cvt_f32_i32_dpp v55, v55 row_shl:3 row_mask:0xf bank_mask:0xf bound_ctrl:1
	v_cvt_i32_f32_e32 v59, v59
	v_add_f32_e32 v52, v52, v53
	v_cvt_i32_f32_e32 v49, v49
	v_add_f32_e32 v52, v52, v54
	;; [unrolled: 2-line block ×3, first 2 shown]
	v_cvt_i32_f32_e32 v51, v51
	v_cvt_i32_f32_e32 v53, v52
	;; [unrolled: 1-line block ×4, first 2 shown]
	v_cvt_f32_i32_dpp v59, v59 row_shr:15 row_mask:0xf bank_mask:0xf bound_ctrl:1
	v_cvt_f32_i32_dpp v49, v49 row_shl:1 row_mask:0xf bank_mask:0xf bound_ctrl:1
	v_cvt_f32_i32_dpp v50, v50 row_shl:2 row_mask:0xf bank_mask:0xf bound_ctrl:1
	;; [unrolled: 1-line block ×4, first 2 shown]
	v_mov_b32_dpp v53, v54 row_bcast:31 row_mask:0xf bank_mask:0xf bound_ctrl:1
	v_cvt_f32_i32_dpp v54, v55 row_bcast:15 row_mask:0xf bank_mask:0xf bound_ctrl:1
	v_cvt_i32_f32_e32 v55, v59
	v_add_f32_e32 v48, v48, v49
	v_add_f32_e32 v48, v48, v50
	;; [unrolled: 1-line block ×3, first 2 shown]
	v_cvt_f32_i32_dpp v55, v55 row_bcast:15 row_mask:0xf bank_mask:0xf bound_ctrl:1
	v_cvt_i32_f32_e32 v49, v51
	v_cvt_i32_f32_e32 v63, v60
	;; [unrolled: 1-line block ×4, first 2 shown]
	v_add_f32_e32 v62, v52, v62
	v_add_f32_e32 v48, v59, v55
	v_cvt_f32_i32_dpp v59, v49 row_shl:4 row_mask:0xf bank_mask:0xf bound_ctrl:1
	v_cvt_i32_f32_e32 v47, v47
	v_mov_b32_dpp v57, v63 row_bcast:31 row_mask:0xf bank_mask:0xf bound_ctrl:1
	v_cvt_i32_f32_e32 v63, v62
	v_cvt_i32_f32_e32 v55, v48
	v_cvt_f32_i32_dpp v45, v45 row_shl:1 row_mask:0xf bank_mask:0xf bound_ctrl:1
	v_cvt_f32_i32_dpp v46, v46 row_shl:2 row_mask:0xf bank_mask:0xf bound_ctrl:1
	v_add_f32_e32 v51, v51, v59
	v_cvt_f32_i32_dpp v47, v47 row_shl:3 row_mask:0xf bank_mask:0xf bound_ctrl:1
	v_add_f32_e32 v52, v58, v54
	v_cvt_f32_i32_dpp v58, v63 row_shl:8 row_mask:0xf bank_mask:0xf bound_ctrl:1
	v_mov_b32_dpp v49, v55 row_bcast:31 row_mask:0xf bank_mask:0xf bound_ctrl:1
	v_cvt_i32_f32_e32 v55, v51
	v_add_f32_e32 v44, v44, v45
	v_add_f32_e32 v44, v44, v46
	;; [unrolled: 1-line block ×4, first 2 shown]
	v_cvt_f32_i32_dpp v55, v55 row_shl:8 row_mask:0xf bank_mask:0xf bound_ctrl:1
	v_cvt_i32_f32_e32 v44, v45
	v_cvt_i32_f32_e32 v58, v58
	;; [unrolled: 1-line block ×4, first 2 shown]
	v_add_f32_e32 v47, v51, v55
	v_cvt_f32_i32_dpp v51, v44 row_shl:4 row_mask:0xf bank_mask:0xf bound_ctrl:1
	v_cvt_i32_f32_e32 v43, v43
	v_cvt_i32_f32_e32 v54, v52
	v_cvt_f32_i32_dpp v58, v58 row_shr:15 row_mask:0xf bank_mask:0xf bound_ctrl:1
	v_cvt_f32_i32_dpp v41, v41 row_shl:1 row_mask:0xf bank_mask:0xf bound_ctrl:1
	v_cvt_f32_i32_dpp v42, v42 row_shl:2 row_mask:0xf bank_mask:0xf bound_ctrl:1
	v_add_f32_e32 v45, v45, v51
	v_cvt_f32_i32_dpp v43, v43 row_shl:3 row_mask:0xf bank_mask:0xf bound_ctrl:1
	v_mov_b32_dpp v50, v54 row_bcast:31 row_mask:0xf bank_mask:0xf bound_ctrl:1
	v_cvt_i32_f32_e32 v54, v58
	v_cvt_i32_f32_e32 v51, v45
	v_add_f32_e32 v40, v40, v41
	v_add_f32_e32 v40, v40, v42
	;; [unrolled: 1-line block ×3, first 2 shown]
	v_cvt_f32_i32_dpp v46, v54 row_bcast:15 row_mask:0xf bank_mask:0xf bound_ctrl:1
	v_cvt_f32_i32_dpp v51, v51 row_shl:8 row_mask:0xf bank_mask:0xf bound_ctrl:1
	v_cvt_i32_f32_e32 v41, v40
	v_cvt_i32_f32_e32 v47, v47
	v_add_f32_e32 v44, v58, v46
	v_add_f32_e32 v43, v45, v51
	v_cvt_f32_i32_dpp v45, v41 row_shl:4 row_mask:0xf bank_mask:0xf bound_ctrl:1
	v_cvt_i32_f32_e32 v46, v44
	v_cvt_f32_i32_dpp v47, v47 row_shr:15 row_mask:0xf bank_mask:0xf bound_ctrl:1
	v_cvt_i32_f32_e32 v37, v37
	v_add_f32_e32 v45, v40, v45
	v_cvt_i32_f32_e32 v38, v38
	v_cvt_i32_f32_e32 v42, v47
	v_mov_b32_dpp v41, v46 row_bcast:31 row_mask:0xf bank_mask:0xf bound_ctrl:1
	v_cvt_i32_f32_e32 v46, v45
	v_cvt_i32_f32_e32 v39, v39
	v_cvt_f32_i32_dpp v37, v37 row_shl:1 row_mask:0xf bank_mask:0xf bound_ctrl:1
	v_cvt_f32_i32_dpp v38, v38 row_shl:2 row_mask:0xf bank_mask:0xf bound_ctrl:1
	v_cvt_f32_i32_dpp v42, v42 row_bcast:15 row_mask:0xf bank_mask:0xf bound_ctrl:1
	v_cvt_f32_i32_dpp v46, v46 row_shl:8 row_mask:0xf bank_mask:0xf bound_ctrl:1
	v_cvt_f32_i32_dpp v39, v39 row_shl:3 row_mask:0xf bank_mask:0xf bound_ctrl:1
	v_cvt_i32_f32_e32 v43, v43
	v_add_f32_e32 v36, v36, v37
	v_add_f32_e32 v36, v36, v38
	;; [unrolled: 1-line block ×5, first 2 shown]
	v_cvt_i32_f32_e32 v42, v40
	v_cvt_i32_f32_e32 v45, v45
	v_cvt_i32_f32_e32 v36, v38
	v_cvt_f32_i32_dpp v43, v43 row_shr:15 row_mask:0xf bank_mask:0xf bound_ctrl:1
	v_cvt_i32_f32_e32 v33, v33
	v_cvt_i32_f32_e32 v34, v34
	v_mov_b32_dpp v37, v42 row_bcast:31 row_mask:0xf bank_mask:0xf bound_ctrl:1
	v_cvt_f32_i32_dpp v42, v45 row_shr:15 row_mask:0xf bank_mask:0xf bound_ctrl:1
	v_cvt_f32_i32_dpp v45, v36 row_shl:4 row_mask:0xf bank_mask:0xf bound_ctrl:1
	v_cvt_i32_f32_e32 v35, v35
	v_cvt_i32_f32_e32 v47, v43
	v_cvt_f32_i32_dpp v33, v33 row_shl:1 row_mask:0xf bank_mask:0xf bound_ctrl:1
	v_cvt_f32_i32_dpp v34, v34 row_shl:2 row_mask:0xf bank_mask:0xf bound_ctrl:1
	v_add_f32_e32 v38, v38, v45
	v_cvt_f32_i32_dpp v35, v35 row_shl:3 row_mask:0xf bank_mask:0xf bound_ctrl:1
	v_cvt_f32_i32_dpp v39, v47 row_bcast:15 row_mask:0xf bank_mask:0xf bound_ctrl:1
	v_cvt_i32_f32_e32 v45, v38
	v_add_f32_e32 v32, v32, v33
	v_add_f32_e32 v32, v32, v34
	;; [unrolled: 1-line block ×3, first 2 shown]
	v_cvt_i32_f32_e32 v29, v29
	v_add_f32_e32 v36, v43, v39
	v_cvt_i32_f32_e32 v43, v42
	v_cvt_f32_i32_dpp v45, v45 row_shl:8 row_mask:0xf bank_mask:0xf bound_ctrl:1
	v_cvt_i32_f32_e32 v32, v34
	v_cvt_i32_f32_e32 v30, v30
	;; [unrolled: 1-line block ×3, first 2 shown]
	v_cvt_f32_i32_dpp v29, v29 row_shl:1 row_mask:0xf bank_mask:0xf bound_ctrl:1
	v_cvt_f32_i32_dpp v35, v43 row_bcast:15 row_mask:0xf bank_mask:0xf bound_ctrl:1
	v_add_f32_e32 v33, v38, v45
	v_cvt_f32_i32_dpp v43, v32 row_shl:4 row_mask:0xf bank_mask:0xf bound_ctrl:1
	v_cvt_f32_i32_dpp v30, v30 row_shl:2 row_mask:0xf bank_mask:0xf bound_ctrl:1
	v_cvt_i32_f32_e32 v38, v33
	v_cvt_f32_i32_dpp v31, v31 row_shl:3 row_mask:0xf bank_mask:0xf bound_ctrl:1
	v_add_f32_e32 v28, v28, v29
	v_add_f32_e32 v34, v34, v43
	;; [unrolled: 1-line block ×4, first 2 shown]
	v_cvt_f32_i32_dpp v35, v38 row_shr:15 row_mask:0xf bank_mask:0xf bound_ctrl:1
	v_cvt_i32_f32_e32 v38, v34
	v_add_f32_e32 v28, v28, v31
	v_cvt_i32_f32_e32 v29, v28
	v_cvt_i32_f32_e32 v30, v35
	v_cvt_f32_i32_dpp v38, v38 row_shl:8 row_mask:0xf bank_mask:0xf bound_ctrl:1
	v_cvt_i32_f32_e32 v25, v25
	v_cvt_f32_i32_dpp v29, v29 row_shl:4 row_mask:0xf bank_mask:0xf bound_ctrl:1
	v_cvt_i32_f32_e32 v26, v26
	v_add_f32_e32 v31, v34, v38
	v_cvt_i32_f32_e32 v31, v31
	v_cvt_f32_i32_dpp v30, v30 row_bcast:15 row_mask:0xf bank_mask:0xf bound_ctrl:1
	v_add_f32_e32 v38, v28, v29
	v_cvt_i32_f32_e32 v27, v27
	v_cvt_i32_f32_e32 v29, v38
	v_cvt_f32_i32_dpp v25, v25 row_shl:1 row_mask:0xf bank_mask:0xf bound_ctrl:1
	v_cvt_f32_i32_dpp v26, v26 row_shl:2 row_mask:0xf bank_mask:0xf bound_ctrl:1
	v_cvt_i32_f32_e32 v39, v36
	v_cvt_f32_i32_dpp v31, v31 row_shr:15 row_mask:0xf bank_mask:0xf bound_ctrl:1
	v_add_f32_e32 v28, v35, v30
	v_cvt_f32_i32_dpp v27, v27 row_shl:3 row_mask:0xf bank_mask:0xf bound_ctrl:1
	v_cvt_i32_f32_e32 v35, v28
	v_cvt_f32_i32_dpp v42, v29 row_shl:8 row_mask:0xf bank_mask:0xf bound_ctrl:1
	v_add_f32_e32 v24, v24, v25
	v_cvt_i32_f32_e32 v21, v21
	v_add_f32_e32 v24, v24, v26
	v_cvt_i32_f32_e32 v22, v22
	v_mov_b32_dpp v33, v39 row_bcast:31 row_mask:0xf bank_mask:0xf bound_ctrl:1
	v_cvt_i32_f32_e32 v34, v32
	v_cvt_i32_f32_e32 v39, v31
	v_add_f32_e32 v25, v24, v27
	v_cvt_i32_f32_e32 v23, v23
	v_mov_b32_dpp v29, v35 row_bcast:31 row_mask:0xf bank_mask:0xf bound_ctrl:1
	v_add_f32_e32 v35, v38, v42
	v_cvt_i32_f32_e32 v26, v25
	v_cvt_i32_f32_e32 v35, v35
	v_cvt_f32_i32_dpp v21, v21 row_shl:1 row_mask:0xf bank_mask:0xf bound_ctrl:1
	v_cvt_f32_i32_dpp v22, v22 row_shl:2 row_mask:0xf bank_mask:0xf bound_ctrl:1
	v_mov_b32_dpp v30, v34 row_bcast:31 row_mask:0xf bank_mask:0xf bound_ctrl:1
	v_cvt_f32_i32_dpp v34, v39 row_bcast:15 row_mask:0xf bank_mask:0xf bound_ctrl:1
	v_cvt_f32_i32_dpp v23, v23 row_shl:3 row_mask:0xf bank_mask:0xf bound_ctrl:1
	v_cvt_f32_i32_dpp v26, v26 row_shl:4 row_mask:0xf bank_mask:0xf bound_ctrl:1
	v_cvt_f32_i32_dpp v35, v35 row_shr:15 row_mask:0xf bank_mask:0xf bound_ctrl:1
	v_add_f32_e32 v20, v20, v21
	v_add_f32_e32 v20, v20, v22
	v_cvt_i32_f32_e32 v17, v17
	v_add_f32_e32 v24, v31, v34
	v_add_f32_e32 v22, v20, v23
	v_cvt_i32_f32_e32 v18, v18
	v_cvt_i32_f32_e32 v27, v24
	v_add_f32_e32 v25, v25, v26
	v_cvt_i32_f32_e32 v20, v22
	v_cvt_i32_f32_e32 v19, v19
	;; [unrolled: 1-line block ×4, first 2 shown]
	v_cvt_f32_i32_dpp v17, v17 row_shl:1 row_mask:0xf bank_mask:0xf bound_ctrl:1
	v_cvt_f32_i32_dpp v18, v18 row_shl:2 row_mask:0xf bank_mask:0xf bound_ctrl:1
	v_mov_b32_dpp v21, v27 row_bcast:31 row_mask:0xf bank_mask:0xf bound_ctrl:1
	v_cvt_f32_i32_dpp v27, v20 row_shl:4 row_mask:0xf bank_mask:0xf bound_ctrl:1
	v_cvt_f32_i32_dpp v19, v19 row_shl:3 row_mask:0xf bank_mask:0xf bound_ctrl:1
	v_cvt_f32_i32_dpp v23, v31 row_bcast:15 row_mask:0xf bank_mask:0xf bound_ctrl:1
	v_cvt_f32_i32_dpp v26, v26 row_shl:8 row_mask:0xf bank_mask:0xf bound_ctrl:1
	v_add_f32_e32 v16, v16, v17
	v_add_f32_e32 v16, v16, v18
	;; [unrolled: 1-line block ×6, first 2 shown]
	v_cvt_i32_f32_e32 v25, v22
	v_cvt_i32_f32_e32 v17, v16
	;; [unrolled: 1-line block ×4, first 2 shown]
	v_cvt_f32_i32_dpp v25, v25 row_shl:8 row_mask:0xf bank_mask:0xf bound_ctrl:1
	v_cvt_f32_i32_dpp v17, v17 row_shl:4 row_mask:0xf bank_mask:0xf bound_ctrl:1
	v_cvt_f32_i32_dpp v18, v23 row_shr:15 row_mask:0xf bank_mask:0xf bound_ctrl:1
	v_cvt_i32_f32_e32 v1, v1
	v_add_f32_e32 v19, v22, v25
	v_add_f32_e32 v25, v16, v17
	v_cvt_i32_f32_e32 v19, v19
	v_cvt_i32_f32_e32 v23, v18
	;; [unrolled: 1-line block ×10, first 2 shown]
	v_cvt_f32_i32_dpp v19, v19 row_shr:15 row_mask:0xf bank_mask:0xf bound_ctrl:1
	v_cvt_f32_i32_dpp v23, v23 row_bcast:15 row_mask:0xf bank_mask:0xf bound_ctrl:1
	v_cvt_f32_i32_dpp v26, v16 row_shl:8 row_mask:0xf bank_mask:0xf bound_ctrl:1
	v_cvt_f32_i32_dpp v5, v5 row_shl:1 row_mask:0xf bank_mask:0xf bound_ctrl:1
	;; [unrolled: 1-line block ×6, first 2 shown]
	v_cvt_i32_f32_e32 v3, v3
	v_cvt_f32_i32_dpp v14, v14 row_shl:2 row_mask:0xf bank_mask:0xf bound_ctrl:1
	v_cvt_f32_i32_dpp v7, v7 row_shl:3 row_mask:0xf bank_mask:0xf bound_ctrl:1
	;; [unrolled: 1-line block ×3, first 2 shown]
	v_mov_b32_dpp v17, v22 row_bcast:31 row_mask:0xf bank_mask:0xf bound_ctrl:1
	v_cvt_i32_f32_e32 v22, v19
	v_add_f32_e32 v16, v18, v23
	v_add_f32_e32 v23, v25, v26
	;; [unrolled: 1-line block ×4, first 2 shown]
	v_cvt_i32_f32_e32 v23, v23
	v_add_f32_e32 v12, v12, v13
	v_add_f32_e32 v4, v4, v6
	;; [unrolled: 1-line block ×3, first 2 shown]
	v_cvt_f32_i32_dpp v1, v3 row_shl:3 row_mask:0xf bank_mask:0xf bound_ctrl:1
	v_cvt_i32_f32_e32 v2, v9
	v_add_f32_e32 v12, v12, v14
	v_add_f32_e32 v4, v4, v7
	v_cvt_i32_f32_e32 v3, v10
	v_add_f32_e32 v14, v12, v15
	v_cvt_i32_f32_e32 v5, v4
	v_cvt_i32_f32_e32 v9, v11
	v_cvt_f32_i32_dpp v22, v22 row_bcast:15 row_mask:0xf bank_mask:0xf bound_ctrl:1
	v_cvt_i32_f32_e32 v12, v14
	v_cvt_f32_i32_dpp v23, v23 row_shr:15 row_mask:0xf bank_mask:0xf bound_ctrl:1
	v_add_f32_e32 v0, v0, v1
	v_cvt_f32_i32_dpp v1, v2 row_shl:1 row_mask:0xf bank_mask:0xf bound_ctrl:1
	v_cvt_f32_i32_dpp v2, v3 row_shl:2 row_mask:0xf bank_mask:0xf bound_ctrl:1
	;; [unrolled: 1-line block ×4, first 2 shown]
	v_add_f32_e32 v13, v19, v22
	v_cvt_f32_i32_dpp v19, v12 row_shl:4 row_mask:0xf bank_mask:0xf bound_ctrl:1
	v_cvt_i32_f32_e32 v18, v16
	v_cvt_i32_f32_e32 v25, v23
	v_add_f32_e32 v1, v8, v1
	v_add_f32_e32 v1, v1, v2
	;; [unrolled: 1-line block ×5, first 2 shown]
	v_cvt_i32_f32_e32 v5, v4
	v_cvt_i32_f32_e32 v9, v0
	v_cvt_i32_f32_e32 v2, v1
	v_mov_b32_dpp v15, v18 row_bcast:31 row_mask:0xf bank_mask:0xf bound_ctrl:1
	v_cvt_f32_i32_dpp v18, v25 row_bcast:15 row_mask:0xf bank_mask:0xf bound_ctrl:1
	v_cvt_i32_f32_e32 v14, v19
	v_cvt_f32_i32_dpp v3, v5 row_shl:8 row_mask:0xf bank_mask:0xf bound_ctrl:1
	v_cvt_f32_i32_dpp v5, v9 row_shl:4 row_mask:0xf bank_mask:0xf bound_ctrl:1
	;; [unrolled: 1-line block ×3, first 2 shown]
	v_add_f32_e32 v12, v23, v18
	v_cvt_f32_i32_dpp v23, v14 row_shl:8 row_mask:0xf bank_mask:0xf bound_ctrl:1
	v_add_f32_e32 v0, v0, v5
	v_add_f32_e32 v1, v1, v2
	;; [unrolled: 1-line block ×4, first 2 shown]
	v_cvt_i32_f32_e32 v4, v0
	v_cvt_i32_f32_e32 v2, v1
	;; [unrolled: 1-line block ×4, first 2 shown]
	v_cvt_f32_i32_dpp v4, v4 row_shl:8 row_mask:0xf bank_mask:0xf bound_ctrl:1
	v_cvt_f32_i32_dpp v2, v2 row_shl:8 row_mask:0xf bank_mask:0xf bound_ctrl:1
	v_cvt_f32_i32_dpp v6, v6 row_shr:15 row_mask:0xf bank_mask:0xf bound_ctrl:1
	v_cvt_f32_i32_dpp v3, v3 row_shr:15 row_mask:0xf bank_mask:0xf bound_ctrl:1
	v_add_f32_e32 v0, v0, v4
	v_add_f32_e32 v1, v1, v2
	v_cvt_i32_f32_e32 v5, v6
	v_cvt_i32_f32_e32 v0, v0
	;; [unrolled: 1-line block ×4, first 2 shown]
	v_cvt_f32_i32_dpp v2, v5 row_bcast:15 row_mask:0xf bank_mask:0xf bound_ctrl:1
	v_cvt_f32_i32_dpp v0, v0 row_shr:15 row_mask:0xf bank_mask:0xf bound_ctrl:1
	v_cvt_f32_i32_dpp v1, v1 row_shr:15 row_mask:0xf bank_mask:0xf bound_ctrl:1
	v_cvt_f32_i32_dpp v4, v4 row_bcast:15 row_mask:0xf bank_mask:0xf bound_ctrl:1
	v_add_f32_e32 v9, v6, v2
	v_cvt_i32_f32_e32 v2, v0
	v_cvt_i32_f32_e32 v5, v1
	v_add_f32_e32 v6, v3, v4
	v_cvt_i32_f32_e32 v22, v13
	v_cvt_f32_i32_dpp v2, v2 row_bcast:15 row_mask:0xf bank_mask:0xf bound_ctrl:1
	v_cvt_f32_i32_dpp v3, v5 row_bcast:15 row_mask:0xf bank_mask:0xf bound_ctrl:1
	v_cvt_i32_f32_e32 v18, v12
	v_cvt_i32_f32_e32 v8, v9
	v_add_f32_e32 v4, v0, v2
	v_add_f32_e32 v2, v1, v3
	v_cvt_i32_f32_e32 v5, v6
	v_cvt_i32_f32_e32 v0, v4
	;; [unrolled: 1-line block ×3, first 2 shown]
	v_mov_b32_dpp v14, v22 row_bcast:31 row_mask:0xf bank_mask:0xf bound_ctrl:1
	v_mov_b32_dpp v7, v18 row_bcast:31 row_mask:0xf bank_mask:0xf bound_ctrl:1
	;; [unrolled: 1-line block ×6, first 2 shown]
	s_and_saveexec_b64 s[20:21], s[0:1]
	s_cbranch_execz .LBB290_13
; %bb.22:                               ;   in Loop: Header=BB290_14 Depth=1
	s_andn2_b64 vcc, exec, s[18:19]
	v_mov_b32_e32 v0, 0
	v_mov_b32_e32 v51, 0
	;; [unrolled: 1-line block ×20, first 2 shown]
	s_cbranch_vccnz .LBB290_24
; %bb.23:                               ;   in Loop: Header=BB290_14 Depth=1
	v_mul_hi_u32 v0, v144, v165
	v_mul_lo_u32 v0, v0, s12
	v_sub_u32_e32 v0, v144, v0
	v_subrev_u32_e32 v1, s12, v0
	v_cmp_le_u32_e32 vcc, s12, v0
	v_mov_b32_e32 v23, v147
	v_mov_b32_e32 v55, v147
	v_cndmask_b32_e32 v0, v0, v1, vcc
	v_subrev_u32_e32 v1, s12, v0
	v_cmp_le_u32_e32 vcc, s12, v0
	v_mov_b32_e32 v59, v147
	s_nop 0
	v_cndmask_b32_e32 v146, v0, v1, vcc
	v_or_b32_e32 v0, 1, v144
	v_mul_hi_u32 v1, v0, v165
	v_mul_lo_u32 v1, v1, s12
	v_sub_u32_e32 v0, v0, v1
	v_subrev_u32_e32 v1, s12, v0
	v_cmp_le_u32_e32 vcc, s12, v0
	v_lshl_add_u64 v[18:19], v[146:147], 1, s[8:9]
	s_nop 0
	v_cndmask_b32_e32 v0, v0, v1, vcc
	v_subrev_u32_e32 v1, s12, v0
	v_cmp_le_u32_e32 vcc, s12, v0
	s_nop 1
	v_cndmask_b32_e32 v22, v0, v1, vcc
	v_or_b32_e32 v0, 2, v144
	v_mul_hi_u32 v1, v0, v165
	v_mul_lo_u32 v1, v1, s12
	v_sub_u32_e32 v0, v0, v1
	v_subrev_u32_e32 v1, s12, v0
	v_cmp_le_u32_e32 vcc, s12, v0
	v_lshl_add_u64 v[26:27], v[22:23], 1, s[8:9]
	s_nop 0
	v_cndmask_b32_e32 v0, v0, v1, vcc
	v_subrev_u32_e32 v1, s12, v0
	v_cmp_le_u32_e32 vcc, s12, v0
	;; [unrolled: 13-line block ×3, first 2 shown]
	s_nop 1
	v_cndmask_b32_e32 v58, v0, v1, vcc
	v_add_u32_e32 v0, s26, v146
	v_mov_b32_e32 v1, v147
	v_lshl_add_u64 v[66:67], v[0:1], 1, s[8:9]
	v_add_u32_e32 v0, s26, v22
	v_lshl_add_u64 v[70:71], v[0:1], 1, s[8:9]
	v_add_u32_e32 v0, s26, v54
	v_lshl_add_u64 v[72:73], v[0:1], 1, s[8:9]
	v_add_u32_e32 v0, s26, v58
	v_lshl_add_u64 v[62:63], v[58:59], 1, s[8:9]
	v_lshl_add_u64 v[74:75], v[0:1], 1, s[8:9]
	global_load_ushort v0, v[18:19], off
	global_load_ushort v51, v[26:27], off
	;; [unrolled: 1-line block ×8, first 2 shown]
	v_add_u32_e32 v26, s27, v22
	v_mov_b32_e32 v27, v147
	v_lshl_add_u64 v[62:63], v[26:27], 1, s[8:9]
	v_add_u32_e32 v26, s27, v54
	v_lshl_add_u64 v[66:67], v[26:27], 1, s[8:9]
	v_add_u32_e32 v26, s27, v58
	;; [unrolled: 2-line block ×4, first 2 shown]
	v_add_u32_e32 v18, s27, v146
	v_mov_b32_e32 v19, v147
	v_lshl_add_u64 v[74:75], v[26:27], 1, s[8:9]
	v_add_u32_e32 v26, s28, v54
	v_lshl_add_u64 v[18:19], v[18:19], 1, s[8:9]
	v_lshl_add_u64 v[76:77], v[26:27], 1, s[8:9]
	v_add_u32_e32 v26, s28, v58
	v_lshl_add_u64 v[78:79], v[26:27], 1, s[8:9]
	global_load_ushort v39, v[18:19], off
	global_load_ushort v35, v[62:63], off
	;; [unrolled: 1-line block ×8, first 2 shown]
	v_add_u32_e32 v146, s29, v146
	v_lshl_add_u64 v[62:63], v[146:147], 1, s[8:9]
	v_add_u32_e32 v146, s29, v22
	v_lshl_add_u64 v[66:67], v[146:147], 1, s[8:9]
	;; [unrolled: 2-line block ×4, first 2 shown]
	global_load_ushort v22, v[62:63], off
	global_load_ushort v19, v[66:67], off
	;; [unrolled: 1-line block ×4, first 2 shown]
.LBB290_24:                             ;   in Loop: Header=BB290_14 Depth=1
	v_cvt_f32_i32_e32 v1, v65
	s_waitcnt vmcnt(19)
	v_lshlrev_b32_e32 v0, 16, v0
                                        ; implicit-def: $vgpr54
	v_add_f32_e32 v1, v68, v1
	v_add_f32_e32 v0, v1, v0
	v_and_b32_e32 v1, 0x7f800000, v0
	v_cmp_ne_u32_e32 vcc, s34, v1
	s_and_saveexec_b64 s[22:23], vcc
	s_xor_b64 s[22:23], exec, s[22:23]
; %bb.25:                               ;   in Loop: Header=BB290_14 Depth=1
	v_bfe_u32 v1, v0, 16, 1
	v_add3_u32 v54, v0, v1, s35
                                        ; implicit-def: $vgpr0
; %bb.26:                               ;   in Loop: Header=BB290_14 Depth=1
	s_andn2_saveexec_b64 s[22:23], s[22:23]
; %bb.27:                               ;   in Loop: Header=BB290_14 Depth=1
	v_or_b32_e32 v1, 0x10000, v0
	v_cmp_eq_u32_sdwa vcc, v0, v147 src0_sel:WORD_0 src1_sel:DWORD
	s_nop 1
	v_cndmask_b32_e32 v54, v1, v0, vcc
; %bb.28:                               ;   in Loop: Header=BB290_14 Depth=1
	s_or_b64 exec, exec, s[22:23]
	v_cvt_f32_i32_e32 v55, v61
	v_mov_b32_e32 v145, v147
	v_lshl_add_u64 v[0:1], v[144:145], 1, s[10:11]
	global_store_short_d16_hi v[0:1], v54, off
	v_add_f32_e32 v54, v64, v55
	s_waitcnt vmcnt(19)
	v_lshlrev_b32_e32 v51, 16, v51
	v_add_f32_e32 v51, v54, v51
	v_and_b32_e32 v54, 0x7f800000, v51
	v_cmp_ne_u32_e32 vcc, s34, v54
                                        ; implicit-def: $vgpr54
	s_and_saveexec_b64 s[22:23], vcc
	s_xor_b64 s[22:23], exec, s[22:23]
; %bb.29:                               ;   in Loop: Header=BB290_14 Depth=1
	v_bfe_u32 v54, v51, 16, 1
	v_add3_u32 v54, v51, v54, s35
                                        ; implicit-def: $vgpr51
; %bb.30:                               ;   in Loop: Header=BB290_14 Depth=1
	s_andn2_saveexec_b64 s[22:23], s[22:23]
; %bb.31:                               ;   in Loop: Header=BB290_14 Depth=1
	v_or_b32_e32 v54, 0x10000, v51
	v_cmp_eq_u32_sdwa vcc, v51, v147 src0_sel:WORD_0 src1_sel:DWORD
	s_nop 1
	v_cndmask_b32_e32 v54, v54, v51, vcc
; %bb.32:                               ;   in Loop: Header=BB290_14 Depth=1
	s_or_b64 exec, exec, s[22:23]
	v_cvt_f32_i32_e32 v51, v57
	s_waitcnt vmcnt(18)
	v_lshlrev_b32_e32 v47, 16, v47
	global_store_short_d16_hi v[0:1], v54, off offset:2
	v_add_f32_e32 v51, v60, v51
	v_add_f32_e32 v47, v51, v47
	v_and_b32_e32 v51, 0x7f800000, v47
	v_cmp_ne_u32_e32 vcc, s34, v51
                                        ; implicit-def: $vgpr51
	s_and_saveexec_b64 s[22:23], vcc
	s_xor_b64 s[22:23], exec, s[22:23]
; %bb.33:                               ;   in Loop: Header=BB290_14 Depth=1
	v_bfe_u32 v51, v47, 16, 1
	v_add3_u32 v51, v47, v51, s35
                                        ; implicit-def: $vgpr47
; %bb.34:                               ;   in Loop: Header=BB290_14 Depth=1
	s_andn2_saveexec_b64 s[22:23], s[22:23]
; %bb.35:                               ;   in Loop: Header=BB290_14 Depth=1
	v_or_b32_e32 v51, 0x10000, v47
	v_cmp_eq_u32_sdwa vcc, v47, v147 src0_sel:WORD_0 src1_sel:DWORD
	s_nop 1
	v_cndmask_b32_e32 v51, v51, v47, vcc
; %bb.36:                               ;   in Loop: Header=BB290_14 Depth=1
	s_or_b64 exec, exec, s[22:23]
	v_cvt_f32_i32_e32 v47, v53
	s_waitcnt vmcnt(18)
	v_lshlrev_b32_e32 v46, 16, v46
	global_store_short_d16_hi v[0:1], v51, off offset:4
	v_add_f32_e32 v47, v56, v47
	v_add_f32_e32 v46, v47, v46
	v_and_b32_e32 v47, 0x7f800000, v46
	v_cmp_ne_u32_e32 vcc, s34, v47
                                        ; implicit-def: $vgpr47
	s_and_saveexec_b64 s[22:23], vcc
	s_xor_b64 s[22:23], exec, s[22:23]
; %bb.37:                               ;   in Loop: Header=BB290_14 Depth=1
	v_bfe_u32 v47, v46, 16, 1
	v_add3_u32 v47, v46, v47, s35
                                        ; implicit-def: $vgpr46
; %bb.38:                               ;   in Loop: Header=BB290_14 Depth=1
	s_andn2_saveexec_b64 s[22:23], s[22:23]
; %bb.39:                               ;   in Loop: Header=BB290_14 Depth=1
	v_or_b32_e32 v47, 0x10000, v46
	v_cmp_eq_u32_sdwa vcc, v46, v147 src0_sel:WORD_0 src1_sel:DWORD
	s_nop 1
	v_cndmask_b32_e32 v47, v47, v46, vcc
; %bb.40:                               ;   in Loop: Header=BB290_14 Depth=1
	s_or_b64 exec, exec, s[22:23]
	v_cvt_f32_i32_e32 v46, v50
	global_store_short_d16_hi v[0:1], v47, off offset:6
	s_waitcnt vmcnt(19)
	v_lshlrev_b32_e32 v1, 16, v45
	v_add_f32_e32 v0, v52, v46
	v_add_f32_e32 v1, v0, v1
	v_and_b32_e32 v0, 0x7f800000, v1
	v_cmp_ne_u32_e32 vcc, s34, v0
                                        ; implicit-def: $vgpr0
	s_and_saveexec_b64 s[22:23], vcc
	s_xor_b64 s[22:23], exec, s[22:23]
; %bb.41:                               ;   in Loop: Header=BB290_14 Depth=1
	v_bfe_u32 v0, v1, 16, 1
	v_add3_u32 v0, v1, v0, s35
                                        ; implicit-def: $vgpr1
; %bb.42:                               ;   in Loop: Header=BB290_14 Depth=1
	s_andn2_saveexec_b64 s[22:23], s[22:23]
; %bb.43:                               ;   in Loop: Header=BB290_14 Depth=1
	v_or_b32_e32 v0, 0x10000, v1
	v_cmp_eq_u32_sdwa vcc, v1, v147 src0_sel:WORD_0 src1_sel:DWORD
	s_nop 1
	v_cndmask_b32_e32 v0, v0, v1, vcc
; %bb.44:                               ;   in Loop: Header=BB290_14 Depth=1
	s_or_b64 exec, exec, s[22:23]
	v_cvt_f32_i32_e32 v1, v49
	v_add_u32_e32 v146, s7, v144
	v_lshl_add_u64 v[46:47], v[146:147], 1, s[10:11]
	global_store_short_d16_hi v[46:47], v0, off
	v_add_f32_e32 v0, v48, v1
	s_waitcnt vmcnt(19)
	v_lshlrev_b32_e32 v1, 16, v43
	v_add_f32_e32 v1, v0, v1
	v_and_b32_e32 v0, 0x7f800000, v1
	v_cmp_ne_u32_e32 vcc, s34, v0
                                        ; implicit-def: $vgpr0
	s_and_saveexec_b64 s[22:23], vcc
	s_xor_b64 s[22:23], exec, s[22:23]
; %bb.45:                               ;   in Loop: Header=BB290_14 Depth=1
	v_bfe_u32 v0, v1, 16, 1
	v_add3_u32 v0, v1, v0, s35
                                        ; implicit-def: $vgpr1
; %bb.46:                               ;   in Loop: Header=BB290_14 Depth=1
	s_andn2_saveexec_b64 s[22:23], s[22:23]
; %bb.47:                               ;   in Loop: Header=BB290_14 Depth=1
	v_or_b32_e32 v0, 0x10000, v1
	v_cmp_eq_u32_sdwa vcc, v1, v147 src0_sel:WORD_0 src1_sel:DWORD
	s_nop 1
	v_cndmask_b32_e32 v0, v0, v1, vcc
; %bb.48:                               ;   in Loop: Header=BB290_14 Depth=1
	s_or_b64 exec, exec, s[22:23]
	v_cvt_f32_i32_e32 v1, v41
	v_add_u32_e32 v46, 1, v146
	v_mov_b32_e32 v47, v147
	v_lshl_add_u64 v[46:47], v[46:47], 1, s[10:11]
	v_add_f32_e32 v1, v44, v1
	global_store_short_d16_hi v[46:47], v0, off
	s_waitcnt vmcnt(19)
	v_lshlrev_b32_e32 v0, 16, v42
	v_add_f32_e32 v1, v1, v0
	v_and_b32_e32 v0, 0x7f800000, v1
	v_cmp_ne_u32_e32 vcc, s34, v0
                                        ; implicit-def: $vgpr0
	s_and_saveexec_b64 s[22:23], vcc
	s_xor_b64 s[22:23], exec, s[22:23]
; %bb.49:                               ;   in Loop: Header=BB290_14 Depth=1
	v_bfe_u32 v0, v1, 16, 1
	v_add3_u32 v0, v1, v0, s35
                                        ; implicit-def: $vgpr1
; %bb.50:                               ;   in Loop: Header=BB290_14 Depth=1
	s_andn2_saveexec_b64 s[22:23], s[22:23]
; %bb.51:                               ;   in Loop: Header=BB290_14 Depth=1
	v_or_b32_e32 v0, 0x10000, v1
	v_cmp_eq_u32_sdwa vcc, v1, v147 src0_sel:WORD_0 src1_sel:DWORD
	s_nop 1
	v_cndmask_b32_e32 v0, v0, v1, vcc
; %bb.52:                               ;   in Loop: Header=BB290_14 Depth=1
	s_or_b64 exec, exec, s[22:23]
	v_cvt_f32_i32_e32 v1, v37
	v_add_u32_e32 v42, 2, v146
	v_mov_b32_e32 v43, v147
	v_lshl_add_u64 v[42:43], v[42:43], 1, s[10:11]
	v_add_f32_e32 v1, v40, v1
	global_store_short_d16_hi v[42:43], v0, off
	;; [unrolled: 27-line block ×3, first 2 shown]
	s_waitcnt vmcnt(19)
	v_lshlrev_b32_e32 v0, 16, v39
	v_add_f32_e32 v0, v1, v0
	v_and_b32_e32 v1, 0x7f800000, v0
	v_cmp_ne_u32_e32 vcc, s34, v1
                                        ; implicit-def: $vgpr33
	s_and_saveexec_b64 s[22:23], vcc
	s_xor_b64 s[22:23], exec, s[22:23]
; %bb.57:                               ;   in Loop: Header=BB290_14 Depth=1
	v_bfe_u32 v1, v0, 16, 1
	v_add3_u32 v33, v0, v1, s35
                                        ; implicit-def: $vgpr0
; %bb.58:                               ;   in Loop: Header=BB290_14 Depth=1
	s_andn2_saveexec_b64 s[22:23], s[22:23]
; %bb.59:                               ;   in Loop: Header=BB290_14 Depth=1
	v_or_b32_e32 v1, 0x10000, v0
	v_cmp_eq_u32_sdwa vcc, v0, v147 src0_sel:WORD_0 src1_sel:DWORD
	s_nop 1
	v_cndmask_b32_e32 v33, v1, v0, vcc
; %bb.60:                               ;   in Loop: Header=BB290_14 Depth=1
	s_or_b64 exec, exec, s[22:23]
	v_cvt_f32_i32_e32 v30, v30
	v_add_u32_e32 v146, s7, v146
	v_lshl_add_u64 v[0:1], v[146:147], 1, s[10:11]
	global_store_short_d16_hi v[0:1], v33, off
	v_add_f32_e32 v30, v32, v30
	s_waitcnt vmcnt(19)
	v_lshlrev_b32_e32 v32, 16, v35
	v_add_f32_e32 v30, v30, v32
	v_and_b32_e32 v32, 0x7f800000, v30
	v_cmp_ne_u32_e32 vcc, s34, v32
                                        ; implicit-def: $vgpr32
	s_and_saveexec_b64 s[22:23], vcc
	s_xor_b64 s[22:23], exec, s[22:23]
; %bb.61:                               ;   in Loop: Header=BB290_14 Depth=1
	v_bfe_u32 v32, v30, 16, 1
	v_add3_u32 v32, v30, v32, s35
                                        ; implicit-def: $vgpr30
; %bb.62:                               ;   in Loop: Header=BB290_14 Depth=1
	s_andn2_saveexec_b64 s[22:23], s[22:23]
; %bb.63:                               ;   in Loop: Header=BB290_14 Depth=1
	v_or_b32_e32 v32, 0x10000, v30
	v_cmp_eq_u32_sdwa vcc, v30, v147 src0_sel:WORD_0 src1_sel:DWORD
	s_nop 1
	v_cndmask_b32_e32 v32, v32, v30, vcc
; %bb.64:                               ;   in Loop: Header=BB290_14 Depth=1
	s_or_b64 exec, exec, s[22:23]
	v_cvt_f32_i32_e32 v29, v29
	global_store_short_d16_hi v[0:1], v32, off offset:2
	s_waitcnt vmcnt(19)
	v_lshlrev_b32_e32 v1, 16, v34
	v_add_f32_e32 v0, v28, v29
	v_add_f32_e32 v1, v0, v1
	v_and_b32_e32 v0, 0x7f800000, v1
	v_cmp_ne_u32_e32 vcc, s34, v0
                                        ; implicit-def: $vgpr0
	s_and_saveexec_b64 s[22:23], vcc
	s_xor_b64 s[22:23], exec, s[22:23]
; %bb.65:                               ;   in Loop: Header=BB290_14 Depth=1
	v_bfe_u32 v0, v1, 16, 1
	v_add3_u32 v0, v1, v0, s35
                                        ; implicit-def: $vgpr1
; %bb.66:                               ;   in Loop: Header=BB290_14 Depth=1
	s_andn2_saveexec_b64 s[22:23], s[22:23]
; %bb.67:                               ;   in Loop: Header=BB290_14 Depth=1
	v_or_b32_e32 v0, 0x10000, v1
	v_cmp_eq_u32_sdwa vcc, v1, v147 src0_sel:WORD_0 src1_sel:DWORD
	s_nop 1
	v_cndmask_b32_e32 v0, v0, v1, vcc
; %bb.68:                               ;   in Loop: Header=BB290_14 Depth=1
	s_or_b64 exec, exec, s[22:23]
	v_cvt_f32_i32_e32 v1, v21
	v_add_u32_e32 v28, 2, v146
	v_mov_b32_e32 v29, v147
	v_lshl_add_u64 v[28:29], v[28:29], 1, s[10:11]
	v_add_f32_e32 v1, v24, v1
	global_store_short_d16_hi v[28:29], v0, off
	s_waitcnt vmcnt(19)
	v_lshlrev_b32_e32 v0, 16, v31
	v_add_f32_e32 v1, v1, v0
	v_and_b32_e32 v0, 0x7f800000, v1
	v_cmp_ne_u32_e32 vcc, s34, v0
                                        ; implicit-def: $vgpr0
	s_and_saveexec_b64 s[22:23], vcc
	s_xor_b64 s[22:23], exec, s[22:23]
; %bb.69:                               ;   in Loop: Header=BB290_14 Depth=1
	v_bfe_u32 v0, v1, 16, 1
	v_add3_u32 v0, v1, v0, s35
                                        ; implicit-def: $vgpr1
; %bb.70:                               ;   in Loop: Header=BB290_14 Depth=1
	s_andn2_saveexec_b64 s[22:23], s[22:23]
; %bb.71:                               ;   in Loop: Header=BB290_14 Depth=1
	v_or_b32_e32 v0, 0x10000, v1
	v_cmp_eq_u32_sdwa vcc, v1, v147 src0_sel:WORD_0 src1_sel:DWORD
	s_nop 1
	v_cndmask_b32_e32 v0, v0, v1, vcc
; %bb.72:                               ;   in Loop: Header=BB290_14 Depth=1
	s_or_b64 exec, exec, s[22:23]
	v_cvt_f32_i32_e32 v1, v17
	v_add_u32_e32 v28, 3, v146
	v_mov_b32_e32 v29, v147
	v_lshl_add_u64 v[28:29], v[28:29], 1, s[10:11]
	v_add_f32_e32 v1, v20, v1
	global_store_short_d16_hi v[28:29], v0, off
	s_waitcnt vmcnt(19)
	v_lshlrev_b32_e32 v0, 16, v27
	v_add_f32_e32 v1, v1, v0
	v_and_b32_e32 v0, 0x7f800000, v1
	v_cmp_ne_u32_e32 vcc, s34, v0
                                        ; implicit-def: $vgpr0
	s_and_saveexec_b64 s[22:23], vcc
	s_xor_b64 s[22:23], exec, s[22:23]
; %bb.73:                               ;   in Loop: Header=BB290_14 Depth=1
	v_bfe_u32 v0, v1, 16, 1
	v_add3_u32 v0, v1, v0, s35
                                        ; implicit-def: $vgpr1
; %bb.74:                               ;   in Loop: Header=BB290_14 Depth=1
	s_andn2_saveexec_b64 s[22:23], s[22:23]
; %bb.75:                               ;   in Loop: Header=BB290_14 Depth=1
	v_or_b32_e32 v0, 0x10000, v1
	v_cmp_eq_u32_sdwa vcc, v1, v147 src0_sel:WORD_0 src1_sel:DWORD
	s_nop 1
	v_cndmask_b32_e32 v0, v0, v1, vcc
; %bb.76:                               ;   in Loop: Header=BB290_14 Depth=1
	s_or_b64 exec, exec, s[22:23]
	v_cvt_f32_i32_e32 v1, v15
	v_add_u32_e32 v146, s7, v146
	v_lshl_add_u64 v[20:21], v[146:147], 1, s[10:11]
	global_store_short_d16_hi v[20:21], v0, off
	v_add_f32_e32 v0, v16, v1
	s_waitcnt vmcnt(19)
	v_lshlrev_b32_e32 v1, 16, v26
	v_add_f32_e32 v1, v0, v1
	v_and_b32_e32 v0, 0x7f800000, v1
	v_cmp_ne_u32_e32 vcc, s34, v0
                                        ; implicit-def: $vgpr0
	s_and_saveexec_b64 s[22:23], vcc
	s_xor_b64 s[22:23], exec, s[22:23]
; %bb.77:                               ;   in Loop: Header=BB290_14 Depth=1
	v_bfe_u32 v0, v1, 16, 1
	v_add3_u32 v0, v1, v0, s35
                                        ; implicit-def: $vgpr1
; %bb.78:                               ;   in Loop: Header=BB290_14 Depth=1
	s_andn2_saveexec_b64 s[22:23], s[22:23]
; %bb.79:                               ;   in Loop: Header=BB290_14 Depth=1
	v_or_b32_e32 v0, 0x10000, v1
	v_cmp_eq_u32_sdwa vcc, v1, v147 src0_sel:WORD_0 src1_sel:DWORD
	s_nop 1
	v_cndmask_b32_e32 v0, v0, v1, vcc
; %bb.80:                               ;   in Loop: Header=BB290_14 Depth=1
	s_or_b64 exec, exec, s[22:23]
	v_cvt_f32_i32_e32 v1, v14
	v_add_u32_e32 v14, 1, v146
	v_mov_b32_e32 v15, v147
	v_lshl_add_u64 v[14:15], v[14:15], 1, s[10:11]
	v_add_f32_e32 v1, v13, v1
	global_store_short_d16_hi v[14:15], v0, off
	s_waitcnt vmcnt(19)
	v_lshlrev_b32_e32 v0, 16, v25
	v_add_f32_e32 v1, v1, v0
	v_and_b32_e32 v0, 0x7f800000, v1
	v_cmp_ne_u32_e32 vcc, s34, v0
                                        ; implicit-def: $vgpr0
	s_and_saveexec_b64 s[22:23], vcc
	s_xor_b64 s[22:23], exec, s[22:23]
; %bb.81:                               ;   in Loop: Header=BB290_14 Depth=1
	v_bfe_u32 v0, v1, 16, 1
	v_add3_u32 v0, v1, v0, s35
                                        ; implicit-def: $vgpr1
; %bb.82:                               ;   in Loop: Header=BB290_14 Depth=1
	s_andn2_saveexec_b64 s[22:23], s[22:23]
; %bb.83:                               ;   in Loop: Header=BB290_14 Depth=1
	v_or_b32_e32 v0, 0x10000, v1
	v_cmp_eq_u32_sdwa vcc, v1, v147 src0_sel:WORD_0 src1_sel:DWORD
	s_nop 1
	v_cndmask_b32_e32 v0, v0, v1, vcc
; %bb.84:                               ;   in Loop: Header=BB290_14 Depth=1
	s_or_b64 exec, exec, s[22:23]
	v_cvt_f32_i32_e32 v1, v7
	v_add_u32_e32 v14, 2, v146
	v_mov_b32_e32 v15, v147
	v_lshl_add_u64 v[14:15], v[14:15], 1, s[10:11]
	v_add_f32_e32 v1, v12, v1
	global_store_short_d16_hi v[14:15], v0, off
	;; [unrolled: 27-line block ×3, first 2 shown]
	s_waitcnt vmcnt(19)
	v_lshlrev_b32_e32 v0, 16, v22
	v_add_f32_e32 v0, v1, v0
	v_and_b32_e32 v1, 0x7f800000, v0
	v_cmp_ne_u32_e32 vcc, s34, v1
                                        ; implicit-def: $vgpr7
	s_and_saveexec_b64 s[22:23], vcc
	s_xor_b64 s[22:23], exec, s[22:23]
; %bb.89:                               ;   in Loop: Header=BB290_14 Depth=1
	v_bfe_u32 v1, v0, 16, 1
	v_add3_u32 v7, v0, v1, s35
                                        ; implicit-def: $vgpr0
; %bb.90:                               ;   in Loop: Header=BB290_14 Depth=1
	s_andn2_saveexec_b64 s[22:23], s[22:23]
; %bb.91:                               ;   in Loop: Header=BB290_14 Depth=1
	v_or_b32_e32 v1, 0x10000, v0
	v_cmp_eq_u32_sdwa vcc, v0, v147 src0_sel:WORD_0 src1_sel:DWORD
	s_nop 1
	v_cndmask_b32_e32 v7, v1, v0, vcc
; %bb.92:                               ;   in Loop: Header=BB290_14 Depth=1
	s_or_b64 exec, exec, s[22:23]
	v_cvt_f32_i32_e32 v8, v8
	v_add_u32_e32 v146, s7, v146
	v_lshl_add_u64 v[0:1], v[146:147], 1, s[10:11]
	global_store_short_d16_hi v[0:1], v7, off
	v_add_f32_e32 v6, v6, v8
	s_waitcnt vmcnt(19)
	v_lshlrev_b32_e32 v7, 16, v19
	v_add_f32_e32 v6, v6, v7
	v_and_b32_e32 v7, 0x7f800000, v6
	v_cmp_ne_u32_e32 vcc, s34, v7
                                        ; implicit-def: $vgpr7
	s_and_saveexec_b64 s[22:23], vcc
	s_xor_b64 s[22:23], exec, s[22:23]
; %bb.93:                               ;   in Loop: Header=BB290_14 Depth=1
	v_bfe_u32 v7, v6, 16, 1
	v_add3_u32 v7, v6, v7, s35
                                        ; implicit-def: $vgpr6
; %bb.94:                               ;   in Loop: Header=BB290_14 Depth=1
	s_andn2_saveexec_b64 s[22:23], s[22:23]
; %bb.95:                               ;   in Loop: Header=BB290_14 Depth=1
	v_or_b32_e32 v7, 0x10000, v6
	v_cmp_eq_u32_sdwa vcc, v6, v147 src0_sel:WORD_0 src1_sel:DWORD
	s_nop 1
	v_cndmask_b32_e32 v7, v7, v6, vcc
; %bb.96:                               ;   in Loop: Header=BB290_14 Depth=1
	s_or_b64 exec, exec, s[22:23]
	v_cvt_f32_i32_e32 v5, v5
	global_store_short_d16_hi v[0:1], v7, off offset:2
	v_add_f32_e32 v4, v4, v5
	s_waitcnt vmcnt(19)
	v_lshlrev_b32_e32 v5, 16, v18
	v_add_f32_e32 v4, v4, v5
	v_and_b32_e32 v5, 0x7f800000, v4
	v_cmp_ne_u32_e32 vcc, s34, v5
                                        ; implicit-def: $vgpr5
	s_and_saveexec_b64 s[22:23], vcc
	s_xor_b64 s[22:23], exec, s[22:23]
; %bb.97:                               ;   in Loop: Header=BB290_14 Depth=1
	v_bfe_u32 v5, v4, 16, 1
	v_add3_u32 v5, v4, v5, s35
                                        ; implicit-def: $vgpr4
; %bb.98:                               ;   in Loop: Header=BB290_14 Depth=1
	s_andn2_saveexec_b64 s[22:23], s[22:23]
; %bb.99:                               ;   in Loop: Header=BB290_14 Depth=1
	v_or_b32_e32 v5, 0x10000, v4
	v_cmp_eq_u32_sdwa vcc, v4, v147 src0_sel:WORD_0 src1_sel:DWORD
	s_nop 1
	v_cndmask_b32_e32 v5, v5, v4, vcc
; %bb.100:                              ;   in Loop: Header=BB290_14 Depth=1
	s_or_b64 exec, exec, s[22:23]
	v_cvt_f32_i32_e32 v3, v3
	global_store_short_d16_hi v[0:1], v5, off offset:4
	v_add_f32_e32 v2, v2, v3
	s_waitcnt vmcnt(19)
	v_lshlrev_b32_e32 v3, 16, v11
	v_add_f32_e32 v2, v2, v3
	v_and_b32_e32 v3, 0x7f800000, v2
	v_cmp_ne_u32_e32 vcc, s34, v3
                                        ; implicit-def: $vgpr3
	s_and_saveexec_b64 s[22:23], vcc
	s_xor_b64 s[22:23], exec, s[22:23]
; %bb.101:                              ;   in Loop: Header=BB290_14 Depth=1
	v_bfe_u32 v3, v2, 16, 1
	v_add3_u32 v3, v2, v3, s35
                                        ; implicit-def: $vgpr2
; %bb.102:                              ;   in Loop: Header=BB290_14 Depth=1
	s_andn2_saveexec_b64 s[22:23], s[22:23]
	s_cbranch_execz .LBB290_12
; %bb.103:                              ;   in Loop: Header=BB290_14 Depth=1
	v_or_b32_e32 v3, 0x10000, v2
	v_cmp_eq_u32_sdwa vcc, v2, v147 src0_sel:WORD_0 src1_sel:DWORD
	s_nop 1
	v_cndmask_b32_e32 v3, v3, v2, vcc
	s_branch .LBB290_12
.LBB290_104:
	s_endpgm
	.section	.rodata,"a",@progbits
	.p2align	6, 0x0
	.amdhsa_kernel _Z16wvSplitK_hf_sml_I14__hip_bfloat16Li32ELi4ELi16ELi8ELi2ELi5EEviiiiiiPKT_S3_S3_PS1_ii
		.amdhsa_group_segment_fixed_size 65536
		.amdhsa_private_segment_fixed_size 0
		.amdhsa_kernarg_size 64
		.amdhsa_user_sgpr_count 2
		.amdhsa_user_sgpr_dispatch_ptr 0
		.amdhsa_user_sgpr_queue_ptr 0
		.amdhsa_user_sgpr_kernarg_segment_ptr 1
		.amdhsa_user_sgpr_dispatch_id 0
		.amdhsa_user_sgpr_kernarg_preload_length 0
		.amdhsa_user_sgpr_kernarg_preload_offset 0
		.amdhsa_user_sgpr_private_segment_size 0
		.amdhsa_uses_dynamic_stack 0
		.amdhsa_enable_private_segment 0
		.amdhsa_system_sgpr_workgroup_id_x 1
		.amdhsa_system_sgpr_workgroup_id_y 0
		.amdhsa_system_sgpr_workgroup_id_z 0
		.amdhsa_system_sgpr_workgroup_info 0
		.amdhsa_system_vgpr_workitem_id 1
		.amdhsa_next_free_vgpr 171
		.amdhsa_next_free_sgpr 37
		.amdhsa_accum_offset 172
		.amdhsa_reserve_vcc 1
		.amdhsa_float_round_mode_32 0
		.amdhsa_float_round_mode_16_64 0
		.amdhsa_float_denorm_mode_32 3
		.amdhsa_float_denorm_mode_16_64 3
		.amdhsa_dx10_clamp 1
		.amdhsa_ieee_mode 1
		.amdhsa_fp16_overflow 0
		.amdhsa_tg_split 0
		.amdhsa_exception_fp_ieee_invalid_op 0
		.amdhsa_exception_fp_denorm_src 0
		.amdhsa_exception_fp_ieee_div_zero 0
		.amdhsa_exception_fp_ieee_overflow 0
		.amdhsa_exception_fp_ieee_underflow 0
		.amdhsa_exception_fp_ieee_inexact 0
		.amdhsa_exception_int_div_zero 0
	.end_amdhsa_kernel
	.section	.text._Z16wvSplitK_hf_sml_I14__hip_bfloat16Li32ELi4ELi16ELi8ELi2ELi5EEviiiiiiPKT_S3_S3_PS1_ii,"axG",@progbits,_Z16wvSplitK_hf_sml_I14__hip_bfloat16Li32ELi4ELi16ELi8ELi2ELi5EEviiiiiiPKT_S3_S3_PS1_ii,comdat
.Lfunc_end290:
	.size	_Z16wvSplitK_hf_sml_I14__hip_bfloat16Li32ELi4ELi16ELi8ELi2ELi5EEviiiiiiPKT_S3_S3_PS1_ii, .Lfunc_end290-_Z16wvSplitK_hf_sml_I14__hip_bfloat16Li32ELi4ELi16ELi8ELi2ELi5EEviiiiiiPKT_S3_S3_PS1_ii
                                        ; -- End function
	.section	.AMDGPU.csdata,"",@progbits
; Kernel info:
; codeLenInByte = 8232
; NumSgprs: 43
; NumVgprs: 171
; NumAgprs: 0
; TotalNumVgprs: 171
; ScratchSize: 0
; MemoryBound: 0
; FloatMode: 240
; IeeeMode: 1
; LDSByteSize: 65536 bytes/workgroup (compile time only)
; SGPRBlocks: 5
; VGPRBlocks: 21
; NumSGPRsForWavesPerEU: 43
; NumVGPRsForWavesPerEU: 171
; AccumOffset: 172
; Occupancy: 2
; WaveLimiterHint : 0
; COMPUTE_PGM_RSRC2:SCRATCH_EN: 0
; COMPUTE_PGM_RSRC2:USER_SGPR: 2
; COMPUTE_PGM_RSRC2:TRAP_HANDLER: 0
; COMPUTE_PGM_RSRC2:TGID_X_EN: 1
; COMPUTE_PGM_RSRC2:TGID_Y_EN: 0
; COMPUTE_PGM_RSRC2:TGID_Z_EN: 0
; COMPUTE_PGM_RSRC2:TIDIG_COMP_CNT: 1
; COMPUTE_PGM_RSRC3_GFX90A:ACCUM_OFFSET: 42
; COMPUTE_PGM_RSRC3_GFX90A:TG_SPLIT: 0
	.section	.text._Z12wvSplitK_hf_I14__hip_bfloat16Li32ELi4ELi16ELi8ELi2ELi5EEviiiiiiPKT_S3_S3_PS1_ii,"axG",@progbits,_Z12wvSplitK_hf_I14__hip_bfloat16Li32ELi4ELi16ELi8ELi2ELi5EEviiiiiiPKT_S3_S3_PS1_ii,comdat
	.protected	_Z12wvSplitK_hf_I14__hip_bfloat16Li32ELi4ELi16ELi8ELi2ELi5EEviiiiiiPKT_S3_S3_PS1_ii ; -- Begin function _Z12wvSplitK_hf_I14__hip_bfloat16Li32ELi4ELi16ELi8ELi2ELi5EEviiiiiiPKT_S3_S3_PS1_ii
	.globl	_Z12wvSplitK_hf_I14__hip_bfloat16Li32ELi4ELi16ELi8ELi2ELi5EEviiiiiiPKT_S3_S3_PS1_ii
	.p2align	8
	.type	_Z12wvSplitK_hf_I14__hip_bfloat16Li32ELi4ELi16ELi8ELi2ELi5EEviiiiiiPKT_S3_S3_PS1_ii,@function
_Z12wvSplitK_hf_I14__hip_bfloat16Li32ELi4ELi16ELi8ELi2ELi5EEviiiiiiPKT_S3_S3_PS1_ii: ; @_Z12wvSplitK_hf_I14__hip_bfloat16Li32ELi4ELi16ELi8ELi2ELi5EEviiiiiiPKT_S3_S3_PS1_ii
; %bb.0:
	s_load_dwordx2 s[8:9], s[0:1], 0x38
	s_load_dwordx2 s[20:21], s[0:1], 0x20
	s_load_dwordx4 s[12:15], s[0:1], 0x0
	s_load_dwordx2 s[22:23], s[0:1], 0x10
	v_bfe_u32 v1, v0, 10, 10
	s_waitcnt lgkmcnt(0)
	s_mul_i32 s2, s2, s8
	v_add_lshl_u32 v158, s2, v1, 2
	s_mov_b32 s4, 1
	v_add_u32_e32 v2, 4, v158
	s_mov_b32 s5, s4
	v_cmp_gt_u32_e32 vcc, s15, v158
	v_cmp_le_u32_e64 s[2:3], s15, v2
	s_mov_b32 s6, s4
	s_mov_b32 s7, s4
	v_mov_b64_e32 v[2:3], s[4:5]
	s_and_b64 s[10:11], vcc, s[2:3]
	v_mov_b64_e32 v[4:5], s[6:7]
	s_and_saveexec_b64 s[2:3], s[10:11]
	s_cbranch_execz .LBB291_6
; %bb.1:
	s_add_i32 s24, s15, -4
	v_mov_b64_e32 v[2:3], s[4:5]
	v_cmp_ne_u32_e32 vcc, s24, v158
	v_mov_b64_e32 v[4:5], s[6:7]
	s_and_saveexec_b64 s[10:11], vcc
	s_cbranch_execz .LBB291_5
; %bb.2:
	v_subrev_u32_e32 v2, s24, v158
	v_cmp_lt_u32_e32 vcc, 1, v2
	s_mov_b64 s[16:17], 0
	s_mov_b64 s[18:19], 0
	v_cndmask_b32_e32 v6, 1, v2, vcc
	s_mov_b32 s5, s4
	s_mov_b32 s6, s4
	s_mov_b32 s7, s4
.LBB291_3:                              ; =>This Inner Loop Header: Depth=1
	s_cmp_lg_u32 s18, 3
	s_cselect_b32 s7, s7, 0
	s_cmp_lg_u32 s18, 2
	s_cselect_b32 s6, s6, 0
	s_cmp_lg_u32 s18, 1
	s_cselect_b32 s5, s5, 0
	s_cmp_lg_u32 s18, 0
	s_cselect_b32 s4, s4, 0
	s_add_u32 s18, s18, 1
	s_addc_u32 s19, s19, 0
	v_cmp_eq_u32_e32 vcc, s18, v6
	v_mov_b64_e32 v[2:3], s[4:5]
	s_or_b64 s[16:17], vcc, s[16:17]
	v_mov_b64_e32 v[4:5], s[6:7]
	s_andn2_b64 exec, exec, s[16:17]
	s_cbranch_execnz .LBB291_3
; %bb.4:
	s_or_b64 exec, exec, s[16:17]
	v_mov_b32_e32 v158, s24
.LBB291_5:
	s_or_b64 exec, exec, s[10:11]
.LBB291_6:
	s_or_b64 exec, exec, s[2:3]
	v_and_b32_e32 v10, 0x3ff, v0
	v_lshlrev_b32_e32 v0, 3, v10
	s_mul_i32 s2, s14, 5
	v_lshl_add_u32 v11, v1, 8, v0
	s_min_u32 s4, s2, 0x8000
	v_cmp_gt_u32_e32 vcc, s4, v11
	s_and_saveexec_b64 s[2:3], vcc
	s_cbranch_execz .LBB291_15
; %bb.7:
	v_lshlrev_b32_e32 v6, 1, v11
	global_load_dwordx4 v[12:15], v6, s[20:21]
	v_add_u32_e32 v7, 0x1000, v11
	v_cmp_gt_u32_e32 vcc, s4, v7
	s_waitcnt vmcnt(0)
	ds_write_b128 v6, v[12:15]
	s_and_saveexec_b64 s[6:7], vcc
	s_xor_b64 s[6:7], exec, s[6:7]
	s_cbranch_execz .LBB291_15
; %bb.8:
	v_mov_b32_e32 v7, 0
	v_lshl_add_u64 v[8:9], s[20:21], 0, v[6:7]
	v_add_co_u32_e32 v12, vcc, 0x2000, v8
	v_add_u32_e32 v7, 0x2000, v11
	s_nop 0
	v_addc_co_u32_e32 v13, vcc, 0, v9, vcc
	global_load_dwordx4 v[12:15], v[12:13], off
	v_cmp_gt_u32_e32 vcc, s4, v7
	s_waitcnt vmcnt(0)
	ds_write_b128 v6, v[12:15] offset:8192
	s_and_saveexec_b64 s[6:7], vcc
	s_xor_b64 s[6:7], exec, s[6:7]
	s_cbranch_execz .LBB291_15
; %bb.9:
	v_add_co_u32_e32 v12, vcc, 0x4000, v8
	v_add_u32_e32 v7, 0x3000, v11
	s_nop 0
	v_addc_co_u32_e32 v13, vcc, 0, v9, vcc
	global_load_dwordx4 v[12:15], v[12:13], off
	v_cmp_gt_u32_e32 vcc, s4, v7
	s_waitcnt vmcnt(0)
	ds_write_b128 v6, v[12:15] offset:16384
	s_and_saveexec_b64 s[6:7], vcc
	s_xor_b64 s[6:7], exec, s[6:7]
	s_cbranch_execz .LBB291_15
; %bb.10:
	;; [unrolled: 12-line block ×6, first 2 shown]
	v_add_co_u32_e32 v8, vcc, 0xe000, v8
	s_nop 1
	v_addc_co_u32_e32 v9, vcc, 0, v9, vcc
	global_load_dwordx4 v[12:15], v[8:9], off
	s_waitcnt vmcnt(0)
	ds_write_b128 v6, v[12:15] offset:57344
.LBB291_15:
	s_or_b64 exec, exec, s[2:3]
	v_cmp_gt_u32_e32 vcc, s8, v1
	v_cmp_gt_u32_e64 s[2:3], s15, v158
	s_and_b64 s[2:3], vcc, s[2:3]
	s_waitcnt lgkmcnt(0)
	s_barrier
	s_and_saveexec_b64 s[4:5], s[2:3]
	s_cbranch_execz .LBB291_194
; %bb.16:
	s_load_dwordx4 s[16:19], s[0:1], 0x28
	s_load_dwordx2 s[24:25], s[0:1], 0x18
	s_cmp_lg_u32 s12, 0
	s_cselect_b64 s[2:3], -1, 0
	s_add_i32 s33, s12, -8
	s_add_i32 s40, s15, -1
	s_mul_i32 s4, s8, s9
	s_waitcnt lgkmcnt(0)
	s_cmp_lg_u64 s[16:17], 0
	s_cselect_b64 s[28:29], -1, 0
	s_lshl_b32 s41, s4, 2
	s_abs_i32 s4, s23
	v_cvt_f32_u32_e32 v1, s22
	v_cvt_f32_u32_e32 v6, s4
	s_sub_i32 s5, 0, s22
	s_add_i32 s42, s15, -4
	v_rcp_iflag_f32_e32 v1, v1
	v_rcp_iflag_f32_e32 v6, v6
	s_lshl_b32 s23, s14, 1
	v_cmp_eq_u32_e64 s[0:1], 31, v10
	v_mul_f32_e32 v1, 0x4f7ffffe, v1
	v_mul_f32_e32 v6, 0x4f7ffffe, v6
	v_cvt_u32_f32_e32 v1, v1
	v_cvt_u32_f32_e32 v6, v6
	s_mov_b64 s[26:27], 0
	v_mov_b32_e32 v161, 0
	v_mul_lo_u32 v7, s5, v1
	s_sub_i32 s5, 0, s4
	v_readfirstlane_b32 s6, v6
	s_mul_i32 s5, s5, s6
	s_mul_hi_u32 s5, s6, s5
	s_add_i32 s6, s6, s5
	s_sub_i32 s5, 1, s4
	s_cmp_lt_u32 s4, 2
	s_cselect_b32 s5, s5, 1
	s_sub_i32 s7, s5, s4
	s_cmp_ge_u32 s5, s4
	s_cselect_b32 s43, s7, s5
	s_lshr_b32 s5, s6, 31
	s_mul_i32 s5, s5, s4
	s_sub_i32 s5, 2, s5
	s_sub_i32 s7, s5, s4
	s_cmp_ge_u32 s5, s4
	s_cselect_b32 s5, s7, s5
	s_sub_i32 s7, s5, s4
	s_cmp_ge_u32 s5, s4
	s_cselect_b32 s44, s7, s5
	s_mul_hi_u32 s5, s6, 3
	s_mul_i32 s5, s5, s4
	s_sub_i32 s5, 3, s5
	s_sub_i32 s7, s5, s4
	s_cmp_ge_u32 s5, s4
	s_cselect_b32 s5, s7, s5
	s_sub_i32 s7, s5, s4
	s_cmp_ge_u32 s5, s4
	s_cselect_b32 s45, s7, s5
	s_lshr_b32 s5, s6, 30
	s_mul_i32 s5, s5, s4
	s_sub_i32 s5, 4, s5
	s_sub_i32 s6, s5, s4
	s_cmp_ge_u32 s5, s4
	s_cselect_b32 s5, s6, s5
	v_mul_hi_u32 v7, v1, v7
	s_sub_i32 s6, s5, s4
	v_add_u32_e32 v1, v1, v7
	s_cmp_ge_u32 s5, s4
	s_cselect_b32 s46, s6, s5
	s_lshl_b32 s47, s14, 2
	v_mad_u64_u32 v[162:163], s[4:5], s14, 3, v[0:1]
	v_cndmask_b32_e64 v6, 0, 1, s[2:3]
	s_mul_i32 s43, s43, s22
	s_mul_i32 s44, s44, s22
	;; [unrolled: 1-line block ×4, first 2 shown]
	v_lshlrev_b32_e32 v186, 4, v10
	v_add_u32_e32 v187, s23, v0
	s_mul_i32 s48, s14, 6
	s_lshl_b32 s49, s14, 3
	v_add_u32_e32 v163, s47, v0
	v_add_u32_e32 v188, s14, v0
	v_cmp_ne_u32_e64 s[2:3], 1, v6
	s_movk_i32 s14, 0x7fff
	s_mov_b32 s50, 0x7f800000
	s_mov_b32 s30, 0
	s_branch .LBB291_19
.LBB291_17:                             ;   in Loop: Header=BB291_19 Depth=1
	s_or_b64 exec, exec, s[8:9]
	v_mov_b32_e32 v158, s42
.LBB291_18:                             ;   in Loop: Header=BB291_19 Depth=1
	s_or_b64 exec, exec, s[6:7]
	v_cmp_le_u32_e32 vcc, s15, v158
	s_or_b64 s[26:27], vcc, s[26:27]
	s_andn2_b64 exec, exec, s[26:27]
	s_cbranch_execz .LBB291_194
.LBB291_19:                             ; =>This Loop Header: Depth=1
                                        ;     Child Loop BB291_24 Depth 2
                                        ;     Child Loop BB291_192 Depth 2
	s_and_b64 vcc, exec, s[2:3]
	v_add_u32_e32 v168, 1, v158
	v_add_u32_e32 v166, 2, v158
	;; [unrolled: 1-line block ×3, first 2 shown]
	s_waitcnt vmcnt(2)
	v_mov_b32_e32 v17, v161
	s_waitcnt vmcnt(1)
	v_mov_b32_e32 v16, v161
	;; [unrolled: 2-line block ×3, first 2 shown]
	v_mov_b32_e32 v14, v161
	v_mov_b32_e32 v9, v161
	;; [unrolled: 1-line block ×77, first 2 shown]
	s_cbranch_vccnz .LBB291_66
; %bb.20:                               ;   in Loop: Header=BB291_19 Depth=1
	v_min_u32_e32 v6, s40, v158
	v_mul_lo_u32 v160, v6, s13
	v_min_u32_e32 v6, s40, v168
	v_min_u32_e32 v8, s40, v166
	;; [unrolled: 1-line block ×3, first 2 shown]
	v_mul_lo_u32 v6, v6, s13
	v_mov_b32_e32 v7, v161
	v_mul_lo_u32 v8, v8, s13
	v_mov_b32_e32 v9, v161
	;; [unrolled: 2-line block ×3, first 2 shown]
	v_mov_b32_e32 v38, 0
	s_mov_b32 s4, 0
	v_lshlrev_b64 v[170:171], 1, v[160:161]
	v_lshlrev_b64 v[172:173], 1, v[6:7]
	;; [unrolled: 1-line block ×4, first 2 shown]
	v_mov_b32_e32 v159, v186
	s_mov_b32 s34, 0
	v_mov_b32_e32 v39, v38
	v_mov_b32_e32 v40, v38
	v_mov_b32_e32 v41, v38
	v_mov_b32_e32 v42, v38
	v_mov_b32_e32 v43, v38
	v_mov_b32_e32 v44, v38
	v_mov_b32_e32 v45, v38
	v_mov_b32_e32 v46, v38
	v_mov_b32_e32 v47, v38
	v_mov_b32_e32 v48, v38
	v_mov_b32_e32 v49, v38
	v_mov_b32_e32 v50, v38
	v_mov_b32_e32 v51, v38
	v_mov_b32_e32 v52, v38
	v_mov_b32_e32 v53, v38
	v_mov_b32_e32 v54, v38
	v_mov_b32_e32 v55, v38
	v_mov_b32_e32 v56, v38
	v_mov_b32_e32 v57, v38
	v_mov_b32_e32 v58, v38
	v_mov_b32_e32 v59, v38
	v_mov_b32_e32 v60, v38
	v_mov_b32_e32 v61, v38
	v_mov_b32_e32 v62, v38
	v_mov_b32_e32 v63, v38
	v_mov_b32_e32 v64, v38
	v_mov_b32_e32 v65, v38
	v_mov_b32_e32 v66, v38
	v_mov_b32_e32 v67, v38
	v_mov_b32_e32 v68, v38
	v_mov_b32_e32 v69, v38
	v_mov_b32_e32 v70, v38
	v_mov_b32_e32 v71, v38
	v_mov_b32_e32 v72, v38
	v_mov_b32_e32 v73, v38
	v_mov_b32_e32 v74, v38
	v_mov_b32_e32 v75, v38
	v_mov_b32_e32 v76, v38
	v_mov_b32_e32 v77, v38
	v_mov_b32_e32 v78, v38
	v_mov_b32_e32 v79, v38
	v_mov_b32_e32 v80, v38
	v_mov_b32_e32 v81, v38
	v_mov_b32_e32 v82, v38
	v_mov_b32_e32 v83, v38
	v_mov_b32_e32 v84, v38
	v_mov_b32_e32 v85, v38
	v_mov_b32_e32 v34, v38
	v_mov_b32_e32 v35, v38
	v_mov_b32_e32 v36, v38
	v_mov_b32_e32 v37, v38
	v_mov_b32_e32 v30, v38
	v_mov_b32_e32 v31, v38
	v_mov_b32_e32 v32, v38
	v_mov_b32_e32 v33, v38
	v_mov_b32_e32 v26, v38
	v_mov_b32_e32 v27, v38
	v_mov_b32_e32 v28, v38
	v_mov_b32_e32 v29, v38
	v_mov_b32_e32 v22, v38
	v_mov_b32_e32 v23, v38
	v_mov_b32_e32 v24, v38
	v_mov_b32_e32 v25, v38
	v_mov_b32_e32 v18, v38
	v_mov_b32_e32 v19, v38
	v_mov_b32_e32 v20, v38
	v_mov_b32_e32 v21, v38
	v_mov_b32_e32 v10, v38
	v_mov_b32_e32 v11, v38
	v_mov_b32_e32 v12, v38
	v_mov_b32_e32 v13, v38
	v_mov_b32_e32 v6, v38
	v_mov_b32_e32 v7, v38
	v_mov_b32_e32 v8, v38
	v_mov_b32_e32 v9, v38
	v_mov_b32_e32 v14, v38
	v_mov_b32_e32 v15, v38
	v_mov_b32_e32 v16, v38
	v_mov_b32_e32 v17, v38
	s_branch .LBB291_24
.LBB291_21:                             ;   in Loop: Header=BB291_24 Depth=2
	s_or_b64 exec, exec, s[10:11]
.LBB291_22:                             ;   in Loop: Header=BB291_24 Depth=2
	s_or_b64 exec, exec, s[8:9]
.LBB291_23:                             ;   in Loop: Header=BB291_24 Depth=2
	s_or_b64 exec, exec, s[6:7]
	s_waitcnt vmcnt(0) lgkmcnt(0)
	v_mfma_f32_4x4x4_16b_bf16 v[82:85], v[118:119], v[94:95], v[82:85]
	s_addk_i32 s34, 0x200
	v_mfma_f32_4x4x4_16b_bf16 v[78:81], v[118:119], v[90:91], v[78:81]
	v_add_u32_e32 v159, 0x400, v159
	v_mfma_f32_4x4x4_16b_bf16 v[74:77], v[118:119], v[102:103], v[74:77]
	s_cmp_ge_u32 s34, s12
	v_mfma_f32_4x4x4_16b_bf16 v[70:73], v[118:119], v[98:99], v[70:73]
	v_mfma_f32_4x4x4_16b_bf16 v[66:69], v[122:123], v[94:95], v[66:69]
	;; [unrolled: 1-line block ×77, first 2 shown]
	s_cbranch_scc1 .LBB291_66
.LBB291_24:                             ;   Parent Loop BB291_19 Depth=1
                                        ; =>  This Inner Loop Header: Depth=2
	v_add_u32_e32 v180, s34, v0
	v_min_u32_e32 v160, s33, v180
	v_lshl_add_u64 v[86:87], v[160:161], 1, s[24:25]
	v_lshl_add_u64 v[88:89], v[86:87], 0, v[170:171]
	v_add_u32_e32 v178, 0x100, v180
	v_lshl_add_u64 v[98:99], v[86:87], 0, v[172:173]
	global_load_dwordx4 v[94:97], v[88:89], off nt
	global_load_dwordx4 v[90:93], v[98:99], off nt
	v_lshl_add_u64 v[88:89], v[86:87], 0, v[174:175]
	v_lshl_add_u64 v[86:87], v[86:87], 0, v[176:177]
	v_min_u32_e32 v160, s33, v178
	global_load_dwordx4 v[102:105], v[88:89], off nt
	global_load_dwordx4 v[98:101], v[86:87], off nt
	v_lshl_add_u64 v[86:87], v[160:161], 1, s[24:25]
	v_lshl_add_u64 v[88:89], v[86:87], 0, v[170:171]
	;; [unrolled: 1-line block ×3, first 2 shown]
	global_load_dwordx4 v[110:113], v[88:89], off nt
	s_nop 0
	global_load_dwordx4 v[106:109], v[106:107], off nt
	v_lshl_add_u64 v[88:89], v[86:87], 0, v[174:175]
	v_lshl_add_u64 v[86:87], v[86:87], 0, v[176:177]
	global_load_dwordx4 v[114:117], v[88:89], off nt
	s_nop 0
	global_load_dwordx4 v[86:89], v[86:87], off nt
	s_mov_b32 s5, s4
	v_cmp_gt_u32_e32 vcc, s12, v180
	v_mov_b64_e32 v[118:119], s[4:5]
	v_mov_b32_e32 v147, 0
	v_mov_b32_e32 v146, 0
	;; [unrolled: 1-line block ×4, first 2 shown]
	v_mov_b64_e32 v[120:121], s[4:5]
	v_mov_b64_e32 v[138:139], s[4:5]
	;; [unrolled: 1-line block ×17, first 2 shown]
	s_and_saveexec_b64 s[6:7], vcc
	s_cbranch_execz .LBB291_23
; %bb.25:                               ;   in Loop: Header=BB291_24 Depth=2
	v_cmp_lt_u32_e32 vcc, s14, v180
                                        ; implicit-def: $vgpr118_vgpr119
	s_and_saveexec_b64 s[8:9], vcc
	s_xor_b64 s[8:9], exec, s[8:9]
	s_cbranch_execz .LBB291_27
; %bb.26:                               ;   in Loop: Header=BB291_24 Depth=2
	v_mov_b32_e32 v181, v161
	v_lshl_add_u64 v[118:119], v[180:181], 1, s[20:21]
	global_load_dwordx4 v[118:121], v[118:119], off
.LBB291_27:                             ;   in Loop: Header=BB291_24 Depth=2
	s_andn2_saveexec_b64 s[8:9], s[8:9]
	s_cbranch_execz .LBB291_29
; %bb.28:                               ;   in Loop: Header=BB291_24 Depth=2
	s_waitcnt vmcnt(0)
	ds_read_b128 v[118:121], v159
.LBB291_29:                             ;   in Loop: Header=BB291_24 Depth=2
	s_or_b64 exec, exec, s[8:9]
	v_add_u32_e32 v160, s34, v188
	v_cmp_lt_u32_e32 vcc, s14, v160
                                        ; implicit-def: $vgpr122_vgpr123
	s_and_saveexec_b64 s[8:9], vcc
	s_xor_b64 s[8:9], exec, s[8:9]
	s_cbranch_execz .LBB291_31
; %bb.30:                               ;   in Loop: Header=BB291_24 Depth=2
	v_lshl_add_u64 v[122:123], v[160:161], 1, s[20:21]
	global_load_dwordx4 v[122:125], v[122:123], off
.LBB291_31:                             ;   in Loop: Header=BB291_24 Depth=2
	s_andn2_saveexec_b64 s[8:9], s[8:9]
	s_cbranch_execz .LBB291_33
; %bb.32:                               ;   in Loop: Header=BB291_24 Depth=2
	s_waitcnt vmcnt(0)
	v_add_u32_e32 v122, s23, v159
	ds_read_b128 v[122:125], v122
.LBB291_33:                             ;   in Loop: Header=BB291_24 Depth=2
	s_or_b64 exec, exec, s[8:9]
	v_add_u32_e32 v184, s34, v187
	v_cmp_lt_u32_e32 vcc, s14, v184
                                        ; implicit-def: $vgpr126_vgpr127
	s_and_saveexec_b64 s[8:9], vcc
	s_xor_b64 s[8:9], exec, s[8:9]
	s_cbranch_execz .LBB291_35
; %bb.34:                               ;   in Loop: Header=BB291_24 Depth=2
	v_mov_b32_e32 v185, v161
	v_lshl_add_u64 v[126:127], v[184:185], 1, s[20:21]
	global_load_dwordx4 v[126:129], v[126:127], off
.LBB291_35:                             ;   in Loop: Header=BB291_24 Depth=2
	s_andn2_saveexec_b64 s[8:9], s[8:9]
	s_cbranch_execz .LBB291_37
; %bb.36:                               ;   in Loop: Header=BB291_24 Depth=2
	s_waitcnt vmcnt(0)
	v_add_u32_e32 v128, s47, v159
	ds_read2_b32 v[126:127], v128 offset1:1
	ds_read2_b32 v[128:129], v128 offset0:2 offset1:3
.LBB291_37:                             ;   in Loop: Header=BB291_24 Depth=2
	s_or_b64 exec, exec, s[8:9]
	v_add_u32_e32 v182, s34, v162
	v_cmp_lt_u32_e32 vcc, s14, v182
                                        ; implicit-def: $vgpr130_vgpr131
	s_and_saveexec_b64 s[8:9], vcc
	s_xor_b64 s[8:9], exec, s[8:9]
	s_cbranch_execz .LBB291_39
; %bb.38:                               ;   in Loop: Header=BB291_24 Depth=2
	v_mov_b32_e32 v183, v161
	v_lshl_add_u64 v[130:131], v[182:183], 1, s[20:21]
	global_load_dwordx4 v[130:133], v[130:131], off
.LBB291_39:                             ;   in Loop: Header=BB291_24 Depth=2
	s_andn2_saveexec_b64 s[8:9], s[8:9]
	s_cbranch_execz .LBB291_41
; %bb.40:                               ;   in Loop: Header=BB291_24 Depth=2
	s_waitcnt vmcnt(0)
	v_add_u32_e32 v130, s48, v159
	ds_read_b128 v[130:133], v130
.LBB291_41:                             ;   in Loop: Header=BB291_24 Depth=2
	s_or_b64 exec, exec, s[8:9]
	v_add_u32_e32 v180, s34, v163
	v_cmp_lt_u32_e32 vcc, s14, v180
                                        ; implicit-def: $vgpr134_vgpr135
	s_and_saveexec_b64 s[8:9], vcc
	s_xor_b64 s[8:9], exec, s[8:9]
	s_cbranch_execz .LBB291_43
; %bb.42:                               ;   in Loop: Header=BB291_24 Depth=2
	v_mov_b32_e32 v181, v161
	v_lshl_add_u64 v[134:135], v[180:181], 1, s[20:21]
	global_load_dwordx4 v[134:137], v[134:135], off
.LBB291_43:                             ;   in Loop: Header=BB291_24 Depth=2
	s_andn2_saveexec_b64 s[8:9], s[8:9]
	s_cbranch_execz .LBB291_45
; %bb.44:                               ;   in Loop: Header=BB291_24 Depth=2
	s_waitcnt vmcnt(0)
	v_add_u32_e32 v134, s49, v159
	ds_read2_b64 v[134:137], v134 offset1:1
.LBB291_45:                             ;   in Loop: Header=BB291_24 Depth=2
	s_or_b64 exec, exec, s[8:9]
	s_mov_b32 s31, s30
	v_cmp_gt_u32_e32 vcc, s12, v178
	v_mov_b32_e32 v147, 0
	v_mov_b64_e32 v[138:139], s[30:31]
	v_mov_b32_e32 v146, 0
	v_mov_b32_e32 v149, 0
	;; [unrolled: 1-line block ×3, first 2 shown]
	v_mov_b64_e32 v[140:141], s[30:31]
	v_mov_b64_e32 v[142:143], s[30:31]
	;; [unrolled: 1-line block ×7, first 2 shown]
	s_and_saveexec_b64 s[8:9], vcc
	s_cbranch_execz .LBB291_22
; %bb.46:                               ;   in Loop: Header=BB291_24 Depth=2
	v_cmp_lt_u32_e32 vcc, s14, v178
                                        ; implicit-def: $vgpr138_vgpr139
	s_and_saveexec_b64 s[10:11], vcc
	s_xor_b64 s[10:11], exec, s[10:11]
	s_cbranch_execz .LBB291_48
; %bb.47:                               ;   in Loop: Header=BB291_24 Depth=2
	v_mov_b32_e32 v179, v161
	v_lshl_add_u64 v[138:139], v[178:179], 1, s[20:21]
	global_load_dwordx4 v[138:141], v[138:139], off
.LBB291_48:                             ;   in Loop: Header=BB291_24 Depth=2
	s_andn2_saveexec_b64 s[10:11], s[10:11]
	s_cbranch_execz .LBB291_50
; %bb.49:                               ;   in Loop: Header=BB291_24 Depth=2
	s_waitcnt vmcnt(0)
	ds_read_b128 v[138:141], v159 offset:512
.LBB291_50:                             ;   in Loop: Header=BB291_24 Depth=2
	s_or_b64 exec, exec, s[10:11]
	v_add_u32_e32 v160, 0x100, v160
	v_cmp_lt_u32_e32 vcc, s14, v160
                                        ; implicit-def: $vgpr142_vgpr143
	s_and_saveexec_b64 s[10:11], vcc
	s_xor_b64 s[10:11], exec, s[10:11]
	s_cbranch_execz .LBB291_52
; %bb.51:                               ;   in Loop: Header=BB291_24 Depth=2
	v_lshl_add_u64 v[142:143], v[160:161], 1, s[20:21]
	global_load_dwordx4 v[142:145], v[142:143], off
.LBB291_52:                             ;   in Loop: Header=BB291_24 Depth=2
	s_andn2_saveexec_b64 s[10:11], s[10:11]
	s_cbranch_execz .LBB291_54
; %bb.53:                               ;   in Loop: Header=BB291_24 Depth=2
	s_waitcnt vmcnt(0)
	v_add_u32_e32 v142, s23, v159
	ds_read_b128 v[142:145], v142 offset:512
.LBB291_54:                             ;   in Loop: Header=BB291_24 Depth=2
	s_or_b64 exec, exec, s[10:11]
	v_add_u32_e32 v160, 0x100, v184
	v_cmp_lt_u32_e32 vcc, s14, v160
                                        ; implicit-def: $vgpr150_vgpr151
	s_and_saveexec_b64 s[10:11], vcc
	s_xor_b64 s[10:11], exec, s[10:11]
	s_cbranch_execz .LBB291_56
; %bb.55:                               ;   in Loop: Header=BB291_24 Depth=2
	v_lshl_add_u64 v[146:147], v[160:161], 1, s[20:21]
	global_load_dwordx4 v[150:153], v[146:147], off
.LBB291_56:                             ;   in Loop: Header=BB291_24 Depth=2
	s_andn2_saveexec_b64 s[10:11], s[10:11]
	s_cbranch_execz .LBB291_58
; %bb.57:                               ;   in Loop: Header=BB291_24 Depth=2
	v_add_u32_e32 v146, s47, v159
	s_waitcnt vmcnt(0)
	ds_read2_b32 v[150:151], v146 offset0:128 offset1:129
	ds_read2_b32 v[152:153], v146 offset0:130 offset1:131
.LBB291_58:                             ;   in Loop: Header=BB291_24 Depth=2
	s_or_b64 exec, exec, s[10:11]
	v_add_u32_e32 v160, 0x100, v182
	v_cmp_lt_u32_e32 vcc, s14, v160
                                        ; implicit-def: $vgpr154_vgpr155
	s_and_saveexec_b64 s[10:11], vcc
	s_xor_b64 s[10:11], exec, s[10:11]
	s_cbranch_execz .LBB291_60
; %bb.59:                               ;   in Loop: Header=BB291_24 Depth=2
	v_lshl_add_u64 v[146:147], v[160:161], 1, s[20:21]
	global_load_dwordx4 v[154:157], v[146:147], off
.LBB291_60:                             ;   in Loop: Header=BB291_24 Depth=2
	s_andn2_saveexec_b64 s[10:11], s[10:11]
	s_cbranch_execz .LBB291_62
; %bb.61:                               ;   in Loop: Header=BB291_24 Depth=2
	v_add_u32_e32 v146, s48, v159
	s_waitcnt vmcnt(0)
	ds_read_b128 v[154:157], v146 offset:512
.LBB291_62:                             ;   in Loop: Header=BB291_24 Depth=2
	s_or_b64 exec, exec, s[10:11]
	v_add_u32_e32 v160, 0x100, v180
	v_cmp_lt_u32_e32 vcc, s14, v160
                                        ; implicit-def: $vgpr147
	s_and_saveexec_b64 s[10:11], vcc
	s_xor_b64 s[10:11], exec, s[10:11]
	s_cbranch_execz .LBB291_64
; %bb.63:                               ;   in Loop: Header=BB291_24 Depth=2
	v_lshl_add_u64 v[146:147], v[160:161], 1, s[20:21]
	global_load_dwordx4 v[146:149], v[146:147], off
.LBB291_64:                             ;   in Loop: Header=BB291_24 Depth=2
	s_andn2_saveexec_b64 s[10:11], s[10:11]
	s_cbranch_execz .LBB291_21
; %bb.65:                               ;   in Loop: Header=BB291_24 Depth=2
	s_waitcnt vmcnt(0)
	v_add_u32_e32 v146, s49, v159
	ds_read2_b64 v[146:149], v146 offset0:64 offset1:65
	s_branch .LBB291_21
.LBB291_66:                             ;   in Loop: Header=BB291_19 Depth=1
	v_cvt_i32_f32_e32 v83, v83
	v_cvt_i32_f32_e32 v84, v84
	;; [unrolled: 1-line block ×4, first 2 shown]
	v_cvt_f32_i32_dpp v83, v83 row_shl:1 row_mask:0xf bank_mask:0xf bound_ctrl:1
	v_cvt_f32_i32_dpp v84, v84 row_shl:2 row_mask:0xf bank_mask:0xf bound_ctrl:1
	;; [unrolled: 1-line block ×3, first 2 shown]
	v_cvt_i32_f32_e32 v80, v80
	v_add_f32_e32 v82, v82, v83
	v_add_f32_e32 v82, v82, v84
	;; [unrolled: 1-line block ×3, first 2 shown]
	v_cvt_i32_f32_e32 v83, v82
	v_cvt_i32_f32_e32 v81, v81
	v_cvt_f32_i32_dpp v79, v79 row_shl:1 row_mask:0xf bank_mask:0xf bound_ctrl:1
	v_cvt_f32_i32_dpp v80, v80 row_shl:2 row_mask:0xf bank_mask:0xf bound_ctrl:1
	;; [unrolled: 1-line block ×4, first 2 shown]
	v_add_f32_e32 v78, v78, v79
	v_cvt_i32_f32_e32 v75, v75
	v_add_f32_e32 v79, v82, v83
	v_cvt_i32_f32_e32 v82, v79
	v_add_f32_e32 v78, v78, v80
	v_add_f32_e32 v78, v78, v81
	v_cvt_i32_f32_e32 v76, v76
	v_cvt_i32_f32_e32 v80, v78
	;; [unrolled: 1-line block ×3, first 2 shown]
	v_cvt_f32_i32_dpp v81, v82 row_shl:8 row_mask:0xf bank_mask:0xf bound_ctrl:1
	v_cvt_f32_i32_dpp v75, v75 row_shl:1 row_mask:0xf bank_mask:0xf bound_ctrl:1
	;; [unrolled: 1-line block ×5, first 2 shown]
	v_add_f32_e32 v79, v79, v81
	v_cvt_i32_f32_e32 v79, v79
	v_add_f32_e32 v74, v74, v75
	v_add_f32_e32 v74, v74, v76
	;; [unrolled: 1-line block ×4, first 2 shown]
	v_cvt_i32_f32_e32 v80, v78
	v_cvt_i32_f32_e32 v75, v74
	v_cvt_f32_i32_dpp v79, v79 row_shr:15 row_mask:0xf bank_mask:0xf bound_ctrl:1
	v_cvt_i32_f32_e32 v71, v71
	v_cvt_i32_f32_e32 v72, v72
	v_cvt_f32_i32_dpp v77, v80 row_shl:8 row_mask:0xf bank_mask:0xf bound_ctrl:1
	v_cvt_f32_i32_dpp v75, v75 row_shl:4 row_mask:0xf bank_mask:0xf bound_ctrl:1
	v_cvt_i32_f32_e32 v73, v73
	v_cvt_i32_f32_e32 v76, v79
	v_cvt_f32_i32_dpp v71, v71 row_shl:1 row_mask:0xf bank_mask:0xf bound_ctrl:1
	v_cvt_f32_i32_dpp v72, v72 row_shl:2 row_mask:0xf bank_mask:0xf bound_ctrl:1
	v_add_f32_e32 v77, v78, v77
	v_add_f32_e32 v75, v74, v75
	v_cvt_f32_i32_dpp v73, v73 row_shl:3 row_mask:0xf bank_mask:0xf bound_ctrl:1
	v_cvt_f32_i32_dpp v76, v76 row_bcast:15 row_mask:0xf bank_mask:0xf bound_ctrl:1
	v_cvt_i32_f32_e32 v77, v77
	v_cvt_i32_f32_e32 v78, v75
	v_add_f32_e32 v70, v70, v71
	v_add_f32_e32 v70, v70, v72
	;; [unrolled: 1-line block ×4, first 2 shown]
	v_cvt_f32_i32_dpp v76, v77 row_shr:15 row_mask:0xf bank_mask:0xf bound_ctrl:1
	v_cvt_f32_i32_dpp v77, v78 row_shl:8 row_mask:0xf bank_mask:0xf bound_ctrl:1
	v_cvt_i32_f32_e32 v71, v70
	v_cvt_i32_f32_e32 v67, v67
	;; [unrolled: 1-line block ×4, first 2 shown]
	v_add_f32_e32 v75, v75, v77
	v_cvt_f32_i32_dpp v77, v71 row_shl:4 row_mask:0xf bank_mask:0xf bound_ctrl:1
	v_cvt_i32_f32_e32 v72, v74
	v_cvt_i32_f32_e32 v73, v76
	v_cvt_f32_i32_dpp v67, v67 row_shl:1 row_mask:0xf bank_mask:0xf bound_ctrl:1
	v_cvt_f32_i32_dpp v68, v68 row_shl:2 row_mask:0xf bank_mask:0xf bound_ctrl:1
	v_cvt_f32_i32_dpp v69, v69 row_shl:3 row_mask:0xf bank_mask:0xf bound_ctrl:1
	v_add_f32_e32 v77, v70, v77
	v_mov_b32_dpp v71, v72 row_bcast:31 row_mask:0xf bank_mask:0xf bound_ctrl:1
	v_cvt_f32_i32_dpp v72, v73 row_bcast:15 row_mask:0xf bank_mask:0xf bound_ctrl:1
	v_cvt_i32_f32_e32 v78, v77
	v_add_f32_e32 v66, v66, v67
	v_add_f32_e32 v66, v66, v68
	v_cvt_i32_f32_e32 v63, v63
	v_add_f32_e32 v68, v66, v69
	v_cvt_i32_f32_e32 v64, v64
	v_cvt_i32_f32_e32 v69, v68
	;; [unrolled: 1-line block ×3, first 2 shown]
	v_add_f32_e32 v70, v76, v72
	v_cvt_f32_i32_dpp v76, v78 row_shl:8 row_mask:0xf bank_mask:0xf bound_ctrl:1
	v_cvt_i32_f32_e32 v75, v75
	v_cvt_f32_i32_dpp v63, v63 row_shl:1 row_mask:0xf bank_mask:0xf bound_ctrl:1
	v_cvt_f32_i32_dpp v64, v64 row_shl:2 row_mask:0xf bank_mask:0xf bound_ctrl:1
	;; [unrolled: 1-line block ×4, first 2 shown]
	v_add_f32_e32 v76, v77, v76
	v_cvt_f32_i32_dpp v75, v75 row_shr:15 row_mask:0xf bank_mask:0xf bound_ctrl:1
	v_cvt_i32_f32_e32 v72, v70
	v_cvt_i32_f32_e32 v76, v76
	v_add_f32_e32 v62, v62, v63
	v_add_f32_e32 v62, v62, v64
	;; [unrolled: 1-line block ×4, first 2 shown]
	v_cvt_i32_f32_e32 v69, v68
	v_cvt_i32_f32_e32 v63, v62
	;; [unrolled: 1-line block ×3, first 2 shown]
	v_mov_b32_dpp v67, v72 row_bcast:31 row_mask:0xf bank_mask:0xf bound_ctrl:1
	v_cvt_f32_i32_dpp v72, v76 row_shr:15 row_mask:0xf bank_mask:0xf bound_ctrl:1
	v_cvt_f32_i32_dpp v65, v69 row_shl:8 row_mask:0xf bank_mask:0xf bound_ctrl:1
	v_cvt_f32_i32_dpp v63, v63 row_shl:4 row_mask:0xf bank_mask:0xf bound_ctrl:1
	v_cvt_f32_i32_dpp v73, v73 row_bcast:15 row_mask:0xf bank_mask:0xf bound_ctrl:1
	v_cvt_i32_f32_e32 v64, v72
	v_add_f32_e32 v65, v68, v65
	v_add_f32_e32 v68, v62, v63
	;; [unrolled: 1-line block ×3, first 2 shown]
	v_cvt_f32_i32_dpp v64, v64 row_bcast:15 row_mask:0xf bank_mask:0xf bound_ctrl:1
	v_cvt_i32_f32_e32 v65, v65
	v_cvt_i32_f32_e32 v73, v68
	;; [unrolled: 1-line block ×4, first 2 shown]
	v_add_f32_e32 v62, v72, v64
	v_cvt_f32_i32_dpp v64, v65 row_shr:15 row_mask:0xf bank_mask:0xf bound_ctrl:1
	v_cvt_f32_i32_dpp v65, v73 row_shl:8 row_mask:0xf bank_mask:0xf bound_ctrl:1
	v_cvt_i32_f32_e32 v61, v61
	v_cvt_f32_i32_dpp v59, v59 row_shl:1 row_mask:0xf bank_mask:0xf bound_ctrl:1
	v_cvt_f32_i32_dpp v60, v60 row_shl:2 row_mask:0xf bank_mask:0xf bound_ctrl:1
	v_add_f32_e32 v65, v68, v65
	v_cvt_f32_i32_dpp v61, v61 row_shl:3 row_mask:0xf bank_mask:0xf bound_ctrl:1
	v_cvt_i32_f32_e32 v65, v65
	v_add_f32_e32 v58, v58, v59
	v_cvt_i32_f32_e32 v55, v55
	v_add_f32_e32 v58, v58, v60
	v_cvt_i32_f32_e32 v56, v56
	v_add_f32_e32 v58, v58, v61
	v_cvt_i32_f32_e32 v57, v57
	v_cvt_i32_f32_e32 v59, v58
	;; [unrolled: 1-line block ×4, first 2 shown]
	v_cvt_f32_i32_dpp v65, v65 row_shr:15 row_mask:0xf bank_mask:0xf bound_ctrl:1
	v_cvt_f32_i32_dpp v55, v55 row_shl:1 row_mask:0xf bank_mask:0xf bound_ctrl:1
	v_cvt_f32_i32_dpp v56, v56 row_shl:2 row_mask:0xf bank_mask:0xf bound_ctrl:1
	;; [unrolled: 1-line block ×4, first 2 shown]
	v_mov_b32_dpp v59, v60 row_bcast:31 row_mask:0xf bank_mask:0xf bound_ctrl:1
	v_cvt_f32_i32_dpp v60, v61 row_bcast:15 row_mask:0xf bank_mask:0xf bound_ctrl:1
	v_cvt_i32_f32_e32 v61, v65
	v_add_f32_e32 v54, v54, v55
	v_add_f32_e32 v54, v54, v56
	;; [unrolled: 1-line block ×3, first 2 shown]
	v_cvt_f32_i32_dpp v61, v61 row_bcast:15 row_mask:0xf bank_mask:0xf bound_ctrl:1
	v_cvt_i32_f32_e32 v55, v57
	v_cvt_i32_f32_e32 v69, v66
	;; [unrolled: 1-line block ×4, first 2 shown]
	v_add_f32_e32 v68, v58, v68
	v_add_f32_e32 v54, v65, v61
	v_cvt_f32_i32_dpp v65, v55 row_shl:4 row_mask:0xf bank_mask:0xf bound_ctrl:1
	v_cvt_i32_f32_e32 v53, v53
	v_mov_b32_dpp v63, v69 row_bcast:31 row_mask:0xf bank_mask:0xf bound_ctrl:1
	v_cvt_i32_f32_e32 v69, v68
	v_cvt_i32_f32_e32 v61, v54
	v_cvt_f32_i32_dpp v51, v51 row_shl:1 row_mask:0xf bank_mask:0xf bound_ctrl:1
	v_cvt_f32_i32_dpp v52, v52 row_shl:2 row_mask:0xf bank_mask:0xf bound_ctrl:1
	v_add_f32_e32 v57, v57, v65
	v_cvt_f32_i32_dpp v53, v53 row_shl:3 row_mask:0xf bank_mask:0xf bound_ctrl:1
	v_add_f32_e32 v58, v64, v60
	v_cvt_f32_i32_dpp v64, v69 row_shl:8 row_mask:0xf bank_mask:0xf bound_ctrl:1
	v_mov_b32_dpp v55, v61 row_bcast:31 row_mask:0xf bank_mask:0xf bound_ctrl:1
	v_cvt_i32_f32_e32 v61, v57
	v_add_f32_e32 v50, v50, v51
	v_add_f32_e32 v50, v50, v52
	;; [unrolled: 1-line block ×4, first 2 shown]
	v_cvt_f32_i32_dpp v61, v61 row_shl:8 row_mask:0xf bank_mask:0xf bound_ctrl:1
	v_cvt_i32_f32_e32 v50, v51
	v_cvt_i32_f32_e32 v64, v64
	;; [unrolled: 1-line block ×4, first 2 shown]
	v_add_f32_e32 v53, v57, v61
	v_cvt_f32_i32_dpp v57, v50 row_shl:4 row_mask:0xf bank_mask:0xf bound_ctrl:1
	v_cvt_i32_f32_e32 v49, v49
	v_cvt_i32_f32_e32 v60, v58
	v_cvt_f32_i32_dpp v64, v64 row_shr:15 row_mask:0xf bank_mask:0xf bound_ctrl:1
	v_cvt_f32_i32_dpp v47, v47 row_shl:1 row_mask:0xf bank_mask:0xf bound_ctrl:1
	v_cvt_f32_i32_dpp v48, v48 row_shl:2 row_mask:0xf bank_mask:0xf bound_ctrl:1
	v_add_f32_e32 v51, v51, v57
	v_cvt_f32_i32_dpp v49, v49 row_shl:3 row_mask:0xf bank_mask:0xf bound_ctrl:1
	v_mov_b32_dpp v56, v60 row_bcast:31 row_mask:0xf bank_mask:0xf bound_ctrl:1
	v_cvt_i32_f32_e32 v60, v64
	v_cvt_i32_f32_e32 v57, v51
	v_add_f32_e32 v46, v46, v47
	v_add_f32_e32 v46, v46, v48
	;; [unrolled: 1-line block ×3, first 2 shown]
	v_cvt_f32_i32_dpp v52, v60 row_bcast:15 row_mask:0xf bank_mask:0xf bound_ctrl:1
	v_cvt_f32_i32_dpp v57, v57 row_shl:8 row_mask:0xf bank_mask:0xf bound_ctrl:1
	v_cvt_i32_f32_e32 v47, v46
	v_cvt_i32_f32_e32 v53, v53
	v_add_f32_e32 v50, v64, v52
	v_add_f32_e32 v49, v51, v57
	v_cvt_f32_i32_dpp v51, v47 row_shl:4 row_mask:0xf bank_mask:0xf bound_ctrl:1
	v_cvt_i32_f32_e32 v52, v50
	v_cvt_f32_i32_dpp v53, v53 row_shr:15 row_mask:0xf bank_mask:0xf bound_ctrl:1
	v_cvt_i32_f32_e32 v43, v43
	v_add_f32_e32 v51, v46, v51
	v_cvt_i32_f32_e32 v44, v44
	v_cvt_i32_f32_e32 v48, v53
	v_mov_b32_dpp v47, v52 row_bcast:31 row_mask:0xf bank_mask:0xf bound_ctrl:1
	v_cvt_i32_f32_e32 v52, v51
	v_cvt_i32_f32_e32 v45, v45
	v_cvt_f32_i32_dpp v43, v43 row_shl:1 row_mask:0xf bank_mask:0xf bound_ctrl:1
	v_cvt_f32_i32_dpp v44, v44 row_shl:2 row_mask:0xf bank_mask:0xf bound_ctrl:1
	v_cvt_f32_i32_dpp v48, v48 row_bcast:15 row_mask:0xf bank_mask:0xf bound_ctrl:1
	v_cvt_f32_i32_dpp v52, v52 row_shl:8 row_mask:0xf bank_mask:0xf bound_ctrl:1
	v_cvt_f32_i32_dpp v45, v45 row_shl:3 row_mask:0xf bank_mask:0xf bound_ctrl:1
	v_cvt_i32_f32_e32 v49, v49
	v_add_f32_e32 v42, v42, v43
	v_add_f32_e32 v42, v42, v44
	;; [unrolled: 1-line block ×5, first 2 shown]
	v_cvt_i32_f32_e32 v48, v46
	v_cvt_i32_f32_e32 v51, v51
	v_cvt_i32_f32_e32 v42, v44
	v_cvt_f32_i32_dpp v49, v49 row_shr:15 row_mask:0xf bank_mask:0xf bound_ctrl:1
	v_cvt_i32_f32_e32 v39, v39
	v_cvt_i32_f32_e32 v40, v40
	v_mov_b32_dpp v43, v48 row_bcast:31 row_mask:0xf bank_mask:0xf bound_ctrl:1
	v_cvt_f32_i32_dpp v48, v51 row_shr:15 row_mask:0xf bank_mask:0xf bound_ctrl:1
	v_cvt_f32_i32_dpp v51, v42 row_shl:4 row_mask:0xf bank_mask:0xf bound_ctrl:1
	v_cvt_i32_f32_e32 v41, v41
	v_cvt_i32_f32_e32 v53, v49
	v_cvt_f32_i32_dpp v39, v39 row_shl:1 row_mask:0xf bank_mask:0xf bound_ctrl:1
	v_cvt_f32_i32_dpp v40, v40 row_shl:2 row_mask:0xf bank_mask:0xf bound_ctrl:1
	v_add_f32_e32 v44, v44, v51
	v_cvt_f32_i32_dpp v41, v41 row_shl:3 row_mask:0xf bank_mask:0xf bound_ctrl:1
	v_cvt_f32_i32_dpp v45, v53 row_bcast:15 row_mask:0xf bank_mask:0xf bound_ctrl:1
	v_cvt_i32_f32_e32 v51, v44
	v_add_f32_e32 v38, v38, v39
	v_add_f32_e32 v38, v38, v40
	;; [unrolled: 1-line block ×3, first 2 shown]
	v_cvt_i32_f32_e32 v35, v35
	v_add_f32_e32 v42, v49, v45
	v_cvt_i32_f32_e32 v49, v48
	v_cvt_f32_i32_dpp v51, v51 row_shl:8 row_mask:0xf bank_mask:0xf bound_ctrl:1
	v_cvt_i32_f32_e32 v38, v40
	v_cvt_i32_f32_e32 v36, v36
	;; [unrolled: 1-line block ×3, first 2 shown]
	v_cvt_f32_i32_dpp v35, v35 row_shl:1 row_mask:0xf bank_mask:0xf bound_ctrl:1
	v_cvt_f32_i32_dpp v41, v49 row_bcast:15 row_mask:0xf bank_mask:0xf bound_ctrl:1
	v_add_f32_e32 v39, v44, v51
	v_cvt_f32_i32_dpp v49, v38 row_shl:4 row_mask:0xf bank_mask:0xf bound_ctrl:1
	v_cvt_f32_i32_dpp v36, v36 row_shl:2 row_mask:0xf bank_mask:0xf bound_ctrl:1
	v_cvt_i32_f32_e32 v44, v39
	v_cvt_f32_i32_dpp v37, v37 row_shl:3 row_mask:0xf bank_mask:0xf bound_ctrl:1
	v_add_f32_e32 v34, v34, v35
	v_add_f32_e32 v40, v40, v49
	;; [unrolled: 1-line block ×4, first 2 shown]
	v_cvt_f32_i32_dpp v41, v44 row_shr:15 row_mask:0xf bank_mask:0xf bound_ctrl:1
	v_cvt_i32_f32_e32 v44, v40
	v_add_f32_e32 v34, v34, v37
	v_cvt_i32_f32_e32 v35, v34
	v_cvt_i32_f32_e32 v36, v41
	v_cvt_f32_i32_dpp v44, v44 row_shl:8 row_mask:0xf bank_mask:0xf bound_ctrl:1
	v_cvt_i32_f32_e32 v31, v31
	v_cvt_f32_i32_dpp v35, v35 row_shl:4 row_mask:0xf bank_mask:0xf bound_ctrl:1
	v_cvt_i32_f32_e32 v32, v32
	v_add_f32_e32 v37, v40, v44
	v_cvt_i32_f32_e32 v37, v37
	v_cvt_f32_i32_dpp v36, v36 row_bcast:15 row_mask:0xf bank_mask:0xf bound_ctrl:1
	v_add_f32_e32 v44, v34, v35
	v_cvt_i32_f32_e32 v33, v33
	v_cvt_i32_f32_e32 v35, v44
	v_cvt_f32_i32_dpp v31, v31 row_shl:1 row_mask:0xf bank_mask:0xf bound_ctrl:1
	v_cvt_f32_i32_dpp v32, v32 row_shl:2 row_mask:0xf bank_mask:0xf bound_ctrl:1
	v_cvt_i32_f32_e32 v45, v42
	v_cvt_f32_i32_dpp v37, v37 row_shr:15 row_mask:0xf bank_mask:0xf bound_ctrl:1
	v_add_f32_e32 v34, v41, v36
	v_cvt_f32_i32_dpp v33, v33 row_shl:3 row_mask:0xf bank_mask:0xf bound_ctrl:1
	v_cvt_i32_f32_e32 v41, v34
	v_cvt_f32_i32_dpp v48, v35 row_shl:8 row_mask:0xf bank_mask:0xf bound_ctrl:1
	v_add_f32_e32 v30, v30, v31
	v_cvt_i32_f32_e32 v27, v27
	v_add_f32_e32 v30, v30, v32
	v_cvt_i32_f32_e32 v28, v28
	v_mov_b32_dpp v39, v45 row_bcast:31 row_mask:0xf bank_mask:0xf bound_ctrl:1
	v_cvt_i32_f32_e32 v40, v38
	v_cvt_i32_f32_e32 v45, v37
	v_add_f32_e32 v31, v30, v33
	v_cvt_i32_f32_e32 v29, v29
	v_mov_b32_dpp v35, v41 row_bcast:31 row_mask:0xf bank_mask:0xf bound_ctrl:1
	v_add_f32_e32 v41, v44, v48
	v_cvt_i32_f32_e32 v32, v31
	v_cvt_i32_f32_e32 v41, v41
	v_cvt_f32_i32_dpp v27, v27 row_shl:1 row_mask:0xf bank_mask:0xf bound_ctrl:1
	v_cvt_f32_i32_dpp v28, v28 row_shl:2 row_mask:0xf bank_mask:0xf bound_ctrl:1
	v_mov_b32_dpp v36, v40 row_bcast:31 row_mask:0xf bank_mask:0xf bound_ctrl:1
	v_cvt_f32_i32_dpp v40, v45 row_bcast:15 row_mask:0xf bank_mask:0xf bound_ctrl:1
	v_cvt_f32_i32_dpp v29, v29 row_shl:3 row_mask:0xf bank_mask:0xf bound_ctrl:1
	v_cvt_f32_i32_dpp v32, v32 row_shl:4 row_mask:0xf bank_mask:0xf bound_ctrl:1
	v_cvt_f32_i32_dpp v41, v41 row_shr:15 row_mask:0xf bank_mask:0xf bound_ctrl:1
	v_add_f32_e32 v26, v26, v27
	v_add_f32_e32 v26, v26, v28
	v_cvt_i32_f32_e32 v23, v23
	v_add_f32_e32 v30, v37, v40
	v_add_f32_e32 v28, v26, v29
	v_cvt_i32_f32_e32 v24, v24
	v_cvt_i32_f32_e32 v33, v30
	v_add_f32_e32 v31, v31, v32
	v_cvt_i32_f32_e32 v26, v28
	v_cvt_i32_f32_e32 v25, v25
	;; [unrolled: 1-line block ×4, first 2 shown]
	v_cvt_f32_i32_dpp v23, v23 row_shl:1 row_mask:0xf bank_mask:0xf bound_ctrl:1
	v_cvt_f32_i32_dpp v24, v24 row_shl:2 row_mask:0xf bank_mask:0xf bound_ctrl:1
	v_mov_b32_dpp v27, v33 row_bcast:31 row_mask:0xf bank_mask:0xf bound_ctrl:1
	v_cvt_f32_i32_dpp v33, v26 row_shl:4 row_mask:0xf bank_mask:0xf bound_ctrl:1
	v_cvt_f32_i32_dpp v25, v25 row_shl:3 row_mask:0xf bank_mask:0xf bound_ctrl:1
	v_cvt_f32_i32_dpp v29, v37 row_bcast:15 row_mask:0xf bank_mask:0xf bound_ctrl:1
	v_cvt_f32_i32_dpp v32, v32 row_shl:8 row_mask:0xf bank_mask:0xf bound_ctrl:1
	v_add_f32_e32 v22, v22, v23
	v_add_f32_e32 v22, v22, v24
	;; [unrolled: 1-line block ×6, first 2 shown]
	v_cvt_i32_f32_e32 v31, v28
	v_cvt_i32_f32_e32 v23, v22
	;; [unrolled: 1-line block ×4, first 2 shown]
	v_cvt_f32_i32_dpp v31, v31 row_shl:8 row_mask:0xf bank_mask:0xf bound_ctrl:1
	v_cvt_f32_i32_dpp v23, v23 row_shl:4 row_mask:0xf bank_mask:0xf bound_ctrl:1
	v_cvt_f32_i32_dpp v24, v29 row_shr:15 row_mask:0xf bank_mask:0xf bound_ctrl:1
	v_cvt_i32_f32_e32 v7, v7
	v_add_f32_e32 v25, v28, v31
	v_add_f32_e32 v31, v22, v23
	v_cvt_i32_f32_e32 v25, v25
	v_cvt_i32_f32_e32 v29, v24
	;; [unrolled: 1-line block ×10, first 2 shown]
	v_cvt_f32_i32_dpp v25, v25 row_shr:15 row_mask:0xf bank_mask:0xf bound_ctrl:1
	v_cvt_f32_i32_dpp v29, v29 row_bcast:15 row_mask:0xf bank_mask:0xf bound_ctrl:1
	v_cvt_f32_i32_dpp v32, v22 row_shl:8 row_mask:0xf bank_mask:0xf bound_ctrl:1
	v_cvt_f32_i32_dpp v11, v11 row_shl:1 row_mask:0xf bank_mask:0xf bound_ctrl:1
	;; [unrolled: 1-line block ×6, first 2 shown]
	v_cvt_i32_f32_e32 v9, v9
	v_cvt_f32_i32_dpp v20, v20 row_shl:2 row_mask:0xf bank_mask:0xf bound_ctrl:1
	v_cvt_f32_i32_dpp v13, v13 row_shl:3 row_mask:0xf bank_mask:0xf bound_ctrl:1
	;; [unrolled: 1-line block ×3, first 2 shown]
	v_mov_b32_dpp v23, v28 row_bcast:31 row_mask:0xf bank_mask:0xf bound_ctrl:1
	v_cvt_i32_f32_e32 v28, v25
	v_add_f32_e32 v22, v24, v29
	v_add_f32_e32 v29, v31, v32
	;; [unrolled: 1-line block ×4, first 2 shown]
	v_cvt_i32_f32_e32 v29, v29
	v_add_f32_e32 v18, v18, v19
	v_add_f32_e32 v10, v10, v12
	;; [unrolled: 1-line block ×3, first 2 shown]
	v_cvt_f32_i32_dpp v7, v9 row_shl:3 row_mask:0xf bank_mask:0xf bound_ctrl:1
	v_cvt_i32_f32_e32 v8, v15
	v_add_f32_e32 v18, v18, v20
	v_add_f32_e32 v10, v10, v13
	v_cvt_i32_f32_e32 v9, v16
	v_add_f32_e32 v20, v18, v21
	v_cvt_i32_f32_e32 v11, v10
	v_cvt_i32_f32_e32 v15, v17
	v_cvt_f32_i32_dpp v28, v28 row_bcast:15 row_mask:0xf bank_mask:0xf bound_ctrl:1
	v_cvt_i32_f32_e32 v18, v20
	v_cvt_f32_i32_dpp v29, v29 row_shr:15 row_mask:0xf bank_mask:0xf bound_ctrl:1
	v_add_f32_e32 v6, v6, v7
	v_cvt_f32_i32_dpp v7, v8 row_shl:1 row_mask:0xf bank_mask:0xf bound_ctrl:1
	v_cvt_f32_i32_dpp v8, v9 row_shl:2 row_mask:0xf bank_mask:0xf bound_ctrl:1
	;; [unrolled: 1-line block ×4, first 2 shown]
	v_add_f32_e32 v19, v25, v28
	v_cvt_f32_i32_dpp v25, v18 row_shl:4 row_mask:0xf bank_mask:0xf bound_ctrl:1
	v_cvt_i32_f32_e32 v24, v22
	v_cvt_i32_f32_e32 v31, v29
	v_add_f32_e32 v7, v14, v7
	v_add_f32_e32 v7, v7, v8
	v_add_f32_e32 v10, v10, v11
	v_add_f32_e32 v7, v7, v9
	v_add_f32_e32 v25, v20, v25
	v_cvt_i32_f32_e32 v11, v10
	v_cvt_i32_f32_e32 v15, v6
	;; [unrolled: 1-line block ×3, first 2 shown]
	v_mov_b32_dpp v21, v24 row_bcast:31 row_mask:0xf bank_mask:0xf bound_ctrl:1
	v_cvt_f32_i32_dpp v24, v31 row_bcast:15 row_mask:0xf bank_mask:0xf bound_ctrl:1
	v_cvt_i32_f32_e32 v20, v25
	v_cvt_f32_i32_dpp v9, v11 row_shl:8 row_mask:0xf bank_mask:0xf bound_ctrl:1
	v_cvt_f32_i32_dpp v11, v15 row_shl:4 row_mask:0xf bank_mask:0xf bound_ctrl:1
	;; [unrolled: 1-line block ×3, first 2 shown]
	v_add_f32_e32 v18, v29, v24
	v_cvt_f32_i32_dpp v29, v20 row_shl:8 row_mask:0xf bank_mask:0xf bound_ctrl:1
	v_add_f32_e32 v6, v6, v11
	v_add_f32_e32 v7, v7, v8
	;; [unrolled: 1-line block ×4, first 2 shown]
	v_cvt_i32_f32_e32 v10, v6
	v_cvt_i32_f32_e32 v8, v7
	;; [unrolled: 1-line block ×4, first 2 shown]
	v_cvt_f32_i32_dpp v10, v10 row_shl:8 row_mask:0xf bank_mask:0xf bound_ctrl:1
	v_cvt_f32_i32_dpp v8, v8 row_shl:8 row_mask:0xf bank_mask:0xf bound_ctrl:1
	v_cvt_f32_i32_dpp v13, v13 row_shr:15 row_mask:0xf bank_mask:0xf bound_ctrl:1
	v_cvt_f32_i32_dpp v9, v9 row_shr:15 row_mask:0xf bank_mask:0xf bound_ctrl:1
	v_add_f32_e32 v6, v6, v10
	v_add_f32_e32 v7, v7, v8
	v_cvt_i32_f32_e32 v11, v13
	v_cvt_i32_f32_e32 v6, v6
	;; [unrolled: 1-line block ×4, first 2 shown]
	v_cvt_f32_i32_dpp v8, v11 row_bcast:15 row_mask:0xf bank_mask:0xf bound_ctrl:1
	v_cvt_f32_i32_dpp v6, v6 row_shr:15 row_mask:0xf bank_mask:0xf bound_ctrl:1
	v_cvt_f32_i32_dpp v7, v7 row_shr:15 row_mask:0xf bank_mask:0xf bound_ctrl:1
	v_cvt_f32_i32_dpp v10, v10 row_bcast:15 row_mask:0xf bank_mask:0xf bound_ctrl:1
	v_add_f32_e32 v13, v13, v8
	v_cvt_i32_f32_e32 v8, v6
	v_cvt_i32_f32_e32 v11, v7
	v_add_f32_e32 v10, v9, v10
	v_cvt_i32_f32_e32 v28, v19
	v_cvt_f32_i32_dpp v8, v8 row_bcast:15 row_mask:0xf bank_mask:0xf bound_ctrl:1
	v_cvt_f32_i32_dpp v9, v11 row_bcast:15 row_mask:0xf bank_mask:0xf bound_ctrl:1
	v_cvt_i32_f32_e32 v24, v18
	v_cvt_i32_f32_e32 v14, v13
	v_add_f32_e32 v8, v6, v8
	v_add_f32_e32 v6, v7, v9
	v_cvt_i32_f32_e32 v11, v10
	v_cvt_i32_f32_e32 v15, v8
	;; [unrolled: 1-line block ×3, first 2 shown]
	v_mov_b32_dpp v20, v28 row_bcast:31 row_mask:0xf bank_mask:0xf bound_ctrl:1
	v_mov_b32_dpp v12, v24 row_bcast:31 row_mask:0xf bank_mask:0xf bound_ctrl:1
	;; [unrolled: 1-line block ×6, first 2 shown]
	s_and_saveexec_b64 s[34:35], s[0:1]
	s_cbranch_execz .LBB291_189
; %bb.67:                               ;   in Loop: Header=BB291_19 Depth=1
	s_andn2_b64 vcc, exec, s[28:29]
	v_mov_b32_e32 v53, 0
	v_mov_b32_e32 v52, 0
	;; [unrolled: 1-line block ×20, first 2 shown]
	s_cbranch_vccnz .LBB291_69
; %bb.68:                               ;   in Loop: Header=BB291_19 Depth=1
	v_mul_hi_u32 v15, v158, v1
	v_mul_lo_u32 v15, v15, s22
	v_sub_u32_e32 v15, v158, v15
	v_subrev_u32_e32 v16, s22, v15
	v_cmp_le_u32_e32 vcc, s22, v15
	v_mov_b32_e32 v25, v161
	v_mov_b32_e32 v41, v161
	v_cndmask_b32_e32 v15, v15, v16, vcc
	v_subrev_u32_e32 v16, s22, v15
	v_cmp_le_u32_e32 vcc, s22, v15
	v_mov_b32_e32 v61, v161
	v_mov_b32_e32 v65, v161
	v_cndmask_b32_e32 v160, v15, v16, vcc
	v_mul_hi_u32 v15, v168, v1
	v_mul_lo_u32 v15, v15, s22
	v_sub_u32_e32 v15, v168, v15
	v_subrev_u32_e32 v24, s22, v15
	v_cmp_le_u32_e32 vcc, s22, v15
	v_add_u32_e32 v40, s43, v160
	v_lshl_add_u64 v[72:73], v[40:41], 1, s[16:17]
	v_cndmask_b32_e32 v15, v15, v24, vcc
	v_subrev_u32_e32 v24, s22, v15
	v_cmp_le_u32_e32 vcc, s22, v15
	v_lshl_add_u64 v[16:17], v[160:161], 1, s[16:17]
	s_nop 0
	v_cndmask_b32_e32 v24, v15, v24, vcc
	v_mul_hi_u32 v15, v166, v1
	v_mul_lo_u32 v15, v15, s22
	v_sub_u32_e32 v15, v166, v15
	v_lshl_add_u64 v[28:29], v[24:25], 1, s[16:17]
	v_subrev_u32_e32 v25, s22, v15
	v_cmp_le_u32_e32 vcc, s22, v15
	v_add_u32_e32 v40, s43, v24
	v_lshl_add_u64 v[76:77], v[40:41], 1, s[16:17]
	v_cndmask_b32_e32 v15, v15, v25, vcc
	v_subrev_u32_e32 v25, s22, v15
	v_cmp_le_u32_e32 vcc, s22, v15
	s_nop 1
	v_cndmask_b32_e32 v60, v15, v25, vcc
	v_mul_hi_u32 v15, v164, v1
	v_mul_lo_u32 v15, v15, s22
	v_sub_u32_e32 v15, v164, v15
	v_subrev_u32_e32 v25, s22, v15
	v_cmp_le_u32_e32 vcc, s22, v15
	v_add_u32_e32 v40, s43, v60
	v_lshl_add_u64 v[78:79], v[40:41], 1, s[16:17]
	v_cndmask_b32_e32 v15, v15, v25, vcc
	v_subrev_u32_e32 v25, s22, v15
	v_cmp_le_u32_e32 vcc, s22, v15
	v_lshl_add_u64 v[32:33], v[60:61], 1, s[16:17]
	s_nop 0
	v_cndmask_b32_e32 v64, v15, v25, vcc
	v_add_u32_e32 v40, s43, v64
	v_lshl_add_u64 v[68:69], v[64:65], 1, s[16:17]
	v_lshl_add_u64 v[80:81], v[40:41], 1, s[16:17]
	global_load_ushort v53, v[16:17], off
	global_load_ushort v52, v[28:29], off
	;; [unrolled: 1-line block ×8, first 2 shown]
	v_add_u32_e32 v28, s44, v24
	v_mov_b32_e32 v29, v161
	v_lshl_add_u64 v[68:69], v[28:29], 1, s[16:17]
	v_add_u32_e32 v28, s44, v60
	v_lshl_add_u64 v[72:73], v[28:29], 1, s[16:17]
	v_add_u32_e32 v28, s44, v64
	;; [unrolled: 2-line block ×4, first 2 shown]
	v_add_u32_e32 v16, s44, v160
	v_mov_b32_e32 v17, v161
	v_lshl_add_u64 v[80:81], v[28:29], 1, s[16:17]
	v_add_u32_e32 v28, s45, v60
	v_lshl_add_u64 v[16:17], v[16:17], 1, s[16:17]
	v_lshl_add_u64 v[82:83], v[28:29], 1, s[16:17]
	v_add_u32_e32 v28, s45, v64
	v_lshl_add_u64 v[84:85], v[28:29], 1, s[16:17]
	global_load_ushort v40, v[16:17], off
	global_load_ushort v37, v[68:69], off
	;; [unrolled: 1-line block ×8, first 2 shown]
	v_add_u32_e32 v160, s46, v160
	v_lshl_add_u64 v[68:69], v[160:161], 1, s[16:17]
	v_add_u32_e32 v160, s46, v24
	v_lshl_add_u64 v[72:73], v[160:161], 1, s[16:17]
	;; [unrolled: 2-line block ×4, first 2 shown]
	global_load_ushort v24, v[68:69], off
	global_load_ushort v17, v[72:73], off
	;; [unrolled: 1-line block ×4, first 2 shown]
.LBB291_69:                             ;   in Loop: Header=BB291_19 Depth=1
	v_cmp_ne_u32_e32 vcc, 0, v2
	s_and_saveexec_b64 s[6:7], vcc
	s_cbranch_execnz .LBB291_89
; %bb.70:                               ;   in Loop: Header=BB291_19 Depth=1
	s_or_b64 exec, exec, s[6:7]
	v_cmp_ne_u32_e64 s[4:5], 0, v3
	s_and_saveexec_b64 s[8:9], s[4:5]
	s_cbranch_execnz .LBB291_94
.LBB291_71:                             ;   in Loop: Header=BB291_19 Depth=1
	s_or_b64 exec, exec, s[8:9]
	v_cmp_ne_u32_e64 s[6:7], 0, v4
	s_and_saveexec_b64 s[10:11], s[6:7]
	s_cbranch_execnz .LBB291_99
.LBB291_72:                             ;   in Loop: Header=BB291_19 Depth=1
	s_or_b64 exec, exec, s[10:11]
	v_cmp_ne_u32_e64 s[8:9], 0, v5
	s_and_saveexec_b64 s[36:37], s[8:9]
	s_cbranch_execnz .LBB291_104
.LBB291_73:                             ;   in Loop: Header=BB291_19 Depth=1
	s_or_b64 exec, exec, s[36:37]
	v_add_u32_e32 v160, s15, v158
	s_and_saveexec_b64 s[36:37], vcc
	s_cbranch_execnz .LBB291_109
.LBB291_74:                             ;   in Loop: Header=BB291_19 Depth=1
	s_or_b64 exec, exec, s[36:37]
	s_and_saveexec_b64 s[36:37], s[4:5]
	s_cbranch_execnz .LBB291_114
.LBB291_75:                             ;   in Loop: Header=BB291_19 Depth=1
	s_or_b64 exec, exec, s[36:37]
	s_and_saveexec_b64 s[36:37], s[6:7]
	s_cbranch_execnz .LBB291_119
.LBB291_76:                             ;   in Loop: Header=BB291_19 Depth=1
	s_or_b64 exec, exec, s[36:37]
	s_and_saveexec_b64 s[36:37], s[8:9]
	s_cbranch_execnz .LBB291_124
.LBB291_77:                             ;   in Loop: Header=BB291_19 Depth=1
	s_or_b64 exec, exec, s[36:37]
	v_add_u32_e32 v160, s15, v160
	s_and_saveexec_b64 s[36:37], vcc
	s_cbranch_execnz .LBB291_129
.LBB291_78:                             ;   in Loop: Header=BB291_19 Depth=1
	s_or_b64 exec, exec, s[36:37]
	s_and_saveexec_b64 s[36:37], s[4:5]
	s_cbranch_execnz .LBB291_134
.LBB291_79:                             ;   in Loop: Header=BB291_19 Depth=1
	s_or_b64 exec, exec, s[36:37]
	s_and_saveexec_b64 s[36:37], s[6:7]
	s_cbranch_execnz .LBB291_139
.LBB291_80:                             ;   in Loop: Header=BB291_19 Depth=1
	s_or_b64 exec, exec, s[36:37]
	s_and_saveexec_b64 s[36:37], s[8:9]
	s_cbranch_execnz .LBB291_144
.LBB291_81:                             ;   in Loop: Header=BB291_19 Depth=1
	s_or_b64 exec, exec, s[36:37]
	v_add_u32_e32 v160, s15, v160
	s_and_saveexec_b64 s[36:37], vcc
	s_cbranch_execnz .LBB291_149
.LBB291_82:                             ;   in Loop: Header=BB291_19 Depth=1
	s_or_b64 exec, exec, s[36:37]
	s_and_saveexec_b64 s[36:37], s[4:5]
	s_cbranch_execnz .LBB291_154
.LBB291_83:                             ;   in Loop: Header=BB291_19 Depth=1
	s_or_b64 exec, exec, s[36:37]
	s_and_saveexec_b64 s[36:37], s[6:7]
	s_cbranch_execnz .LBB291_159
.LBB291_84:                             ;   in Loop: Header=BB291_19 Depth=1
	s_or_b64 exec, exec, s[36:37]
	s_and_saveexec_b64 s[36:37], s[8:9]
	s_cbranch_execnz .LBB291_164
.LBB291_85:                             ;   in Loop: Header=BB291_19 Depth=1
	s_or_b64 exec, exec, s[36:37]
	v_add_u32_e32 v160, s15, v160
	s_and_saveexec_b64 s[10:11], vcc
	s_cbranch_execnz .LBB291_169
.LBB291_86:                             ;   in Loop: Header=BB291_19 Depth=1
	s_or_b64 exec, exec, s[10:11]
	s_and_saveexec_b64 s[10:11], s[4:5]
	s_cbranch_execnz .LBB291_174
.LBB291_87:                             ;   in Loop: Header=BB291_19 Depth=1
	s_or_b64 exec, exec, s[10:11]
	s_and_saveexec_b64 s[4:5], s[6:7]
	s_cbranch_execnz .LBB291_179
.LBB291_88:                             ;   in Loop: Header=BB291_19 Depth=1
	s_or_b64 exec, exec, s[4:5]
	s_and_b64 exec, exec, s[8:9]
	s_cbranch_execnz .LBB291_184
	s_branch .LBB291_189
.LBB291_89:                             ;   in Loop: Header=BB291_19 Depth=1
	v_cvt_f32_i32_e32 v57, v71
	s_waitcnt vmcnt(19)
	v_lshlrev_b32_e32 v53, 16, v53
	v_add_f32_e32 v57, v74, v57
	v_add_f32_e32 v57, v57, v53
	v_and_b32_e32 v53, 0x7f800000, v57
	v_cmp_ne_u32_e64 s[4:5], s50, v53
                                        ; implicit-def: $vgpr53
	s_and_saveexec_b64 s[8:9], s[4:5]
	s_xor_b64 s[4:5], exec, s[8:9]
; %bb.90:                               ;   in Loop: Header=BB291_19 Depth=1
	v_bfe_u32 v53, v57, 16, 1
	v_add3_u32 v53, v57, v53, s14
                                        ; implicit-def: $vgpr57
; %bb.91:                               ;   in Loop: Header=BB291_19 Depth=1
	s_andn2_saveexec_b64 s[8:9], s[4:5]
; %bb.92:                               ;   in Loop: Header=BB291_19 Depth=1
	v_or_b32_e32 v53, 0x10000, v57
	v_cmp_eq_u32_sdwa s[4:5], v57, v161 src0_sel:WORD_0 src1_sel:DWORD
	s_nop 1
	v_cndmask_b32_e64 v53, v53, v57, s[4:5]
; %bb.93:                               ;   in Loop: Header=BB291_19 Depth=1
	s_or_b64 exec, exec, s[8:9]
	v_mov_b32_e32 v159, v161
	v_lshl_add_u64 v[60:61], v[158:159], 1, s[18:19]
	global_store_short_d16_hi v[60:61], v53, off
	s_or_b64 exec, exec, s[6:7]
	v_cmp_ne_u32_e64 s[4:5], 0, v3
	s_and_saveexec_b64 s[8:9], s[4:5]
	s_cbranch_execz .LBB291_71
.LBB291_94:                             ;   in Loop: Header=BB291_19 Depth=1
	s_waitcnt vmcnt(19)
	v_cvt_f32_i32_e32 v53, v67
	s_waitcnt vmcnt(18)
	v_lshlrev_b32_e32 v52, 16, v52
	v_add_f32_e32 v53, v70, v53
	v_add_f32_e32 v53, v53, v52
	v_and_b32_e32 v52, 0x7f800000, v53
	v_cmp_ne_u32_e64 s[6:7], s50, v52
                                        ; implicit-def: $vgpr52
	s_and_saveexec_b64 s[10:11], s[6:7]
	s_xor_b64 s[6:7], exec, s[10:11]
; %bb.95:                               ;   in Loop: Header=BB291_19 Depth=1
	v_bfe_u32 v52, v53, 16, 1
	v_add3_u32 v52, v53, v52, s14
                                        ; implicit-def: $vgpr53
; %bb.96:                               ;   in Loop: Header=BB291_19 Depth=1
	s_andn2_saveexec_b64 s[10:11], s[6:7]
; %bb.97:                               ;   in Loop: Header=BB291_19 Depth=1
	v_or_b32_e32 v52, 0x10000, v53
	v_cmp_eq_u32_sdwa s[6:7], v53, v161 src0_sel:WORD_0 src1_sel:DWORD
	s_nop 1
	v_cndmask_b32_e64 v52, v52, v53, s[6:7]
; %bb.98:                               ;   in Loop: Header=BB291_19 Depth=1
	s_or_b64 exec, exec, s[10:11]
	v_mov_b32_e32 v169, v161
	v_lshl_add_u64 v[60:61], v[168:169], 1, s[18:19]
	global_store_short_d16_hi v[60:61], v52, off
	s_or_b64 exec, exec, s[8:9]
	v_cmp_ne_u32_e64 s[6:7], 0, v4
	s_and_saveexec_b64 s[10:11], s[6:7]
	s_cbranch_execz .LBB291_72
.LBB291_99:                             ;   in Loop: Header=BB291_19 Depth=1
	s_waitcnt vmcnt(18)
	v_cvt_f32_i32_e32 v52, v63
	s_waitcnt vmcnt(17)
	v_lshlrev_b32_e32 v51, 16, v51
	v_add_f32_e32 v52, v66, v52
	v_add_f32_e32 v52, v52, v51
	v_and_b32_e32 v51, 0x7f800000, v52
	v_cmp_ne_u32_e64 s[8:9], s50, v51
                                        ; implicit-def: $vgpr51
	s_and_saveexec_b64 s[36:37], s[8:9]
	s_xor_b64 s[8:9], exec, s[36:37]
; %bb.100:                              ;   in Loop: Header=BB291_19 Depth=1
	v_bfe_u32 v51, v52, 16, 1
	v_add3_u32 v51, v52, v51, s14
                                        ; implicit-def: $vgpr52
; %bb.101:                              ;   in Loop: Header=BB291_19 Depth=1
	s_andn2_saveexec_b64 s[36:37], s[8:9]
; %bb.102:                              ;   in Loop: Header=BB291_19 Depth=1
	v_or_b32_e32 v51, 0x10000, v52
	v_cmp_eq_u32_sdwa s[8:9], v52, v161 src0_sel:WORD_0 src1_sel:DWORD
	s_nop 1
	v_cndmask_b32_e64 v51, v51, v52, s[8:9]
; %bb.103:                              ;   in Loop: Header=BB291_19 Depth=1
	s_or_b64 exec, exec, s[36:37]
	v_mov_b32_e32 v167, v161
	v_lshl_add_u64 v[52:53], v[166:167], 1, s[18:19]
	global_store_short_d16_hi v[52:53], v51, off
	s_or_b64 exec, exec, s[10:11]
	v_cmp_ne_u32_e64 s[8:9], 0, v5
	s_and_saveexec_b64 s[36:37], s[8:9]
	s_cbranch_execz .LBB291_73
.LBB291_104:                            ;   in Loop: Header=BB291_19 Depth=1
	s_waitcnt vmcnt(17)
	v_cvt_f32_i32_e32 v51, v59
	s_waitcnt vmcnt(16)
	v_lshlrev_b32_e32 v49, 16, v49
	v_add_f32_e32 v51, v62, v51
	v_add_f32_e32 v51, v51, v49
	v_and_b32_e32 v49, 0x7f800000, v51
	v_cmp_ne_u32_e64 s[10:11], s50, v49
                                        ; implicit-def: $vgpr49
	s_and_saveexec_b64 s[38:39], s[10:11]
	s_xor_b64 s[10:11], exec, s[38:39]
; %bb.105:                              ;   in Loop: Header=BB291_19 Depth=1
	v_bfe_u32 v49, v51, 16, 1
	v_add3_u32 v49, v51, v49, s14
                                        ; implicit-def: $vgpr51
; %bb.106:                              ;   in Loop: Header=BB291_19 Depth=1
	s_andn2_saveexec_b64 s[38:39], s[10:11]
; %bb.107:                              ;   in Loop: Header=BB291_19 Depth=1
	v_or_b32_e32 v49, 0x10000, v51
	v_cmp_eq_u32_sdwa s[10:11], v51, v161 src0_sel:WORD_0 src1_sel:DWORD
	s_nop 1
	v_cndmask_b32_e64 v49, v49, v51, s[10:11]
; %bb.108:                              ;   in Loop: Header=BB291_19 Depth=1
	s_or_b64 exec, exec, s[38:39]
	v_mov_b32_e32 v165, v161
	v_lshl_add_u64 v[52:53], v[164:165], 1, s[18:19]
	global_store_short_d16_hi v[52:53], v49, off
	s_or_b64 exec, exec, s[36:37]
	v_add_u32_e32 v160, s15, v158
	s_and_saveexec_b64 s[36:37], vcc
	s_cbranch_execz .LBB291_74
.LBB291_109:                            ;   in Loop: Header=BB291_19 Depth=1
	s_waitcnt vmcnt(16)
	v_cvt_f32_i32_e32 v49, v56
	s_waitcnt vmcnt(15)
	v_lshlrev_b32_e32 v48, 16, v48
	v_add_f32_e32 v49, v58, v49
	v_add_f32_e32 v49, v49, v48
	v_and_b32_e32 v48, 0x7f800000, v49
	v_cmp_ne_u32_e64 s[10:11], s50, v48
                                        ; implicit-def: $vgpr48
	s_and_saveexec_b64 s[38:39], s[10:11]
	s_xor_b64 s[10:11], exec, s[38:39]
; %bb.110:                              ;   in Loop: Header=BB291_19 Depth=1
	v_bfe_u32 v48, v49, 16, 1
	v_add3_u32 v48, v49, v48, s14
                                        ; implicit-def: $vgpr49
; %bb.111:                              ;   in Loop: Header=BB291_19 Depth=1
	s_andn2_saveexec_b64 s[38:39], s[10:11]
; %bb.112:                              ;   in Loop: Header=BB291_19 Depth=1
	v_or_b32_e32 v48, 0x10000, v49
	v_cmp_eq_u32_sdwa s[10:11], v49, v161 src0_sel:WORD_0 src1_sel:DWORD
	s_nop 1
	v_cndmask_b32_e64 v48, v48, v49, s[10:11]
; %bb.113:                              ;   in Loop: Header=BB291_19 Depth=1
	s_or_b64 exec, exec, s[38:39]
	v_lshl_add_u64 v[52:53], v[160:161], 1, s[18:19]
	global_store_short_d16_hi v[52:53], v48, off
	s_or_b64 exec, exec, s[36:37]
	s_and_saveexec_b64 s[36:37], s[4:5]
	s_cbranch_execz .LBB291_75
.LBB291_114:                            ;   in Loop: Header=BB291_19 Depth=1
	s_waitcnt vmcnt(15)
	v_cvt_f32_i32_e32 v48, v55
	s_waitcnt vmcnt(14)
	v_lshlrev_b32_e32 v45, 16, v45
	v_add_f32_e32 v48, v54, v48
	v_add_f32_e32 v48, v48, v45
	v_and_b32_e32 v45, 0x7f800000, v48
	v_cmp_ne_u32_e64 s[10:11], s50, v45
                                        ; implicit-def: $vgpr45
	s_and_saveexec_b64 s[38:39], s[10:11]
	s_xor_b64 s[10:11], exec, s[38:39]
; %bb.115:                              ;   in Loop: Header=BB291_19 Depth=1
	v_bfe_u32 v45, v48, 16, 1
	v_add3_u32 v45, v48, v45, s14
                                        ; implicit-def: $vgpr48
; %bb.116:                              ;   in Loop: Header=BB291_19 Depth=1
	s_andn2_saveexec_b64 s[38:39], s[10:11]
; %bb.117:                              ;   in Loop: Header=BB291_19 Depth=1
	v_or_b32_e32 v45, 0x10000, v48
	v_cmp_eq_u32_sdwa s[10:11], v48, v161 src0_sel:WORD_0 src1_sel:DWORD
	s_nop 1
	v_cndmask_b32_e64 v45, v45, v48, s[10:11]
; %bb.118:                              ;   in Loop: Header=BB291_19 Depth=1
	s_or_b64 exec, exec, s[38:39]
	v_add_u32_e32 v48, 1, v160
	v_mov_b32_e32 v49, v161
	v_lshl_add_u64 v[48:49], v[48:49], 1, s[18:19]
	global_store_short_d16_hi v[48:49], v45, off
	s_or_b64 exec, exec, s[36:37]
	s_and_saveexec_b64 s[36:37], s[6:7]
	s_cbranch_execz .LBB291_76
.LBB291_119:                            ;   in Loop: Header=BB291_19 Depth=1
	s_waitcnt vmcnt(14)
	v_cvt_f32_i32_e32 v45, v47
	s_waitcnt vmcnt(13)
	v_lshlrev_b32_e32 v44, 16, v44
	v_add_f32_e32 v45, v50, v45
	v_add_f32_e32 v45, v45, v44
	v_and_b32_e32 v44, 0x7f800000, v45
	v_cmp_ne_u32_e64 s[10:11], s50, v44
                                        ; implicit-def: $vgpr44
	s_and_saveexec_b64 s[38:39], s[10:11]
	s_xor_b64 s[10:11], exec, s[38:39]
; %bb.120:                              ;   in Loop: Header=BB291_19 Depth=1
	v_bfe_u32 v44, v45, 16, 1
	v_add3_u32 v44, v45, v44, s14
                                        ; implicit-def: $vgpr45
; %bb.121:                              ;   in Loop: Header=BB291_19 Depth=1
	s_andn2_saveexec_b64 s[38:39], s[10:11]
; %bb.122:                              ;   in Loop: Header=BB291_19 Depth=1
	v_or_b32_e32 v44, 0x10000, v45
	v_cmp_eq_u32_sdwa s[10:11], v45, v161 src0_sel:WORD_0 src1_sel:DWORD
	s_nop 1
	v_cndmask_b32_e64 v44, v44, v45, s[10:11]
; %bb.123:                              ;   in Loop: Header=BB291_19 Depth=1
	s_or_b64 exec, exec, s[38:39]
	v_add_u32_e32 v48, 2, v160
	v_mov_b32_e32 v49, v161
	v_lshl_add_u64 v[48:49], v[48:49], 1, s[18:19]
	global_store_short_d16_hi v[48:49], v44, off
	s_or_b64 exec, exec, s[36:37]
	s_and_saveexec_b64 s[36:37], s[8:9]
	s_cbranch_execz .LBB291_77
.LBB291_124:                            ;   in Loop: Header=BB291_19 Depth=1
	v_cvt_f32_i32_e32 v43, v43
	s_waitcnt vmcnt(12)
	v_lshlrev_b32_e32 v41, 16, v41
	v_add_f32_e32 v43, v46, v43
	v_add_f32_e32 v43, v43, v41
	v_and_b32_e32 v41, 0x7f800000, v43
	v_cmp_ne_u32_e64 s[10:11], s50, v41
                                        ; implicit-def: $vgpr41
	s_and_saveexec_b64 s[38:39], s[10:11]
	s_xor_b64 s[10:11], exec, s[38:39]
; %bb.125:                              ;   in Loop: Header=BB291_19 Depth=1
	v_bfe_u32 v41, v43, 16, 1
	v_add3_u32 v41, v43, v41, s14
                                        ; implicit-def: $vgpr43
; %bb.126:                              ;   in Loop: Header=BB291_19 Depth=1
	s_andn2_saveexec_b64 s[38:39], s[10:11]
; %bb.127:                              ;   in Loop: Header=BB291_19 Depth=1
	v_or_b32_e32 v41, 0x10000, v43
	v_cmp_eq_u32_sdwa s[10:11], v43, v161 src0_sel:WORD_0 src1_sel:DWORD
	s_nop 1
	v_cndmask_b32_e64 v41, v41, v43, s[10:11]
; %bb.128:                              ;   in Loop: Header=BB291_19 Depth=1
	s_or_b64 exec, exec, s[38:39]
	v_add_u32_e32 v44, 3, v160
	v_mov_b32_e32 v45, v161
	v_lshl_add_u64 v[44:45], v[44:45], 1, s[18:19]
	global_store_short_d16_hi v[44:45], v41, off
	s_or_b64 exec, exec, s[36:37]
	v_add_u32_e32 v160, s15, v160
	s_and_saveexec_b64 s[36:37], vcc
	s_cbranch_execz .LBB291_78
.LBB291_129:                            ;   in Loop: Header=BB291_19 Depth=1
	v_cvt_f32_i32_e32 v39, v39
	s_waitcnt vmcnt(11)
	v_lshlrev_b32_e32 v40, 16, v40
	v_add_f32_e32 v39, v42, v39
	v_add_f32_e32 v40, v39, v40
	v_and_b32_e32 v39, 0x7f800000, v40
	v_cmp_ne_u32_e64 s[10:11], s50, v39
                                        ; implicit-def: $vgpr39
	s_and_saveexec_b64 s[38:39], s[10:11]
	s_xor_b64 s[10:11], exec, s[38:39]
; %bb.130:                              ;   in Loop: Header=BB291_19 Depth=1
	v_bfe_u32 v39, v40, 16, 1
	v_add3_u32 v39, v40, v39, s14
                                        ; implicit-def: $vgpr40
; %bb.131:                              ;   in Loop: Header=BB291_19 Depth=1
	s_andn2_saveexec_b64 s[38:39], s[10:11]
; %bb.132:                              ;   in Loop: Header=BB291_19 Depth=1
	v_or_b32_e32 v39, 0x10000, v40
	v_cmp_eq_u32_sdwa s[10:11], v40, v161 src0_sel:WORD_0 src1_sel:DWORD
	s_nop 1
	v_cndmask_b32_e64 v39, v39, v40, s[10:11]
; %bb.133:                              ;   in Loop: Header=BB291_19 Depth=1
	s_or_b64 exec, exec, s[38:39]
	v_lshl_add_u64 v[40:41], v[160:161], 1, s[18:19]
	global_store_short_d16_hi v[40:41], v39, off
	s_or_b64 exec, exec, s[36:37]
	s_and_saveexec_b64 s[36:37], s[4:5]
	s_cbranch_execz .LBB291_79
.LBB291_134:                            ;   in Loop: Header=BB291_19 Depth=1
	v_cvt_f32_i32_e32 v36, v36
	s_waitcnt vmcnt(10)
	v_lshlrev_b32_e32 v37, 16, v37
	v_add_f32_e32 v36, v38, v36
	v_add_f32_e32 v37, v36, v37
	v_and_b32_e32 v36, 0x7f800000, v37
	v_cmp_ne_u32_e64 s[10:11], s50, v36
                                        ; implicit-def: $vgpr36
	s_and_saveexec_b64 s[38:39], s[10:11]
	s_xor_b64 s[10:11], exec, s[38:39]
; %bb.135:                              ;   in Loop: Header=BB291_19 Depth=1
	v_bfe_u32 v36, v37, 16, 1
	v_add3_u32 v36, v37, v36, s14
                                        ; implicit-def: $vgpr37
; %bb.136:                              ;   in Loop: Header=BB291_19 Depth=1
	s_andn2_saveexec_b64 s[38:39], s[10:11]
; %bb.137:                              ;   in Loop: Header=BB291_19 Depth=1
	v_or_b32_e32 v36, 0x10000, v37
	v_cmp_eq_u32_sdwa s[10:11], v37, v161 src0_sel:WORD_0 src1_sel:DWORD
	s_nop 1
	v_cndmask_b32_e64 v36, v36, v37, s[10:11]
; %bb.138:                              ;   in Loop: Header=BB291_19 Depth=1
	s_or_b64 exec, exec, s[38:39]
	v_add_u32_e32 v38, 1, v160
	v_mov_b32_e32 v39, v161
	v_lshl_add_u64 v[38:39], v[38:39], 1, s[18:19]
	global_store_short_d16_hi v[38:39], v36, off
	s_or_b64 exec, exec, s[36:37]
	s_and_saveexec_b64 s[36:37], s[6:7]
	s_cbranch_execz .LBB291_80
.LBB291_139:                            ;   in Loop: Header=BB291_19 Depth=1
	v_cvt_f32_i32_e32 v35, v35
	s_waitcnt vmcnt(9)
	v_lshlrev_b32_e32 v33, 16, v33
	v_add_f32_e32 v34, v34, v35
	v_add_f32_e32 v34, v34, v33
	v_and_b32_e32 v33, 0x7f800000, v34
	v_cmp_ne_u32_e64 s[10:11], s50, v33
                                        ; implicit-def: $vgpr33
	s_and_saveexec_b64 s[38:39], s[10:11]
	s_xor_b64 s[10:11], exec, s[38:39]
; %bb.140:                              ;   in Loop: Header=BB291_19 Depth=1
	v_bfe_u32 v33, v34, 16, 1
	v_add3_u32 v33, v34, v33, s14
                                        ; implicit-def: $vgpr34
; %bb.141:                              ;   in Loop: Header=BB291_19 Depth=1
	s_andn2_saveexec_b64 s[38:39], s[10:11]
; %bb.142:                              ;   in Loop: Header=BB291_19 Depth=1
	v_or_b32_e32 v33, 0x10000, v34
	v_cmp_eq_u32_sdwa s[10:11], v34, v161 src0_sel:WORD_0 src1_sel:DWORD
	s_nop 1
	v_cndmask_b32_e64 v33, v33, v34, s[10:11]
; %bb.143:                              ;   in Loop: Header=BB291_19 Depth=1
	s_or_b64 exec, exec, s[38:39]
	v_add_u32_e32 v34, 2, v160
	v_mov_b32_e32 v35, v161
	v_lshl_add_u64 v[34:35], v[34:35], 1, s[18:19]
	global_store_short_d16_hi v[34:35], v33, off
	s_or_b64 exec, exec, s[36:37]
	s_and_saveexec_b64 s[36:37], s[8:9]
	s_cbranch_execz .LBB291_81
.LBB291_144:                            ;   in Loop: Header=BB291_19 Depth=1
	v_cvt_f32_i32_e32 v27, v27
	v_add_f32_e32 v27, v30, v27
	s_waitcnt vmcnt(8)
	v_lshlrev_b32_e32 v30, 16, v32
	v_add_f32_e32 v30, v27, v30
	v_and_b32_e32 v27, 0x7f800000, v30
	v_cmp_ne_u32_e64 s[10:11], s50, v27
                                        ; implicit-def: $vgpr27
	s_and_saveexec_b64 s[38:39], s[10:11]
	s_xor_b64 s[10:11], exec, s[38:39]
; %bb.145:                              ;   in Loop: Header=BB291_19 Depth=1
	v_bfe_u32 v27, v30, 16, 1
	v_add3_u32 v27, v30, v27, s14
                                        ; implicit-def: $vgpr30
; %bb.146:                              ;   in Loop: Header=BB291_19 Depth=1
	s_andn2_saveexec_b64 s[38:39], s[10:11]
; %bb.147:                              ;   in Loop: Header=BB291_19 Depth=1
	v_or_b32_e32 v27, 0x10000, v30
	v_cmp_eq_u32_sdwa s[10:11], v30, v161 src0_sel:WORD_0 src1_sel:DWORD
	s_nop 1
	v_cndmask_b32_e64 v27, v27, v30, s[10:11]
; %bb.148:                              ;   in Loop: Header=BB291_19 Depth=1
	s_or_b64 exec, exec, s[38:39]
	v_add_u32_e32 v32, 3, v160
	v_mov_b32_e32 v33, v161
	v_lshl_add_u64 v[32:33], v[32:33], 1, s[18:19]
	global_store_short_d16_hi v[32:33], v27, off
	s_or_b64 exec, exec, s[36:37]
	v_add_u32_e32 v160, s15, v160
	s_and_saveexec_b64 s[36:37], vcc
	s_cbranch_execz .LBB291_82
.LBB291_149:                            ;   in Loop: Header=BB291_19 Depth=1
	v_cvt_f32_i32_e32 v23, v23
	v_add_f32_e32 v23, v26, v23
	s_waitcnt vmcnt(7)
	v_lshlrev_b32_e32 v26, 16, v31
	v_add_f32_e32 v26, v23, v26
	v_and_b32_e32 v23, 0x7f800000, v26
	v_cmp_ne_u32_e64 s[10:11], s50, v23
                                        ; implicit-def: $vgpr23
	s_and_saveexec_b64 s[38:39], s[10:11]
	s_xor_b64 s[10:11], exec, s[38:39]
; %bb.150:                              ;   in Loop: Header=BB291_19 Depth=1
	v_bfe_u32 v23, v26, 16, 1
	v_add3_u32 v23, v26, v23, s14
                                        ; implicit-def: $vgpr26
; %bb.151:                              ;   in Loop: Header=BB291_19 Depth=1
	s_andn2_saveexec_b64 s[38:39], s[10:11]
; %bb.152:                              ;   in Loop: Header=BB291_19 Depth=1
	v_or_b32_e32 v23, 0x10000, v26
	v_cmp_eq_u32_sdwa s[10:11], v26, v161 src0_sel:WORD_0 src1_sel:DWORD
	s_nop 1
	v_cndmask_b32_e64 v23, v23, v26, s[10:11]
; %bb.153:                              ;   in Loop: Header=BB291_19 Depth=1
	s_or_b64 exec, exec, s[38:39]
	v_lshl_add_u64 v[26:27], v[160:161], 1, s[18:19]
	global_store_short_d16_hi v[26:27], v23, off
	s_or_b64 exec, exec, s[36:37]
	s_and_saveexec_b64 s[36:37], s[4:5]
	s_cbranch_execz .LBB291_83
.LBB291_154:                            ;   in Loop: Header=BB291_19 Depth=1
	v_cvt_f32_i32_e32 v21, v21
	v_add_f32_e32 v21, v22, v21
	s_waitcnt vmcnt(6)
	v_lshlrev_b32_e32 v22, 16, v29
	v_add_f32_e32 v22, v21, v22
	v_and_b32_e32 v21, 0x7f800000, v22
	v_cmp_ne_u32_e64 s[10:11], s50, v21
                                        ; implicit-def: $vgpr21
	s_and_saveexec_b64 s[38:39], s[10:11]
	s_xor_b64 s[10:11], exec, s[38:39]
; %bb.155:                              ;   in Loop: Header=BB291_19 Depth=1
	v_bfe_u32 v21, v22, 16, 1
	v_add3_u32 v21, v22, v21, s14
                                        ; implicit-def: $vgpr22
; %bb.156:                              ;   in Loop: Header=BB291_19 Depth=1
	s_andn2_saveexec_b64 s[38:39], s[10:11]
; %bb.157:                              ;   in Loop: Header=BB291_19 Depth=1
	v_or_b32_e32 v21, 0x10000, v22
	v_cmp_eq_u32_sdwa s[10:11], v22, v161 src0_sel:WORD_0 src1_sel:DWORD
	s_nop 1
	v_cndmask_b32_e64 v21, v21, v22, s[10:11]
; %bb.158:                              ;   in Loop: Header=BB291_19 Depth=1
	s_or_b64 exec, exec, s[38:39]
	v_add_u32_e32 v22, 1, v160
	v_mov_b32_e32 v23, v161
	v_lshl_add_u64 v[22:23], v[22:23], 1, s[18:19]
	global_store_short_d16_hi v[22:23], v21, off
	s_or_b64 exec, exec, s[36:37]
	s_and_saveexec_b64 s[36:37], s[6:7]
	s_cbranch_execz .LBB291_84
.LBB291_159:                            ;   in Loop: Header=BB291_19 Depth=1
	v_cvt_f32_i32_e32 v20, v20
	v_add_f32_e32 v19, v19, v20
	s_waitcnt vmcnt(5)
	v_lshlrev_b32_e32 v20, 16, v28
	v_add_f32_e32 v20, v19, v20
	v_and_b32_e32 v19, 0x7f800000, v20
	v_cmp_ne_u32_e64 s[10:11], s50, v19
                                        ; implicit-def: $vgpr19
	s_and_saveexec_b64 s[38:39], s[10:11]
	s_xor_b64 s[10:11], exec, s[38:39]
; %bb.160:                              ;   in Loop: Header=BB291_19 Depth=1
	v_bfe_u32 v19, v20, 16, 1
	v_add3_u32 v19, v20, v19, s14
                                        ; implicit-def: $vgpr20
; %bb.161:                              ;   in Loop: Header=BB291_19 Depth=1
	s_andn2_saveexec_b64 s[38:39], s[10:11]
; %bb.162:                              ;   in Loop: Header=BB291_19 Depth=1
	v_or_b32_e32 v19, 0x10000, v20
	v_cmp_eq_u32_sdwa s[10:11], v20, v161 src0_sel:WORD_0 src1_sel:DWORD
	s_nop 1
	v_cndmask_b32_e64 v19, v19, v20, s[10:11]
; %bb.163:                              ;   in Loop: Header=BB291_19 Depth=1
	s_or_b64 exec, exec, s[38:39]
	v_add_u32_e32 v20, 2, v160
	v_mov_b32_e32 v21, v161
	v_lshl_add_u64 v[20:21], v[20:21], 1, s[18:19]
	global_store_short_d16_hi v[20:21], v19, off
	s_or_b64 exec, exec, s[36:37]
	s_and_saveexec_b64 s[36:37], s[8:9]
	s_cbranch_execz .LBB291_85
.LBB291_164:                            ;   in Loop: Header=BB291_19 Depth=1
	v_cvt_f32_i32_e32 v12, v12
	v_add_f32_e32 v12, v18, v12
	s_waitcnt vmcnt(4)
	v_lshlrev_b32_e32 v18, 16, v25
	v_add_f32_e32 v18, v12, v18
	v_and_b32_e32 v12, 0x7f800000, v18
	v_cmp_ne_u32_e64 s[10:11], s50, v12
                                        ; implicit-def: $vgpr12
	s_and_saveexec_b64 s[38:39], s[10:11]
	s_xor_b64 s[10:11], exec, s[38:39]
; %bb.165:                              ;   in Loop: Header=BB291_19 Depth=1
	v_bfe_u32 v12, v18, 16, 1
	v_add3_u32 v12, v18, v12, s14
                                        ; implicit-def: $vgpr18
; %bb.166:                              ;   in Loop: Header=BB291_19 Depth=1
	s_andn2_saveexec_b64 s[38:39], s[10:11]
; %bb.167:                              ;   in Loop: Header=BB291_19 Depth=1
	v_or_b32_e32 v12, 0x10000, v18
	v_cmp_eq_u32_sdwa s[10:11], v18, v161 src0_sel:WORD_0 src1_sel:DWORD
	s_nop 1
	v_cndmask_b32_e64 v12, v12, v18, s[10:11]
; %bb.168:                              ;   in Loop: Header=BB291_19 Depth=1
	s_or_b64 exec, exec, s[38:39]
	v_add_u32_e32 v18, 3, v160
	v_mov_b32_e32 v19, v161
	v_lshl_add_u64 v[18:19], v[18:19], 1, s[18:19]
	global_store_short_d16_hi v[18:19], v12, off
	s_or_b64 exec, exec, s[36:37]
	v_add_u32_e32 v160, s15, v160
	s_and_saveexec_b64 s[10:11], vcc
	s_cbranch_execz .LBB291_86
.LBB291_169:                            ;   in Loop: Header=BB291_19 Depth=1
	v_cvt_f32_i32_e32 v12, v14
	v_add_f32_e32 v12, v13, v12
	s_waitcnt vmcnt(3)
	v_lshlrev_b32_e32 v13, 16, v24
	v_add_f32_e32 v13, v12, v13
	v_and_b32_e32 v12, 0x7f800000, v13
	v_cmp_ne_u32_e32 vcc, s50, v12
                                        ; implicit-def: $vgpr12
	s_and_saveexec_b64 s[36:37], vcc
	s_xor_b64 s[36:37], exec, s[36:37]
; %bb.170:                              ;   in Loop: Header=BB291_19 Depth=1
	v_bfe_u32 v12, v13, 16, 1
	v_add3_u32 v12, v13, v12, s14
                                        ; implicit-def: $vgpr13
; %bb.171:                              ;   in Loop: Header=BB291_19 Depth=1
	s_andn2_saveexec_b64 s[36:37], s[36:37]
; %bb.172:                              ;   in Loop: Header=BB291_19 Depth=1
	v_or_b32_e32 v12, 0x10000, v13
	v_cmp_eq_u32_sdwa vcc, v13, v161 src0_sel:WORD_0 src1_sel:DWORD
	s_nop 1
	v_cndmask_b32_e32 v12, v12, v13, vcc
; %bb.173:                              ;   in Loop: Header=BB291_19 Depth=1
	s_or_b64 exec, exec, s[36:37]
	v_lshl_add_u64 v[18:19], v[160:161], 1, s[18:19]
	global_store_short_d16_hi v[18:19], v12, off
	s_or_b64 exec, exec, s[10:11]
	s_and_saveexec_b64 s[10:11], s[4:5]
	s_cbranch_execz .LBB291_87
.LBB291_174:                            ;   in Loop: Header=BB291_19 Depth=1
	v_cvt_f32_i32_e32 v11, v11
	v_add_f32_e32 v10, v10, v11
	s_waitcnt vmcnt(2)
	v_lshlrev_b32_e32 v11, 16, v17
	v_add_f32_e32 v11, v10, v11
	v_and_b32_e32 v10, 0x7f800000, v11
	v_cmp_ne_u32_e32 vcc, s50, v10
                                        ; implicit-def: $vgpr10
	s_and_saveexec_b64 s[4:5], vcc
	s_xor_b64 s[4:5], exec, s[4:5]
; %bb.175:                              ;   in Loop: Header=BB291_19 Depth=1
	v_bfe_u32 v10, v11, 16, 1
	v_add3_u32 v10, v11, v10, s14
                                        ; implicit-def: $vgpr11
; %bb.176:                              ;   in Loop: Header=BB291_19 Depth=1
	s_andn2_saveexec_b64 s[4:5], s[4:5]
; %bb.177:                              ;   in Loop: Header=BB291_19 Depth=1
	v_or_b32_e32 v10, 0x10000, v11
	v_cmp_eq_u32_sdwa vcc, v11, v161 src0_sel:WORD_0 src1_sel:DWORD
	s_nop 1
	v_cndmask_b32_e32 v10, v10, v11, vcc
; %bb.178:                              ;   in Loop: Header=BB291_19 Depth=1
	s_or_b64 exec, exec, s[4:5]
	v_add_u32_e32 v12, 1, v160
	v_mov_b32_e32 v13, v161
	v_lshl_add_u64 v[12:13], v[12:13], 1, s[18:19]
	global_store_short_d16_hi v[12:13], v10, off
	s_or_b64 exec, exec, s[10:11]
	s_and_saveexec_b64 s[4:5], s[6:7]
	s_cbranch_execz .LBB291_88
.LBB291_179:                            ;   in Loop: Header=BB291_19 Depth=1
	v_cvt_f32_i32_e32 v9, v9
	v_add_f32_e32 v8, v8, v9
	s_waitcnt vmcnt(1)
	v_lshlrev_b32_e32 v9, 16, v16
	v_add_f32_e32 v9, v8, v9
	v_and_b32_e32 v8, 0x7f800000, v9
	v_cmp_ne_u32_e32 vcc, s50, v8
                                        ; implicit-def: $vgpr8
	s_and_saveexec_b64 s[6:7], vcc
	s_xor_b64 s[6:7], exec, s[6:7]
; %bb.180:                              ;   in Loop: Header=BB291_19 Depth=1
	v_bfe_u32 v8, v9, 16, 1
	v_add3_u32 v8, v9, v8, s14
                                        ; implicit-def: $vgpr9
; %bb.181:                              ;   in Loop: Header=BB291_19 Depth=1
	s_andn2_saveexec_b64 s[6:7], s[6:7]
; %bb.182:                              ;   in Loop: Header=BB291_19 Depth=1
	v_or_b32_e32 v8, 0x10000, v9
	v_cmp_eq_u32_sdwa vcc, v9, v161 src0_sel:WORD_0 src1_sel:DWORD
	s_nop 1
	v_cndmask_b32_e32 v8, v8, v9, vcc
; %bb.183:                              ;   in Loop: Header=BB291_19 Depth=1
	s_or_b64 exec, exec, s[6:7]
	v_add_u32_e32 v10, 2, v160
	v_mov_b32_e32 v11, v161
	v_lshl_add_u64 v[10:11], v[10:11], 1, s[18:19]
	global_store_short_d16_hi v[10:11], v8, off
	s_or_b64 exec, exec, s[4:5]
	s_and_b64 exec, exec, s[8:9]
	s_cbranch_execz .LBB291_189
.LBB291_184:                            ;   in Loop: Header=BB291_19 Depth=1
	v_cvt_f32_i32_e32 v7, v7
	v_add_f32_e32 v6, v6, v7
	s_waitcnt vmcnt(0)
	v_lshlrev_b32_e32 v7, 16, v15
	v_add_f32_e32 v7, v6, v7
	v_and_b32_e32 v6, 0x7f800000, v7
	v_cmp_ne_u32_e32 vcc, s50, v6
                                        ; implicit-def: $vgpr6
	s_and_saveexec_b64 s[4:5], vcc
	s_xor_b64 s[4:5], exec, s[4:5]
; %bb.185:                              ;   in Loop: Header=BB291_19 Depth=1
	v_bfe_u32 v6, v7, 16, 1
	v_add3_u32 v6, v7, v6, s14
                                        ; implicit-def: $vgpr7
; %bb.186:                              ;   in Loop: Header=BB291_19 Depth=1
	s_andn2_saveexec_b64 s[4:5], s[4:5]
; %bb.187:                              ;   in Loop: Header=BB291_19 Depth=1
	v_or_b32_e32 v6, 0x10000, v7
	v_cmp_eq_u32_sdwa vcc, v7, v161 src0_sel:WORD_0 src1_sel:DWORD
	s_nop 1
	v_cndmask_b32_e32 v6, v6, v7, vcc
; %bb.188:                              ;   in Loop: Header=BB291_19 Depth=1
	s_or_b64 exec, exec, s[4:5]
	v_add_u32_e32 v160, 3, v160
	v_lshl_add_u64 v[8:9], v[160:161], 1, s[18:19]
	global_store_short_d16_hi v[8:9], v6, off
.LBB291_189:                            ;   in Loop: Header=BB291_19 Depth=1
	s_or_b64 exec, exec, s[34:35]
	v_add_u32_e32 v158, s41, v158
	v_add_u32_e32 v6, 4, v158
	v_cmp_gt_u32_e32 vcc, s15, v158
	v_cmp_le_u32_e64 s[4:5], s15, v6
	s_and_b64 s[4:5], vcc, s[4:5]
	s_and_saveexec_b64 s[6:7], s[4:5]
	s_cbranch_execz .LBB291_18
; %bb.190:                              ;   in Loop: Header=BB291_19 Depth=1
	v_cmp_ne_u32_e32 vcc, s42, v158
	s_and_saveexec_b64 s[8:9], vcc
	s_cbranch_execz .LBB291_17
; %bb.191:                              ;   in Loop: Header=BB291_19 Depth=1
	v_subrev_u32_e32 v6, s42, v158
	v_cmp_lt_u32_e32 vcc, 1, v6
	s_mov_b64 s[10:11], 0
	s_mov_b64 s[34:35], 0
	v_cndmask_b32_e32 v6, 1, v6, vcc
.LBB291_192:                            ;   Parent Loop BB291_19 Depth=1
                                        ; =>  This Inner Loop Header: Depth=2
	s_cmp_lg_u32 s34, 3
	s_cselect_b64 vcc, -1, 0
	s_cmp_lg_u32 s34, 2
	v_cndmask_b32_e32 v5, 0, v5, vcc
	s_cselect_b64 vcc, -1, 0
	s_cmp_lg_u32 s34, 1
	v_cndmask_b32_e32 v4, 0, v4, vcc
	;; [unrolled: 3-line block ×3, first 2 shown]
	s_cselect_b64 vcc, -1, 0
	s_add_u32 s34, s34, 1
	s_addc_u32 s35, s35, 0
	v_cmp_eq_u32_e64 s[4:5], s34, v6
	s_or_b64 s[10:11], s[4:5], s[10:11]
	v_cndmask_b32_e32 v2, 0, v2, vcc
	s_andn2_b64 exec, exec, s[10:11]
	s_cbranch_execnz .LBB291_192
; %bb.193:                              ;   in Loop: Header=BB291_19 Depth=1
	s_or_b64 exec, exec, s[10:11]
	s_branch .LBB291_17
.LBB291_194:
	s_endpgm
	.section	.rodata,"a",@progbits
	.p2align	6, 0x0
	.amdhsa_kernel _Z12wvSplitK_hf_I14__hip_bfloat16Li32ELi4ELi16ELi8ELi2ELi5EEviiiiiiPKT_S3_S3_PS1_ii
		.amdhsa_group_segment_fixed_size 65536
		.amdhsa_private_segment_fixed_size 0
		.amdhsa_kernarg_size 64
		.amdhsa_user_sgpr_count 2
		.amdhsa_user_sgpr_dispatch_ptr 0
		.amdhsa_user_sgpr_queue_ptr 0
		.amdhsa_user_sgpr_kernarg_segment_ptr 1
		.amdhsa_user_sgpr_dispatch_id 0
		.amdhsa_user_sgpr_kernarg_preload_length 0
		.amdhsa_user_sgpr_kernarg_preload_offset 0
		.amdhsa_user_sgpr_private_segment_size 0
		.amdhsa_uses_dynamic_stack 0
		.amdhsa_enable_private_segment 0
		.amdhsa_system_sgpr_workgroup_id_x 1
		.amdhsa_system_sgpr_workgroup_id_y 0
		.amdhsa_system_sgpr_workgroup_id_z 0
		.amdhsa_system_sgpr_workgroup_info 0
		.amdhsa_system_vgpr_workitem_id 1
		.amdhsa_next_free_vgpr 189
		.amdhsa_next_free_sgpr 51
		.amdhsa_accum_offset 192
		.amdhsa_reserve_vcc 1
		.amdhsa_float_round_mode_32 0
		.amdhsa_float_round_mode_16_64 0
		.amdhsa_float_denorm_mode_32 3
		.amdhsa_float_denorm_mode_16_64 3
		.amdhsa_dx10_clamp 1
		.amdhsa_ieee_mode 1
		.amdhsa_fp16_overflow 0
		.amdhsa_tg_split 0
		.amdhsa_exception_fp_ieee_invalid_op 0
		.amdhsa_exception_fp_denorm_src 0
		.amdhsa_exception_fp_ieee_div_zero 0
		.amdhsa_exception_fp_ieee_overflow 0
		.amdhsa_exception_fp_ieee_underflow 0
		.amdhsa_exception_fp_ieee_inexact 0
		.amdhsa_exception_int_div_zero 0
	.end_amdhsa_kernel
	.section	.text._Z12wvSplitK_hf_I14__hip_bfloat16Li32ELi4ELi16ELi8ELi2ELi5EEviiiiiiPKT_S3_S3_PS1_ii,"axG",@progbits,_Z12wvSplitK_hf_I14__hip_bfloat16Li32ELi4ELi16ELi8ELi2ELi5EEviiiiiiPKT_S3_S3_PS1_ii,comdat
.Lfunc_end291:
	.size	_Z12wvSplitK_hf_I14__hip_bfloat16Li32ELi4ELi16ELi8ELi2ELi5EEviiiiiiPKT_S3_S3_PS1_ii, .Lfunc_end291-_Z12wvSplitK_hf_I14__hip_bfloat16Li32ELi4ELi16ELi8ELi2ELi5EEviiiiiiPKT_S3_S3_PS1_ii
                                        ; -- End function
	.section	.AMDGPU.csdata,"",@progbits
; Kernel info:
; codeLenInByte = 9804
; NumSgprs: 57
; NumVgprs: 189
; NumAgprs: 0
; TotalNumVgprs: 189
; ScratchSize: 0
; MemoryBound: 1
; FloatMode: 240
; IeeeMode: 1
; LDSByteSize: 65536 bytes/workgroup (compile time only)
; SGPRBlocks: 7
; VGPRBlocks: 23
; NumSGPRsForWavesPerEU: 57
; NumVGPRsForWavesPerEU: 189
; AccumOffset: 192
; Occupancy: 2
; WaveLimiterHint : 0
; COMPUTE_PGM_RSRC2:SCRATCH_EN: 0
; COMPUTE_PGM_RSRC2:USER_SGPR: 2
; COMPUTE_PGM_RSRC2:TRAP_HANDLER: 0
; COMPUTE_PGM_RSRC2:TGID_X_EN: 1
; COMPUTE_PGM_RSRC2:TGID_Y_EN: 0
; COMPUTE_PGM_RSRC2:TGID_Z_EN: 0
; COMPUTE_PGM_RSRC2:TIDIG_COMP_CNT: 1
; COMPUTE_PGM_RSRC3_GFX90A:ACCUM_OFFSET: 47
; COMPUTE_PGM_RSRC3_GFX90A:TG_SPLIT: 0
	.section	.text._Z16wvSplitK_hf_big_I14__hip_bfloat16Li32ELi4ELi16ELi8ELi2ELi5EEviiiiiiPKT_S3_S3_PS1_ii,"axG",@progbits,_Z16wvSplitK_hf_big_I14__hip_bfloat16Li32ELi4ELi16ELi8ELi2ELi5EEviiiiiiPKT_S3_S3_PS1_ii,comdat
	.protected	_Z16wvSplitK_hf_big_I14__hip_bfloat16Li32ELi4ELi16ELi8ELi2ELi5EEviiiiiiPKT_S3_S3_PS1_ii ; -- Begin function _Z16wvSplitK_hf_big_I14__hip_bfloat16Li32ELi4ELi16ELi8ELi2ELi5EEviiiiiiPKT_S3_S3_PS1_ii
	.globl	_Z16wvSplitK_hf_big_I14__hip_bfloat16Li32ELi4ELi16ELi8ELi2ELi5EEviiiiiiPKT_S3_S3_PS1_ii
	.p2align	8
	.type	_Z16wvSplitK_hf_big_I14__hip_bfloat16Li32ELi4ELi16ELi8ELi2ELi5EEviiiiiiPKT_S3_S3_PS1_ii,@function
_Z16wvSplitK_hf_big_I14__hip_bfloat16Li32ELi4ELi16ELi8ELi2ELi5EEviiiiiiPKT_S3_S3_PS1_ii: ; @_Z16wvSplitK_hf_big_I14__hip_bfloat16Li32ELi4ELi16ELi8ELi2ELi5EEviiiiiiPKT_S3_S3_PS1_ii
; %bb.0:
	s_load_dwordx2 s[8:9], s[0:1], 0x38
	v_bfe_u32 v7, v0, 10, 10
	s_waitcnt lgkmcnt(0)
	v_cmp_gt_u32_e32 vcc, s8, v7
	s_and_saveexec_b64 s[4:5], vcc
	s_cbranch_execz .LBB292_160
; %bb.1:
	s_load_dwordx4 s[24:27], s[0:1], 0x0
	s_mul_i32 s2, s2, s8
	v_add_lshl_u32 v158, s2, v7, 2
	s_mov_b32 s4, 1
	v_add_u32_e32 v1, 4, v158
	s_mov_b32 s5, s4
	s_waitcnt lgkmcnt(0)
	v_cmp_gt_u32_e32 vcc, s27, v158
	v_cmp_le_u32_e64 s[2:3], s27, v1
	s_mov_b32 s6, s4
	s_mov_b32 s7, s4
	v_mov_b64_e32 v[2:3], s[4:5]
	s_and_b64 s[10:11], vcc, s[2:3]
	v_mov_b64_e32 v[4:5], s[6:7]
	s_and_saveexec_b64 s[2:3], s[10:11]
	s_cbranch_execz .LBB292_7
; %bb.2:
	s_add_i32 s16, s27, -4
	v_mov_b64_e32 v[2:3], s[4:5]
	v_cmp_ne_u32_e32 vcc, s16, v158
	v_mov_b64_e32 v[4:5], s[6:7]
	s_and_saveexec_b64 s[10:11], vcc
	s_cbranch_execz .LBB292_6
; %bb.3:
	v_subrev_u32_e32 v1, s16, v158
	v_cmp_lt_u32_e32 vcc, 1, v1
	s_mov_b64 s[12:13], 0
	s_mov_b64 s[14:15], 0
	v_cndmask_b32_e32 v6, 1, v1, vcc
	s_mov_b32 s5, s4
	s_mov_b32 s6, s4
	;; [unrolled: 1-line block ×3, first 2 shown]
.LBB292_4:                              ; =>This Inner Loop Header: Depth=1
	s_cmp_lg_u32 s14, 3
	s_cselect_b32 s7, s7, 0
	s_cmp_lg_u32 s14, 2
	s_cselect_b32 s6, s6, 0
	;; [unrolled: 2-line block ×4, first 2 shown]
	s_add_u32 s14, s14, 1
	s_addc_u32 s15, s15, 0
	v_cmp_eq_u32_e32 vcc, s14, v6
	v_mov_b64_e32 v[2:3], s[4:5]
	s_or_b64 s[12:13], vcc, s[12:13]
	v_mov_b64_e32 v[4:5], s[6:7]
	s_andn2_b64 exec, exec, s[12:13]
	s_cbranch_execnz .LBB292_4
; %bb.5:
	s_or_b64 exec, exec, s[12:13]
	v_mov_b32_e32 v158, s16
.LBB292_6:
	s_or_b64 exec, exec, s[10:11]
.LBB292_7:
	s_or_b64 exec, exec, s[2:3]
	s_lshl_b32 s2, s8, 2
	s_abs_i32 s3, s2
	v_cvt_f32_u32_e32 v1, s3
	s_sub_i32 s6, 0, s3
	s_abs_i32 s5, s27
	s_ashr_i32 s4, s27, 31
	v_rcp_iflag_f32_e32 v1, v1
	s_nop 0
	v_mul_f32_e32 v1, 0x4f7ffffe, v1
	v_cvt_u32_f32_e32 v1, v1
	s_nop 0
	v_readfirstlane_b32 s7, v1
	s_mul_i32 s6, s6, s7
	s_mul_hi_u32 s6, s7, s6
	s_add_i32 s7, s7, s6
	s_mul_hi_u32 s6, s5, s7
	s_mul_i32 s6, s6, s3
	s_sub_i32 s5, s5, s6
	s_sub_i32 s6, s5, s3
	s_cmp_ge_u32 s5, s3
	s_cselect_b32 s5, s6, s5
	s_sub_i32 s6, s5, s3
	s_cmp_ge_u32 s5, s3
	s_cselect_b32 s3, s6, s5
	s_xor_b32 s3, s3, s4
	s_sub_i32 s3, s3, s4
	s_add_i32 s2, s2, s27
	s_sub_i32 s2, s2, s3
	s_cmp_eq_u32 s3, 0
	s_cselect_b32 s33, s27, s2
	v_cmp_gt_u32_e32 vcc, s33, v158
	s_and_b64 exec, exec, vcc
	s_cbranch_execz .LBB292_160
; %bb.8:
	s_load_dwordx8 s[16:23], s[0:1], 0x10
	s_min_u32 s44, s26, 0x1800
	s_cmp_lg_u32 s24, 0
	s_load_dwordx2 s[14:15], s[0:1], 0x30
	s_cselect_b64 s[2:3], -1, 0
	s_cmp_lg_u32 s26, 0
	s_mul_i32 s0, s9, s8
	s_cselect_b64 s[4:5], -1, 0
	s_lshl_b32 s45, s8, 8
	s_add_i32 s46, s24, -8
	s_add_i32 s47, s27, -1
	s_lshl_b32 s48, s0, 2
	s_waitcnt lgkmcnt(0)
	s_cmp_lg_u64 s[22:23], 0
	s_cselect_b64 s[30:31], -1, 0
	s_abs_i32 s6, s17
	v_cvt_f32_u32_e32 v1, s16
	v_cvt_f32_u32_e32 v6, s6
	s_sub_i32 s7, 0, s16
	s_add_i32 s17, s27, -4
	v_rcp_iflag_f32_e32 v1, v1
	v_rcp_iflag_f32_e32 v6, v6
	v_and_b32_e32 v0, 0x3ff, v0
	v_lshlrev_b32_e32 v161, 3, v0
	v_mul_f32_e32 v1, 0x4f7ffffe, v1
	v_mul_f32_e32 v6, 0x4f7ffffe, v6
	v_cvt_u32_f32_e32 v1, v1
	v_cvt_u32_f32_e32 v6, v6
	v_cmp_eq_u32_e64 s[0:1], 31, v0
	v_lshlrev_b32_e32 v0, 4, v0
	v_mul_lo_u32 v8, s7, v1
	s_sub_i32 s7, 0, s6
	v_readfirstlane_b32 s9, v6
	s_mul_i32 s7, s7, s9
	s_mul_hi_u32 s7, s9, s7
	s_add_i32 s9, s9, s7
	s_sub_i32 s7, 1, s6
	s_cmp_lt_u32 s6, 2
	s_cselect_b32 s7, s7, 1
	s_sub_i32 s10, s7, s6
	s_cmp_ge_u32 s7, s6
	s_cselect_b32 s49, s10, s7
	s_lshr_b32 s7, s9, 31
	s_mul_i32 s7, s7, s6
	s_sub_i32 s7, 2, s7
	s_sub_i32 s10, s7, s6
	s_cmp_ge_u32 s7, s6
	s_cselect_b32 s7, s10, s7
	s_sub_i32 s10, s7, s6
	s_cmp_ge_u32 s7, s6
	s_cselect_b32 s50, s10, s7
	s_mul_hi_u32 s7, s9, 3
	s_mul_i32 s7, s7, s6
	s_sub_i32 s7, 3, s7
	s_sub_i32 s10, s7, s6
	s_cmp_ge_u32 s7, s6
	s_cselect_b32 s7, s10, s7
	s_sub_i32 s10, s7, s6
	s_cmp_ge_u32 s7, s6
	s_cselect_b32 s51, s10, s7
	s_lshr_b32 s7, s9, 30
	s_mul_i32 s7, s7, s6
	s_sub_i32 s7, 4, s7
	s_sub_i32 s9, s7, s6
	s_cmp_ge_u32 s7, s6
	s_cselect_b32 s7, s9, s7
	s_sub_i32 s9, s7, s6
	s_cmp_ge_u32 s7, s6
	v_lshl_add_u32 v173, v7, 9, v0
	v_lshl_add_u32 v160, v7, 8, v161
	v_cndmask_b32_e64 v0, 0, 1, s[2:3]
	v_mul_hi_u32 v8, v1, v8
	s_cselect_b32 s52, s9, s7
	s_add_u32 s34, s14, 2
	v_mad_u64_u32 v[162:163], s[6:7], s26, 3, v[160:161]
	v_cmp_ne_u32_e64 s[2:3], 1, v0
	v_cndmask_b32_e64 v0, 0, 1, s[4:5]
	s_mov_b64 s[28:29], 0
	v_add_u32_e32 v172, v1, v8
	v_mov_b32_e32 v1, 0
	s_mul_i32 s49, s49, s16
	s_mul_i32 s50, s50, s16
	;; [unrolled: 1-line block ×4, first 2 shown]
	s_addc_u32 s35, s15, 0
	s_lshl_b32 s53, s44, 3
	s_lshl_b32 s54, s8, 9
	s_mul_i32 s55, s44, 6
	s_lshl_b32 s56, s44, 2
	s_lshl_b32 s57, s44, 1
	v_lshl_add_u32 v174, s26, 1, v160
	v_lshl_add_u32 v163, s26, 2, v160
	v_add_u32_e32 v175, s26, v160
	s_mov_b32 s58, 0x7f800000
	s_movk_i32 s59, 0x7fff
	v_cmp_ne_u32_e64 s[4:5], 1, v0
	s_branch .LBB292_12
.LBB292_9:                              ;   in Loop: Header=BB292_12 Depth=1
	s_or_b64 exec, exec, s[10:11]
	v_mov_b32_e32 v158, s17
.LBB292_10:                             ;   in Loop: Header=BB292_12 Depth=1
	s_or_b64 exec, exec, s[8:9]
.LBB292_11:                             ;   in Loop: Header=BB292_12 Depth=1
	s_or_b64 exec, exec, s[36:37]
	v_cmp_le_u32_e32 vcc, s33, v158
	s_or_b64 s[28:29], vcc, s[28:29]
	s_andn2_b64 exec, exec, s[28:29]
	s_cbranch_execz .LBB292_160
.LBB292_12:                             ; =>This Loop Header: Depth=1
                                        ;     Child Loop BB292_17 Depth 2
                                        ;       Child Loop BB292_22 Depth 3
                                        ;     Child Loop BB292_158 Depth 2
	s_and_b64 vcc, exec, s[2:3]
	v_mov_b32_e32 v9, v1
	v_mov_b32_e32 v8, v1
	s_waitcnt vmcnt(16)
	v_mov_b32_e32 v7, v1
	v_mov_b32_e32 v6, v1
	;; [unrolled: 1-line block ×10, first 2 shown]
	s_waitcnt vmcnt(0)
	v_mov_b32_e32 v21, v1
	v_mov_b32_e32 v20, v1
	;; [unrolled: 1-line block ×68, first 2 shown]
	s_cbranch_vccnz .LBB292_29
; %bb.13:                               ;   in Loop: Header=BB292_12 Depth=1
	v_add_u32_e32 v6, 1, v158
	v_add_u32_e32 v8, 2, v158
	;; [unrolled: 1-line block ×3, first 2 shown]
	v_min_u32_e32 v0, s47, v158
	v_min_u32_e32 v6, s47, v6
	;; [unrolled: 1-line block ×4, first 2 shown]
	v_mul_lo_u32 v0, v0, s25
	v_mul_lo_u32 v6, v6, s25
	v_mov_b32_e32 v7, v1
	v_mul_lo_u32 v8, v8, s25
	v_mov_b32_e32 v9, v1
	;; [unrolled: 2-line block ×3, first 2 shown]
	v_mov_b32_e32 v38, 0
	v_cmp_gt_u32_e64 s[6:7], s27, v158
	s_mov_b32 s36, 0
	v_lshlrev_b64 v[164:165], 1, v[0:1]
	v_lshlrev_b64 v[166:167], 1, v[6:7]
	;; [unrolled: 1-line block ×4, first 2 shown]
	s_mov_b32 s37, 0
	v_mov_b32_e32 v39, v38
	v_mov_b32_e32 v40, v38
	;; [unrolled: 1-line block ×79, first 2 shown]
	s_branch .LBB292_17
.LBB292_14:                             ;   in Loop: Header=BB292_17 Depth=2
	s_or_b64 exec, exec, s[12:13]
.LBB292_15:                             ;   in Loop: Header=BB292_17 Depth=2
	s_or_b64 exec, exec, s[10:11]
	s_waitcnt vmcnt(7) lgkmcnt(4)
	v_mfma_f32_4x4x4_16b_bf16 v[82:85], v[154:155], v[106:107], v[82:85]
	s_waitcnt vmcnt(6)
	v_mfma_f32_4x4x4_16b_bf16 v[78:81], v[154:155], v[102:103], v[78:81]
	s_waitcnt vmcnt(5)
	v_mfma_f32_4x4x4_16b_bf16 v[74:77], v[154:155], v[118:119], v[74:77]
	s_waitcnt vmcnt(4)
	v_mfma_f32_4x4x4_16b_bf16 v[70:73], v[154:155], v[110:111], v[70:73]
	s_waitcnt lgkmcnt(3)
	v_mfma_f32_4x4x4_16b_bf16 v[66:69], v[150:151], v[106:107], v[66:69]
	v_mfma_f32_4x4x4_16b_bf16 v[62:65], v[150:151], v[102:103], v[62:65]
	v_mfma_f32_4x4x4_16b_bf16 v[58:61], v[150:151], v[118:119], v[58:61]
	v_mfma_f32_4x4x4_16b_bf16 v[54:57], v[150:151], v[110:111], v[54:57]
	s_waitcnt lgkmcnt(2)
	v_mfma_f32_4x4x4_16b_bf16 v[50:53], v[146:147], v[106:107], v[50:53]
	v_mfma_f32_4x4x4_16b_bf16 v[46:49], v[146:147], v[102:103], v[46:49]
	v_mfma_f32_4x4x4_16b_bf16 v[42:45], v[146:147], v[118:119], v[42:45]
	;; [unrolled: 5-line block ×4, first 2 shown]
	v_mfma_f32_4x4x4_16b_bf16 v[6:9], v[138:139], v[110:111], v[6:9]
	v_mfma_f32_4x4x4_16b_bf16 v[82:85], v[156:157], v[108:109], v[82:85]
	v_mfma_f32_4x4x4_16b_bf16 v[78:81], v[156:157], v[104:105], v[78:81]
	v_mfma_f32_4x4x4_16b_bf16 v[74:77], v[156:157], v[120:121], v[74:77]
	v_mfma_f32_4x4x4_16b_bf16 v[70:73], v[156:157], v[112:113], v[70:73]
	v_mfma_f32_4x4x4_16b_bf16 v[66:69], v[152:153], v[108:109], v[66:69]
	v_mfma_f32_4x4x4_16b_bf16 v[62:65], v[152:153], v[104:105], v[62:65]
	v_mfma_f32_4x4x4_16b_bf16 v[58:61], v[152:153], v[120:121], v[58:61]
	v_mfma_f32_4x4x4_16b_bf16 v[54:57], v[152:153], v[112:113], v[54:57]
	v_mfma_f32_4x4x4_16b_bf16 v[50:53], v[148:149], v[108:109], v[50:53]
	v_mfma_f32_4x4x4_16b_bf16 v[46:49], v[148:149], v[104:105], v[46:49]
	v_mfma_f32_4x4x4_16b_bf16 v[42:45], v[148:149], v[120:121], v[42:45]
	v_mfma_f32_4x4x4_16b_bf16 v[38:41], v[148:149], v[112:113], v[38:41]
	v_mfma_f32_4x4x4_16b_bf16 v[34:37], v[144:145], v[108:109], v[34:37]
	v_mfma_f32_4x4x4_16b_bf16 v[30:33], v[144:145], v[104:105], v[30:33]
	v_mfma_f32_4x4x4_16b_bf16 v[26:29], v[144:145], v[120:121], v[26:29]
	v_mfma_f32_4x4x4_16b_bf16 v[22:25], v[144:145], v[112:113], v[22:25]
	v_mfma_f32_4x4x4_16b_bf16 v[18:21], v[140:141], v[108:109], v[18:21]
	v_mfma_f32_4x4x4_16b_bf16 v[14:17], v[140:141], v[104:105], v[14:17]
	v_mfma_f32_4x4x4_16b_bf16 v[10:13], v[140:141], v[120:121], v[10:13]
	v_mfma_f32_4x4x4_16b_bf16 v[6:9], v[140:141], v[112:113], v[6:9]
	s_waitcnt vmcnt(3)
	v_mfma_f32_4x4x4_16b_bf16 v[82:85], v[134:135], v[90:91], v[82:85]
	s_waitcnt vmcnt(2)
	v_mfma_f32_4x4x4_16b_bf16 v[78:81], v[134:135], v[86:87], v[78:81]
	;; [unrolled: 2-line block ×4, first 2 shown]
	v_mfma_f32_4x4x4_16b_bf16 v[66:69], v[130:131], v[90:91], v[66:69]
	v_mfma_f32_4x4x4_16b_bf16 v[62:65], v[130:131], v[86:87], v[62:65]
	;; [unrolled: 1-line block ×36, first 2 shown]
.LBB292_16:                             ;   in Loop: Header=BB292_17 Depth=2
	s_or_b64 exec, exec, s[8:9]
	s_addk_i32 s37, 0x200
	s_cmp_ge_u32 s37, s24
	s_cbranch_scc1 .LBB292_29
.LBB292_17:                             ;   Parent Loop BB292_12 Depth=1
                                        ; =>  This Loop Header: Depth=2
                                        ;       Child Loop BB292_22 Depth 3
	s_cmp_eq_u32 s37, 0
	s_cselect_b64 s[8:9], -1, 0
	s_add_i32 s10, s36, s44
	s_cmp_eq_u32 s37, s10
	s_cselect_b64 s[12:13], -1, 0
	s_or_b64 s[12:13], s[8:9], s[12:13]
	s_andn2_b64 vcc, exec, s[12:13]
	s_cbranch_vccz .LBB292_19
; %bb.18:                               ;   in Loop: Header=BB292_17 Depth=2
	s_and_saveexec_b64 s[8:9], s[6:7]
	s_cbranch_execz .LBB292_16
	s_branch .LBB292_26
.LBB292_19:                             ;   in Loop: Header=BB292_17 Depth=2
	s_and_b64 s[8:9], s[8:9], exec
	s_cselect_b32 s36, s36, s10
	s_and_b64 vcc, exec, s[4:5]
	s_barrier
	s_cbranch_vccnz .LBB292_25
; %bb.20:                               ;   in Loop: Header=BB292_17 Depth=2
	v_add_u32_e32 v86, s36, v174
	v_add_u32_e32 v87, s36, v162
	;; [unrolled: 1-line block ×5, first 2 shown]
	s_mov_b32 s38, 0
	s_mov_b64 s[10:11], 0
	v_mov_b32_e32 v91, v173
                                        ; implicit-def: $sgpr12_sgpr13
	s_branch .LBB292_22
.LBB292_21:                             ;   in Loop: Header=BB292_22 Depth=3
	s_or_b64 exec, exec, s[8:9]
	s_and_b64 s[8:9], exec, s[12:13]
	s_or_b64 s[10:11], s[8:9], s[10:11]
	s_andn2_b64 exec, exec, s[10:11]
	s_cbranch_execz .LBB292_24
.LBB292_22:                             ;   Parent Loop BB292_12 Depth=1
                                        ;     Parent Loop BB292_17 Depth=2
                                        ; =>    This Inner Loop Header: Depth=3
	v_add_u32_e32 v92, s38, v160
	v_add_u32_e32 v0, s38, v90
	v_cmp_gt_u32_e32 vcc, s26, v0
	v_cmp_gt_u32_e64 s[8:9], s44, v92
	s_and_b64 s[40:41], s[8:9], vcc
	s_or_b64 s[12:13], s[12:13], exec
	s_and_saveexec_b64 s[8:9], s[40:41]
	s_cbranch_execz .LBB292_21
; %bb.23:                               ;   in Loop: Header=BB292_22 Depth=3
	v_lshl_add_u64 v[92:93], v[0:1], 1, s[20:21]
	v_add_u32_e32 v0, s38, v89
	v_lshl_add_u64 v[96:97], v[0:1], 1, s[20:21]
	v_add_u32_e32 v0, s38, v86
	;; [unrolled: 2-line block ×3, first 2 shown]
	v_lshl_add_u64 v[104:105], v[0:1], 1, s[20:21]
	global_load_dwordx4 v[92:95], v[92:93], off
	s_nop 0
	global_load_dwordx4 v[96:99], v[96:97], off
	s_nop 0
	;; [unrolled: 2-line block ×3, first 2 shown]
	global_load_dwordx4 v[104:107], v[104:105], off
	v_add_u32_e32 v0, s38, v88
	v_lshl_add_u64 v[108:109], v[0:1], 1, s[20:21]
	global_load_dwordx4 v[108:111], v[108:109], off
	s_add_i32 s38, s38, s45
	s_cmp_ge_u32 s38, s44
	s_cselect_b64 s[40:41], -1, 0
	s_andn2_b64 s[12:13], s[12:13], exec
	s_and_b64 s[40:41], s[40:41], exec
	v_add_u32_e32 v0, s57, v91
	v_add_u32_e32 v112, s56, v91
	;; [unrolled: 1-line block ×4, first 2 shown]
	s_or_b64 s[12:13], s[12:13], s[40:41]
	s_waitcnt vmcnt(4)
	ds_write_b128 v91, v[92:95]
	v_add_u32_e32 v91, s54, v91
	s_waitcnt vmcnt(3)
	ds_write2_b64 v0, v[96:97], v[98:99] offset1:1
	s_waitcnt vmcnt(2)
	ds_write2_b32 v112, v100, v101 offset1:1
	ds_write2_b32 v112, v102, v103 offset0:2 offset1:3
	s_waitcnt vmcnt(1)
	ds_write2_b64 v113, v[104:105], v[106:107] offset1:1
	s_waitcnt vmcnt(0)
	ds_write2_b64 v114, v[108:109], v[110:111] offset1:1
	s_branch .LBB292_21
.LBB292_24:                             ;   in Loop: Header=BB292_17 Depth=2
	s_or_b64 exec, exec, s[10:11]
.LBB292_25:                             ;   in Loop: Header=BB292_17 Depth=2
	s_waitcnt lgkmcnt(0)
	s_barrier
	s_and_saveexec_b64 s[8:9], s[6:7]
	s_cbranch_execz .LBB292_16
.LBB292_26:                             ;   in Loop: Header=BB292_17 Depth=2
	v_add_u32_e32 v159, s37, v161
	v_min_u32_e32 v0, s46, v159
	v_lshl_add_u64 v[86:87], v[0:1], 1, s[18:19]
	v_add_u32_e32 v176, 0x100, v159
	v_lshl_add_u64 v[88:89], v[86:87], 0, v[164:165]
	v_min_u32_e32 v0, s46, v176
	v_lshl_add_u64 v[90:91], v[86:87], 0, v[166:167]
	global_load_dwordx4 v[106:109], v[88:89], off nt
	global_load_dwordx4 v[102:105], v[90:91], off nt
	v_lshl_add_u64 v[88:89], v[86:87], 0, v[168:169]
	v_lshl_add_u64 v[86:87], v[86:87], 0, v[170:171]
	;; [unrolled: 1-line block ×3, first 2 shown]
	global_load_dwordx4 v[118:121], v[88:89], off nt
	global_load_dwordx4 v[110:113], v[86:87], off nt
	v_lshl_add_u64 v[86:87], v[94:95], 0, v[164:165]
	v_lshl_add_u64 v[88:89], v[94:95], 0, v[166:167]
	;; [unrolled: 1-line block ×4, first 2 shown]
	global_load_dwordx4 v[90:93], v[86:87], off nt
	s_nop 0
	global_load_dwordx4 v[86:89], v[88:89], off nt
	s_nop 0
	;; [unrolled: 2-line block ×3, first 2 shown]
	global_load_dwordx4 v[94:97], v[94:95], off nt
	v_cmp_gt_u32_e32 vcc, s24, v159
	v_mov_b32_e32 v116, 0
	v_mov_b32_e32 v117, 0
	;; [unrolled: 1-line block ×40, first 2 shown]
	s_and_saveexec_b64 s[10:11], vcc
	s_cbranch_execz .LBB292_15
; %bb.27:                               ;   in Loop: Header=BB292_17 Depth=2
	v_subrev_u32_e32 v0, s36, v159
	v_lshlrev_b32_e32 v179, 1, v0
	v_add_u32_e32 v178, s57, v179
	v_add_u32_e32 v177, s57, v178
	;; [unrolled: 1-line block ×4, first 2 shown]
	ds_read_b128 v[154:157], v179
	ds_read_b128 v[150:153], v178
	;; [unrolled: 1-line block ×5, first 2 shown]
	v_cmp_gt_u32_e32 vcc, s24, v176
	v_mov_b32_e32 v135, 0
	v_mov_b32_e32 v134, 0
	;; [unrolled: 1-line block ×20, first 2 shown]
	s_and_saveexec_b64 s[12:13], vcc
	s_cbranch_execz .LBB292_14
; %bb.28:                               ;   in Loop: Header=BB292_17 Depth=2
	ds_read_b128 v[134:137], v179 offset:512
	ds_read_b128 v[130:133], v178 offset:512
	;; [unrolled: 1-line block ×4, first 2 shown]
	ds_read2_b64 v[114:117], v0 offset0:64 offset1:65
	s_branch .LBB292_14
.LBB292_29:                             ;   in Loop: Header=BB292_12 Depth=1
	v_cmp_le_u32_e32 vcc, s27, v158
	s_and_saveexec_b64 s[6:7], vcc
	s_xor_b64 s[6:7], exec, s[6:7]
; %bb.30:                               ;   in Loop: Header=BB292_12 Depth=1
	v_add_u32_e32 v158, s48, v158
                                        ; implicit-def: $vgpr9
                                        ; implicit-def: $vgpr13
                                        ; implicit-def: $vgpr17
                                        ; implicit-def: $vgpr21
                                        ; implicit-def: $vgpr25
                                        ; implicit-def: $vgpr29
                                        ; implicit-def: $vgpr33
                                        ; implicit-def: $vgpr37
                                        ; implicit-def: $vgpr85
                                        ; implicit-def: $vgpr81
                                        ; implicit-def: $vgpr77
                                        ; implicit-def: $vgpr73
                                        ; implicit-def: $vgpr69
                                        ; implicit-def: $vgpr65
                                        ; implicit-def: $vgpr61
                                        ; implicit-def: $vgpr57
                                        ; implicit-def: $vgpr53
                                        ; implicit-def: $vgpr49
                                        ; implicit-def: $vgpr45
                                        ; implicit-def: $vgpr41
; %bb.31:                               ;   in Loop: Header=BB292_12 Depth=1
	s_andn2_saveexec_b64 s[36:37], s[6:7]
	s_cbranch_execz .LBB292_11
; %bb.32:                               ;   in Loop: Header=BB292_12 Depth=1
	v_cvt_i32_f32_e32 v0, v83
	v_cvt_i32_f32_e32 v83, v84
	;; [unrolled: 1-line block ×4, first 2 shown]
	v_cvt_f32_i32_dpp v0, v0 row_shl:1 row_mask:0xf bank_mask:0xf bound_ctrl:1
	v_cvt_f32_i32_dpp v83, v83 row_shl:2 row_mask:0xf bank_mask:0xf bound_ctrl:1
	;; [unrolled: 1-line block ×3, first 2 shown]
	v_cvt_i32_f32_e32 v80, v80
	v_add_f32_e32 v0, v82, v0
	v_add_f32_e32 v0, v0, v83
	;; [unrolled: 1-line block ×3, first 2 shown]
	v_cvt_i32_f32_e32 v82, v0
	v_cvt_i32_f32_e32 v81, v81
	v_cvt_f32_i32_dpp v79, v79 row_shl:1 row_mask:0xf bank_mask:0xf bound_ctrl:1
	v_cvt_f32_i32_dpp v80, v80 row_shl:2 row_mask:0xf bank_mask:0xf bound_ctrl:1
	;; [unrolled: 1-line block ×4, first 2 shown]
	v_add_f32_e32 v78, v78, v79
	v_cvt_i32_f32_e32 v75, v75
	v_add_f32_e32 v0, v0, v82
	v_cvt_i32_f32_e32 v79, v0
	;; [unrolled: 2-line block ×4, first 2 shown]
	v_cvt_i32_f32_e32 v80, v78
	v_cvt_f32_i32_dpp v79, v79 row_shl:8 row_mask:0xf bank_mask:0xf bound_ctrl:1
	v_cvt_f32_i32_dpp v75, v75 row_shl:1 row_mask:0xf bank_mask:0xf bound_ctrl:1
	;; [unrolled: 1-line block ×5, first 2 shown]
	v_add_f32_e32 v0, v0, v79
	v_cvt_i32_f32_e32 v0, v0
	v_add_f32_e32 v74, v74, v75
	v_add_f32_e32 v74, v74, v76
	;; [unrolled: 1-line block ×4, first 2 shown]
	v_cvt_i32_f32_e32 v75, v74
	v_cvt_f32_i32_dpp v0, v0 row_shr:15 row_mask:0xf bank_mask:0xf bound_ctrl:1
	v_cvt_i32_f32_e32 v79, v78
	v_cvt_i32_f32_e32 v71, v71
	v_cvt_f32_i32_dpp v75, v75 row_shl:4 row_mask:0xf bank_mask:0xf bound_ctrl:1
	v_cvt_i32_f32_e32 v76, v0
	v_cvt_f32_i32_dpp v77, v79 row_shl:8 row_mask:0xf bank_mask:0xf bound_ctrl:1
	v_cvt_i32_f32_e32 v72, v72
	v_add_f32_e32 v75, v74, v75
	v_cvt_i32_f32_e32 v73, v73
	v_cvt_f32_i32_dpp v76, v76 row_bcast:15 row_mask:0xf bank_mask:0xf bound_ctrl:1
	v_add_f32_e32 v77, v78, v77
	v_cvt_i32_f32_e32 v78, v75
	v_cvt_f32_i32_dpp v71, v71 row_shl:1 row_mask:0xf bank_mask:0xf bound_ctrl:1
	v_cvt_f32_i32_dpp v72, v72 row_shl:2 row_mask:0xf bank_mask:0xf bound_ctrl:1
	;; [unrolled: 1-line block ×3, first 2 shown]
	v_add_f32_e32 v74, v0, v76
	v_cvt_f32_i32_dpp v76, v78 row_shl:8 row_mask:0xf bank_mask:0xf bound_ctrl:1
	v_cvt_i32_f32_e32 v77, v77
	v_add_f32_e32 v70, v70, v71
	v_add_f32_e32 v70, v70, v72
	;; [unrolled: 1-line block ×4, first 2 shown]
	v_cvt_i32_f32_e32 v71, v70
	v_cvt_f32_i32_dpp v0, v77 row_shr:15 row_mask:0xf bank_mask:0xf bound_ctrl:1
	v_cvt_i32_f32_e32 v75, v75
	v_cvt_i32_f32_e32 v67, v67
	;; [unrolled: 1-line block ×4, first 2 shown]
	v_cvt_f32_i32_dpp v76, v71 row_shl:4 row_mask:0xf bank_mask:0xf bound_ctrl:1
	v_cvt_i32_f32_e32 v72, v74
	v_cvt_i32_f32_e32 v73, v0
	v_cvt_f32_i32_dpp v75, v75 row_shr:15 row_mask:0xf bank_mask:0xf bound_ctrl:1
	v_cvt_f32_i32_dpp v67, v67 row_shl:1 row_mask:0xf bank_mask:0xf bound_ctrl:1
	v_cvt_f32_i32_dpp v68, v68 row_shl:2 row_mask:0xf bank_mask:0xf bound_ctrl:1
	v_cvt_f32_i32_dpp v69, v69 row_shl:3 row_mask:0xf bank_mask:0xf bound_ctrl:1
	v_add_f32_e32 v76, v70, v76
	v_mov_b32_dpp v71, v72 row_bcast:31 row_mask:0xf bank_mask:0xf bound_ctrl:1
	v_cvt_f32_i32_dpp v72, v73 row_bcast:15 row_mask:0xf bank_mask:0xf bound_ctrl:1
	v_cvt_i32_f32_e32 v73, v75
	v_cvt_i32_f32_e32 v77, v76
	v_add_f32_e32 v66, v66, v67
	v_add_f32_e32 v66, v66, v68
	v_cvt_i32_f32_e32 v63, v63
	v_add_f32_e32 v68, v66, v69
	v_cvt_i32_f32_e32 v64, v64
	v_cvt_i32_f32_e32 v69, v68
	;; [unrolled: 1-line block ×3, first 2 shown]
	v_add_f32_e32 v70, v0, v72
	v_cvt_f32_i32_dpp v72, v73 row_bcast:15 row_mask:0xf bank_mask:0xf bound_ctrl:1
	v_cvt_f32_i32_dpp v73, v77 row_shl:8 row_mask:0xf bank_mask:0xf bound_ctrl:1
	v_cvt_f32_i32_dpp v63, v63 row_shl:1 row_mask:0xf bank_mask:0xf bound_ctrl:1
	;; [unrolled: 1-line block ×5, first 2 shown]
	v_add_f32_e32 v73, v76, v73
	v_cvt_i32_f32_e32 v0, v70
	v_cvt_i32_f32_e32 v73, v73
	v_add_f32_e32 v62, v62, v63
	v_add_f32_e32 v62, v62, v64
	;; [unrolled: 1-line block ×4, first 2 shown]
	v_cvt_i32_f32_e32 v69, v68
	v_cvt_i32_f32_e32 v63, v62
	v_mov_b32_dpp v67, v0 row_bcast:31 row_mask:0xf bank_mask:0xf bound_ctrl:1
	v_cvt_f32_i32_dpp v0, v73 row_shr:15 row_mask:0xf bank_mask:0xf bound_ctrl:1
	v_cvt_f32_i32_dpp v65, v69 row_shl:8 row_mask:0xf bank_mask:0xf bound_ctrl:1
	v_cvt_f32_i32_dpp v63, v63 row_shl:4 row_mask:0xf bank_mask:0xf bound_ctrl:1
	v_add_f32_e32 v66, v75, v72
	v_cvt_i32_f32_e32 v64, v0
	v_add_f32_e32 v65, v68, v65
	v_add_f32_e32 v68, v62, v63
	v_cvt_i32_f32_e32 v72, v68
	v_cvt_f32_i32_dpp v64, v64 row_bcast:15 row_mask:0xf bank_mask:0xf bound_ctrl:1
	v_cvt_i32_f32_e32 v59, v59
	v_cvt_i32_f32_e32 v60, v60
	;; [unrolled: 1-line block ×3, first 2 shown]
	v_add_f32_e32 v62, v0, v64
	v_cvt_f32_i32_dpp v64, v72 row_shl:8 row_mask:0xf bank_mask:0xf bound_ctrl:1
	v_cvt_i32_f32_e32 v65, v65
	v_cvt_f32_i32_dpp v59, v59 row_shl:1 row_mask:0xf bank_mask:0xf bound_ctrl:1
	v_cvt_f32_i32_dpp v60, v60 row_shl:2 row_mask:0xf bank_mask:0xf bound_ctrl:1
	;; [unrolled: 1-line block ×3, first 2 shown]
	v_add_f32_e32 v64, v68, v64
	v_cvt_f32_i32_dpp v0, v65 row_shr:15 row_mask:0xf bank_mask:0xf bound_ctrl:1
	v_cvt_i32_f32_e32 v64, v64
	v_add_f32_e32 v58, v58, v59
	v_add_f32_e32 v58, v58, v60
	v_cvt_i32_f32_e32 v55, v55
	v_add_f32_e32 v58, v58, v61
	v_cvt_i32_f32_e32 v56, v56
	v_cvt_i32_f32_e32 v59, v58
	v_cvt_i32_f32_e32 v57, v57
	v_cvt_i32_f32_e32 v60, v62
	v_cvt_i32_f32_e32 v61, v0
	v_cvt_f32_i32_dpp v64, v64 row_shr:15 row_mask:0xf bank_mask:0xf bound_ctrl:1
	v_cvt_f32_i32_dpp v55, v55 row_shl:1 row_mask:0xf bank_mask:0xf bound_ctrl:1
	v_cvt_f32_i32_dpp v56, v56 row_shl:2 row_mask:0xf bank_mask:0xf bound_ctrl:1
	;; [unrolled: 1-line block ×4, first 2 shown]
	v_mov_b32_dpp v59, v60 row_bcast:31 row_mask:0xf bank_mask:0xf bound_ctrl:1
	v_cvt_f32_i32_dpp v60, v61 row_bcast:15 row_mask:0xf bank_mask:0xf bound_ctrl:1
	v_cvt_i32_f32_e32 v61, v64
	v_add_f32_e32 v54, v54, v55
	v_cvt_i32_f32_e32 v51, v51
	v_add_f32_e32 v54, v54, v56
	;; [unrolled: 2-line block ×3, first 2 shown]
	v_add_f32_e32 v57, v54, v57
	v_cvt_i32_f32_e32 v53, v53
	v_cvt_i32_f32_e32 v68, v65
	v_add_f32_e32 v58, v0, v60
	v_cvt_f32_i32_dpp v60, v61 row_bcast:15 row_mask:0xf bank_mask:0xf bound_ctrl:1
	v_cvt_i32_f32_e32 v55, v57
	v_cvt_f32_i32_dpp v51, v51 row_shl:1 row_mask:0xf bank_mask:0xf bound_ctrl:1
	v_cvt_f32_i32_dpp v52, v52 row_shl:2 row_mask:0xf bank_mask:0xf bound_ctrl:1
	;; [unrolled: 1-line block ×4, first 2 shown]
	v_add_f32_e32 v54, v64, v60
	v_cvt_f32_i32_dpp v64, v55 row_shl:4 row_mask:0xf bank_mask:0xf bound_ctrl:1
	v_cvt_i32_f32_e32 v60, v54
	v_add_f32_e32 v50, v50, v51
	v_add_f32_e32 v50, v50, v52
	v_add_f32_e32 v51, v50, v53
	v_add_f32_e32 v61, v65, v61
	v_add_f32_e32 v57, v57, v64
	v_cvt_i32_f32_e32 v50, v51
	v_cvt_i32_f32_e32 v61, v61
	v_mov_b32_dpp v55, v60 row_bcast:31 row_mask:0xf bank_mask:0xf bound_ctrl:1
	v_cvt_i32_f32_e32 v60, v57
	v_cvt_i32_f32_e32 v47, v47
	v_cvt_f32_i32_dpp v53, v50 row_shl:4 row_mask:0xf bank_mask:0xf bound_ctrl:1
	v_cvt_i32_f32_e32 v48, v48
	v_cvt_i32_f32_e32 v0, v58
	v_cvt_f32_i32_dpp v61, v61 row_shr:15 row_mask:0xf bank_mask:0xf bound_ctrl:1
	v_cvt_f32_i32_dpp v60, v60 row_shl:8 row_mask:0xf bank_mask:0xf bound_ctrl:1
	v_cvt_i32_f32_e32 v49, v49
	v_cvt_f32_i32_dpp v47, v47 row_shl:1 row_mask:0xf bank_mask:0xf bound_ctrl:1
	v_add_f32_e32 v51, v51, v53
	v_cvt_f32_i32_dpp v48, v48 row_shl:2 row_mask:0xf bank_mask:0xf bound_ctrl:1
	v_mov_b32_dpp v56, v0 row_bcast:31 row_mask:0xf bank_mask:0xf bound_ctrl:1
	v_cvt_i32_f32_e32 v0, v61
	v_add_f32_e32 v52, v57, v60
	v_cvt_i32_f32_e32 v53, v51
	v_cvt_f32_i32_dpp v49, v49 row_shl:3 row_mask:0xf bank_mask:0xf bound_ctrl:1
	v_cvt_i32_f32_e32 v52, v52
	v_add_f32_e32 v46, v46, v47
	v_add_f32_e32 v46, v46, v48
	v_cvt_f32_i32_dpp v0, v0 row_bcast:15 row_mask:0xf bank_mask:0xf bound_ctrl:1
	v_cvt_f32_i32_dpp v53, v53 row_shl:8 row_mask:0xf bank_mask:0xf bound_ctrl:1
	v_add_f32_e32 v46, v46, v49
	v_cvt_f32_i32_dpp v52, v52 row_shr:15 row_mask:0xf bank_mask:0xf bound_ctrl:1
	v_cvt_i32_f32_e32 v47, v46
	v_add_f32_e32 v50, v61, v0
	v_add_f32_e32 v49, v51, v53
	v_cvt_i32_f32_e32 v0, v50
	v_cvt_i32_f32_e32 v48, v52
	;; [unrolled: 1-line block ×3, first 2 shown]
	v_cvt_f32_i32_dpp v51, v47 row_shl:4 row_mask:0xf bank_mask:0xf bound_ctrl:1
	v_cvt_i32_f32_e32 v43, v43
	v_mov_b32_dpp v47, v0 row_bcast:31 row_mask:0xf bank_mask:0xf bound_ctrl:1
	v_cvt_f32_i32_dpp v0, v48 row_bcast:15 row_mask:0xf bank_mask:0xf bound_ctrl:1
	v_cvt_f32_i32_dpp v48, v49 row_shr:15 row_mask:0xf bank_mask:0xf bound_ctrl:1
	v_add_f32_e32 v49, v46, v51
	v_cvt_i32_f32_e32 v44, v44
	v_cvt_i32_f32_e32 v51, v49
	;; [unrolled: 1-line block ×3, first 2 shown]
	v_cvt_f32_i32_dpp v43, v43 row_shl:1 row_mask:0xf bank_mask:0xf bound_ctrl:1
	v_cvt_f32_i32_dpp v44, v44 row_shl:2 row_mask:0xf bank_mask:0xf bound_ctrl:1
	;; [unrolled: 1-line block ×4, first 2 shown]
	v_add_f32_e32 v42, v42, v43
	v_add_f32_e32 v42, v42, v44
	v_cvt_i32_f32_e32 v39, v39
	v_add_f32_e32 v46, v52, v0
	v_add_f32_e32 v49, v49, v51
	;; [unrolled: 1-line block ×3, first 2 shown]
	v_cvt_i32_f32_e32 v40, v40
	v_cvt_i32_f32_e32 v0, v46
	;; [unrolled: 1-line block ×6, first 2 shown]
	v_cvt_f32_i32_dpp v39, v39 row_shl:1 row_mask:0xf bank_mask:0xf bound_ctrl:1
	v_cvt_f32_i32_dpp v40, v40 row_shl:2 row_mask:0xf bank_mask:0xf bound_ctrl:1
	v_mov_b32_dpp v43, v0 row_bcast:31 row_mask:0xf bank_mask:0xf bound_ctrl:1
	v_cvt_f32_i32_dpp v0, v49 row_shr:15 row_mask:0xf bank_mask:0xf bound_ctrl:1
	v_cvt_f32_i32_dpp v49, v42 row_shl:4 row_mask:0xf bank_mask:0xf bound_ctrl:1
	v_cvt_f32_i32_dpp v41, v41 row_shl:3 row_mask:0xf bank_mask:0xf bound_ctrl:1
	v_cvt_f32_i32_dpp v45, v52 row_bcast:15 row_mask:0xf bank_mask:0xf bound_ctrl:1
	v_add_f32_e32 v38, v38, v39
	v_add_f32_e32 v38, v38, v40
	;; [unrolled: 1-line block ×5, first 2 shown]
	v_cvt_i32_f32_e32 v48, v0
	v_cvt_i32_f32_e32 v49, v44
	v_cvt_i32_f32_e32 v38, v40
	v_cvt_i32_f32_e32 v35, v35
	v_cvt_f32_i32_dpp v41, v48 row_bcast:15 row_mask:0xf bank_mask:0xf bound_ctrl:1
	v_cvt_f32_i32_dpp v49, v49 row_shl:8 row_mask:0xf bank_mask:0xf bound_ctrl:1
	v_cvt_f32_i32_dpp v48, v38 row_shl:4 row_mask:0xf bank_mask:0xf bound_ctrl:1
	v_cvt_i32_f32_e32 v36, v36
	v_cvt_i32_f32_e32 v37, v37
	v_add_f32_e32 v39, v44, v49
	v_add_f32_e32 v40, v40, v48
	v_cvt_i32_f32_e32 v44, v39
	v_add_f32_e32 v38, v0, v41
	v_cvt_i32_f32_e32 v41, v40
	v_cvt_f32_i32_dpp v35, v35 row_shl:1 row_mask:0xf bank_mask:0xf bound_ctrl:1
	v_cvt_f32_i32_dpp v36, v36 row_shl:2 row_mask:0xf bank_mask:0xf bound_ctrl:1
	;; [unrolled: 1-line block ×3, first 2 shown]
	v_cvt_f32_i32_dpp v0, v44 row_shr:15 row_mask:0xf bank_mask:0xf bound_ctrl:1
	v_cvt_f32_i32_dpp v41, v41 row_shl:8 row_mask:0xf bank_mask:0xf bound_ctrl:1
	v_add_f32_e32 v34, v34, v35
	v_add_f32_e32 v34, v34, v36
	;; [unrolled: 1-line block ×3, first 2 shown]
	v_cvt_i32_f32_e32 v35, v34
	v_cvt_i32_f32_e32 v36, v0
	v_add_f32_e32 v37, v40, v41
	v_cvt_i32_f32_e32 v37, v37
	v_cvt_f32_i32_dpp v35, v35 row_shl:4 row_mask:0xf bank_mask:0xf bound_ctrl:1
	v_cvt_f32_i32_dpp v36, v36 row_bcast:15 row_mask:0xf bank_mask:0xf bound_ctrl:1
	v_cvt_i32_f32_e32 v31, v31
	v_cvt_f32_i32_dpp v37, v37 row_shr:15 row_mask:0xf bank_mask:0xf bound_ctrl:1
	v_cvt_i32_f32_e32 v27, v27
	v_add_f32_e32 v41, v34, v35
	v_add_f32_e32 v34, v0, v36
	v_cvt_i32_f32_e32 v32, v32
	v_cvt_i32_f32_e32 v28, v28
	;; [unrolled: 1-line block ×8, first 2 shown]
	v_cvt_f32_i32_dpp v31, v31 row_shl:1 row_mask:0xf bank_mask:0xf bound_ctrl:1
	v_cvt_f32_i32_dpp v27, v27 row_shl:1 row_mask:0xf bank_mask:0xf bound_ctrl:1
	;; [unrolled: 1-line block ×4, first 2 shown]
	v_mov_b32_dpp v39, v45 row_bcast:31 row_mask:0xf bank_mask:0xf bound_ctrl:1
	v_cvt_f32_i32_dpp v45, v35 row_shl:8 row_mask:0xf bank_mask:0xf bound_ctrl:1
	v_mov_b32_dpp v35, v0 row_bcast:31 row_mask:0xf bank_mask:0xf bound_ctrl:1
	v_cvt_f32_i32_dpp v0, v44 row_bcast:15 row_mask:0xf bank_mask:0xf bound_ctrl:1
	v_cvt_f32_i32_dpp v33, v33 row_shl:3 row_mask:0xf bank_mask:0xf bound_ctrl:1
	v_cvt_f32_i32_dpp v29, v29 row_shl:3 row_mask:0xf bank_mask:0xf bound_ctrl:1
	v_add_f32_e32 v30, v30, v31
	v_add_f32_e32 v26, v26, v27
	;; [unrolled: 1-line block ×7, first 2 shown]
	v_cvt_i32_f32_e32 v40, v38
	v_cvt_i32_f32_e32 v0, v30
	;; [unrolled: 1-line block ×4, first 2 shown]
	v_mov_b32_dpp v36, v40 row_bcast:31 row_mask:0xf bank_mask:0xf bound_ctrl:1
	v_add_f32_e32 v40, v41, v45
	v_mov_b32_dpp v27, v0 row_bcast:31 row_mask:0xf bank_mask:0xf bound_ctrl:1
	v_cvt_f32_i32_dpp v0, v26 row_shl:4 row_mask:0xf bank_mask:0xf bound_ctrl:1
	v_cvt_i32_f32_e32 v40, v40
	v_cvt_i32_f32_e32 v23, v23
	v_cvt_f32_i32_dpp v32, v32 row_shl:4 row_mask:0xf bank_mask:0xf bound_ctrl:1
	v_add_f32_e32 v0, v28, v0
	v_cvt_i32_f32_e32 v24, v24
	v_cvt_f32_i32_dpp v40, v40 row_shr:15 row_mask:0xf bank_mask:0xf bound_ctrl:1
	v_cvt_i32_f32_e32 v25, v25
	v_cvt_i32_f32_e32 v28, v0
	v_cvt_f32_i32_dpp v23, v23 row_shl:1 row_mask:0xf bank_mask:0xf bound_ctrl:1
	v_add_f32_e32 v31, v31, v32
	v_cvt_f32_i32_dpp v24, v24 row_shl:2 row_mask:0xf bank_mask:0xf bound_ctrl:1
	v_cvt_i32_f32_e32 v33, v40
	v_cvt_i32_f32_e32 v32, v31
	v_cvt_f32_i32_dpp v25, v25 row_shl:3 row_mask:0xf bank_mask:0xf bound_ctrl:1
	v_cvt_f32_i32_dpp v28, v28 row_shl:8 row_mask:0xf bank_mask:0xf bound_ctrl:1
	v_add_f32_e32 v22, v22, v23
	v_add_f32_e32 v22, v22, v24
	v_cvt_f32_i32_dpp v29, v33 row_bcast:15 row_mask:0xf bank_mask:0xf bound_ctrl:1
	v_cvt_f32_i32_dpp v32, v32 row_shl:8 row_mask:0xf bank_mask:0xf bound_ctrl:1
	v_add_f32_e32 v22, v22, v25
	v_add_f32_e32 v0, v0, v28
	v_cvt_i32_f32_e32 v23, v22
	v_cvt_i32_f32_e32 v0, v0
	;; [unrolled: 1-line block ×4, first 2 shown]
	v_add_f32_e32 v26, v40, v29
	v_add_f32_e32 v29, v31, v32
	v_cvt_i32_f32_e32 v21, v21
	v_cvt_i32_f32_e32 v29, v29
	v_cvt_f32_i32_dpp v23, v23 row_shl:4 row_mask:0xf bank_mask:0xf bound_ctrl:1
	v_cvt_i32_f32_e32 v25, v26
	v_cvt_f32_i32_dpp v0, v0 row_shr:15 row_mask:0xf bank_mask:0xf bound_ctrl:1
	v_cvt_f32_i32_dpp v19, v19 row_shl:1 row_mask:0xf bank_mask:0xf bound_ctrl:1
	v_cvt_i32_f32_e32 v15, v15
	v_cvt_f32_i32_dpp v20, v20 row_shl:2 row_mask:0xf bank_mask:0xf bound_ctrl:1
	v_cvt_i32_f32_e32 v16, v16
	;; [unrolled: 2-line block ×3, first 2 shown]
	v_cvt_i32_f32_e32 v11, v11
	v_cvt_f32_i32_dpp v24, v29 row_shr:15 row_mask:0xf bank_mask:0xf bound_ctrl:1
	v_add_f32_e32 v29, v22, v23
	v_mov_b32_dpp v23, v25 row_bcast:31 row_mask:0xf bank_mask:0xf bound_ctrl:1
	v_cvt_i32_f32_e32 v25, v0
	v_add_f32_e32 v18, v18, v19
	v_cvt_f32_i32_dpp v15, v15 row_shl:1 row_mask:0xf bank_mask:0xf bound_ctrl:1
	v_cvt_i32_f32_e32 v7, v7
	v_add_f32_e32 v18, v18, v20
	v_cvt_f32_i32_dpp v16, v16 row_shl:2 row_mask:0xf bank_mask:0xf bound_ctrl:1
	v_cvt_i32_f32_e32 v12, v12
	v_cvt_i32_f32_e32 v8, v8
	v_add_f32_e32 v21, v18, v21
	v_cvt_f32_i32_dpp v17, v17 row_shl:3 row_mask:0xf bank_mask:0xf bound_ctrl:1
	v_cvt_f32_i32_dpp v11, v11 row_shl:1 row_mask:0xf bank_mask:0xf bound_ctrl:1
	v_cvt_i32_f32_e32 v13, v13
	v_cvt_i32_f32_e32 v9, v9
	v_cvt_f32_i32_dpp v25, v25 row_bcast:15 row_mask:0xf bank_mask:0xf bound_ctrl:1
	v_cvt_i32_f32_e32 v18, v21
	v_add_f32_e32 v14, v14, v15
	v_cvt_f32_i32_dpp v7, v7 row_shl:1 row_mask:0xf bank_mask:0xf bound_ctrl:1
	v_add_f32_e32 v14, v14, v16
	v_cvt_f32_i32_dpp v12, v12 row_shl:2 row_mask:0xf bank_mask:0xf bound_ctrl:1
	v_cvt_f32_i32_dpp v8, v8 row_shl:2 row_mask:0xf bank_mask:0xf bound_ctrl:1
	v_add_f32_e32 v15, v14, v17
	v_add_f32_e32 v10, v10, v11
	v_cvt_f32_i32_dpp v11, v13 row_shl:3 row_mask:0xf bank_mask:0xf bound_ctrl:1
	v_cvt_f32_i32_dpp v9, v9 row_shl:3 row_mask:0xf bank_mask:0xf bound_ctrl:1
	v_add_f32_e32 v19, v0, v25
	v_cvt_f32_i32_dpp v0, v18 row_shl:4 row_mask:0xf bank_mask:0xf bound_ctrl:1
	v_cvt_i32_f32_e32 v16, v15
	v_add_f32_e32 v6, v6, v7
	v_add_f32_e32 v10, v10, v12
	;; [unrolled: 1-line block ×6, first 2 shown]
	v_cvt_f32_i32_dpp v16, v16 row_shl:4 row_mask:0xf bank_mask:0xf bound_ctrl:1
	v_cvt_i32_f32_e32 v11, v10
	v_cvt_i32_f32_e32 v7, v6
	v_cvt_i32_f32_e32 v21, v0
	v_add_f32_e32 v15, v15, v16
	v_cvt_f32_i32_dpp v9, v11 row_shl:4 row_mask:0xf bank_mask:0xf bound_ctrl:1
	v_cvt_f32_i32_dpp v7, v7 row_shl:4 row_mask:0xf bank_mask:0xf bound_ctrl:1
	;; [unrolled: 1-line block ×3, first 2 shown]
	v_cvt_i32_f32_e32 v16, v15
	v_add_f32_e32 v9, v10, v9
	v_add_f32_e32 v6, v6, v7
	v_cvt_i32_f32_e32 v28, v24
	v_cvt_i32_f32_e32 v22, v29
	v_add_f32_e32 v0, v0, v21
	v_cvt_f32_i32_dpp v8, v16 row_shl:8 row_mask:0xf bank_mask:0xf bound_ctrl:1
	v_cvt_i32_f32_e32 v10, v9
	v_cvt_i32_f32_e32 v7, v6
	;; [unrolled: 1-line block ×3, first 2 shown]
	v_cvt_f32_i32_dpp v28, v28 row_bcast:15 row_mask:0xf bank_mask:0xf bound_ctrl:1
	v_cvt_f32_i32_dpp v31, v22 row_shl:8 row_mask:0xf bank_mask:0xf bound_ctrl:1
	v_add_f32_e32 v8, v15, v8
	v_cvt_f32_i32_dpp v10, v10 row_shl:8 row_mask:0xf bank_mask:0xf bound_ctrl:1
	v_cvt_f32_i32_dpp v7, v7 row_shl:8 row_mask:0xf bank_mask:0xf bound_ctrl:1
	v_cvt_f32_i32_dpp v0, v0 row_shr:15 row_mask:0xf bank_mask:0xf bound_ctrl:1
	v_cvt_i32_f32_e32 v8, v8
	v_add_f32_e32 v22, v24, v28
	v_add_f32_e32 v28, v29, v31
	;; [unrolled: 1-line block ×4, first 2 shown]
	v_cvt_i32_f32_e32 v28, v28
	v_cvt_i32_f32_e32 v11, v0
	v_cvt_f32_i32_dpp v8, v8 row_shr:15 row_mask:0xf bank_mask:0xf bound_ctrl:1
	v_cvt_i32_f32_e32 v9, v9
	v_cvt_i32_f32_e32 v6, v6
	v_cvt_f32_i32_dpp v28, v28 row_shr:15 row_mask:0xf bank_mask:0xf bound_ctrl:1
	v_cvt_f32_i32_dpp v7, v11 row_bcast:15 row_mask:0xf bank_mask:0xf bound_ctrl:1
	v_cvt_f32_i32_dpp v9, v9 row_shr:15 row_mask:0xf bank_mask:0xf bound_ctrl:1
	v_cvt_i32_f32_e32 v10, v8
	v_cvt_f32_i32_dpp v6, v6 row_shr:15 row_mask:0xf bank_mask:0xf bound_ctrl:1
	v_cvt_i32_f32_e32 v24, v22
	v_cvt_i32_f32_e32 v29, v28
	v_add_f32_e32 v15, v0, v7
	v_cvt_i32_f32_e32 v0, v9
	v_cvt_f32_i32_dpp v7, v10 row_bcast:15 row_mask:0xf bank_mask:0xf bound_ctrl:1
	v_cvt_i32_f32_e32 v10, v6
	v_mov_b32_dpp v20, v24 row_bcast:31 row_mask:0xf bank_mask:0xf bound_ctrl:1
	v_cvt_f32_i32_dpp v24, v29 row_bcast:15 row_mask:0xf bank_mask:0xf bound_ctrl:1
	v_cvt_f32_i32_dpp v0, v0 row_bcast:15 row_mask:0xf bank_mask:0xf bound_ctrl:1
	v_add_f32_e32 v12, v8, v7
	v_cvt_f32_i32_dpp v7, v10 row_bcast:15 row_mask:0xf bank_mask:0xf bound_ctrl:1
	v_add_f32_e32 v18, v28, v24
	v_add_f32_e32 v10, v9, v0
	v_cvt_i32_f32_e32 v69, v66
	v_add_f32_e32 v8, v6, v7
	v_cvt_i32_f32_e32 v25, v19
	v_cvt_i32_f32_e32 v24, v18
	;; [unrolled: 1-line block ×6, first 2 shown]
	v_mov_b32_dpp v63, v69 row_bcast:31 row_mask:0xf bank_mask:0xf bound_ctrl:1
	v_mov_b32_dpp v17, v25 row_bcast:31 row_mask:0xf bank_mask:0xf bound_ctrl:1
	;; [unrolled: 1-line block ×7, first 2 shown]
	s_and_saveexec_b64 s[38:39], s[0:1]
	s_cbranch_execz .LBB292_155
; %bb.33:                               ;   in Loop: Header=BB292_12 Depth=1
	s_andn2_b64 vcc, exec, s[30:31]
	v_mov_b32_e32 v57, 0
	v_add_u32_e32 v0, 2, v158
	v_add_u32_e32 v6, 3, v158
	v_mov_b32_e32 v53, 0
	v_mov_b32_e32 v52, 0
	;; [unrolled: 1-line block ×19, first 2 shown]
	s_cbranch_vccnz .LBB292_35
; %bb.34:                               ;   in Loop: Header=BB292_12 Depth=1
	v_mul_hi_u32 v7, v158, v172
	v_mul_lo_u32 v7, v7, s16
	v_sub_u32_e32 v7, v158, v7
	v_subrev_u32_e32 v21, s16, v7
	v_cmp_le_u32_e32 vcc, s16, v7
	v_mov_b32_e32 v45, v1
	v_mov_b32_e32 v25, v1
	v_cndmask_b32_e32 v7, v7, v21, vcc
	v_subrev_u32_e32 v21, s16, v7
	v_cmp_le_u32_e32 vcc, s16, v7
	v_mov_b32_e32 v61, v1
	v_mov_b32_e32 v65, v1
	v_cndmask_b32_e32 v24, v7, v21, vcc
	v_add_u32_e32 v7, 1, v158
	v_mul_hi_u32 v21, v7, v172
	v_mul_lo_u32 v21, v21, s16
	v_sub_u32_e32 v7, v7, v21
	v_subrev_u32_e32 v21, s16, v7
	v_cmp_le_u32_e32 vcc, s16, v7
	v_add_u32_e32 v44, s49, v24
	v_lshl_add_u64 v[76:77], v[44:45], 1, s[22:23]
	v_cndmask_b32_e32 v7, v7, v21, vcc
	v_subrev_u32_e32 v21, s16, v7
	v_cmp_le_u32_e32 vcc, s16, v7
	v_lshl_add_u64 v[28:29], v[24:25], 1, s[22:23]
	v_mov_b32_e32 v69, v1
	v_cndmask_b32_e32 v60, v7, v21, vcc
	v_mul_hi_u32 v7, v0, v172
	v_mul_lo_u32 v7, v7, s16
	v_sub_u32_e32 v7, v0, v7
	v_subrev_u32_e32 v21, s16, v7
	v_cmp_le_u32_e32 vcc, s16, v7
	v_add_u32_e32 v44, s49, v60
	v_lshl_add_u64 v[78:79], v[44:45], 1, s[22:23]
	v_cndmask_b32_e32 v7, v7, v21, vcc
	v_subrev_u32_e32 v21, s16, v7
	v_cmp_le_u32_e32 vcc, s16, v7
	v_lshl_add_u64 v[32:33], v[60:61], 1, s[22:23]
	s_nop 0
	v_cndmask_b32_e32 v64, v7, v21, vcc
	v_mul_hi_u32 v7, v6, v172
	v_mul_lo_u32 v7, v7, s16
	v_sub_u32_e32 v7, v6, v7
	v_subrev_u32_e32 v21, s16, v7
	v_cmp_le_u32_e32 vcc, s16, v7
	v_add_u32_e32 v44, s49, v64
	v_lshl_add_u64 v[80:81], v[44:45], 1, s[22:23]
	v_cndmask_b32_e32 v7, v7, v21, vcc
	v_subrev_u32_e32 v21, s16, v7
	v_cmp_le_u32_e32 vcc, s16, v7
	v_lshl_add_u64 v[40:41], v[64:65], 1, s[22:23]
	s_nop 0
	v_cndmask_b32_e32 v68, v7, v21, vcc
	v_add_u32_e32 v44, s49, v68
	v_lshl_add_u64 v[72:73], v[68:69], 1, s[22:23]
	v_lshl_add_u64 v[82:83], v[44:45], 1, s[22:23]
	global_load_ushort v57, v[28:29], off
	global_load_ushort v53, v[32:33], off
	;; [unrolled: 1-line block ×8, first 2 shown]
	v_add_u32_e32 v28, s50, v24
	v_mov_b32_e32 v29, v1
	v_lshl_add_u64 v[72:73], v[28:29], 1, s[22:23]
	v_add_u32_e32 v28, s50, v60
	v_lshl_add_u64 v[76:77], v[28:29], 1, s[22:23]
	v_add_u32_e32 v28, s50, v64
	;; [unrolled: 2-line block ×7, first 2 shown]
	v_lshl_add_u64 v[88:89], v[28:29], 1, s[22:23]
	global_load_ushort v44, v[72:73], off
	global_load_ushort v41, v[76:77], off
	;; [unrolled: 1-line block ×8, first 2 shown]
	v_add_u32_e32 v24, s52, v24
	v_lshl_add_u64 v[72:73], v[24:25], 1, s[22:23]
	v_add_u32_e32 v24, s52, v60
	v_lshl_add_u64 v[60:61], v[24:25], 1, s[22:23]
	;; [unrolled: 2-line block ×4, first 2 shown]
	global_load_ushort v28, v[72:73], off
	global_load_ushort v25, v[60:61], off
	;; [unrolled: 1-line block ×4, first 2 shown]
.LBB292_35:                             ;   in Loop: Header=BB292_12 Depth=1
	v_cmp_ne_u32_e32 vcc, 0, v2
	s_and_saveexec_b64 s[8:9], vcc
	s_cbranch_execnz .LBB292_55
; %bb.36:                               ;   in Loop: Header=BB292_12 Depth=1
	s_or_b64 exec, exec, s[8:9]
	v_cmp_ne_u32_e64 s[6:7], 0, v3
	s_and_saveexec_b64 s[10:11], s[6:7]
	s_cbranch_execnz .LBB292_60
.LBB292_37:                             ;   in Loop: Header=BB292_12 Depth=1
	s_or_b64 exec, exec, s[10:11]
	v_cmp_ne_u32_e64 s[8:9], 0, v4
	s_and_saveexec_b64 s[12:13], s[8:9]
	s_cbranch_execnz .LBB292_65
.LBB292_38:                             ;   in Loop: Header=BB292_12 Depth=1
	s_or_b64 exec, exec, s[12:13]
	v_cmp_ne_u32_e64 s[10:11], 0, v5
	s_and_saveexec_b64 s[40:41], s[10:11]
	s_cbranch_execnz .LBB292_70
.LBB292_39:                             ;   in Loop: Header=BB292_12 Depth=1
	s_or_b64 exec, exec, s[40:41]
	v_add_u32_e32 v0, s27, v158
	s_and_saveexec_b64 s[40:41], vcc
	s_cbranch_execnz .LBB292_75
.LBB292_40:                             ;   in Loop: Header=BB292_12 Depth=1
	s_or_b64 exec, exec, s[40:41]
	s_and_saveexec_b64 s[40:41], s[6:7]
	s_cbranch_execnz .LBB292_80
.LBB292_41:                             ;   in Loop: Header=BB292_12 Depth=1
	s_or_b64 exec, exec, s[40:41]
	s_and_saveexec_b64 s[40:41], s[8:9]
	s_cbranch_execnz .LBB292_85
.LBB292_42:                             ;   in Loop: Header=BB292_12 Depth=1
	s_or_b64 exec, exec, s[40:41]
	s_and_saveexec_b64 s[40:41], s[10:11]
	s_cbranch_execnz .LBB292_90
.LBB292_43:                             ;   in Loop: Header=BB292_12 Depth=1
	s_or_b64 exec, exec, s[40:41]
	v_add_u32_e32 v0, s27, v0
	s_and_saveexec_b64 s[40:41], vcc
	s_cbranch_execnz .LBB292_95
.LBB292_44:                             ;   in Loop: Header=BB292_12 Depth=1
	s_or_b64 exec, exec, s[40:41]
	s_and_saveexec_b64 s[40:41], s[6:7]
	s_cbranch_execnz .LBB292_100
.LBB292_45:                             ;   in Loop: Header=BB292_12 Depth=1
	s_or_b64 exec, exec, s[40:41]
	s_and_saveexec_b64 s[40:41], s[8:9]
	s_cbranch_execnz .LBB292_105
.LBB292_46:                             ;   in Loop: Header=BB292_12 Depth=1
	s_or_b64 exec, exec, s[40:41]
	s_and_saveexec_b64 s[40:41], s[10:11]
	s_cbranch_execnz .LBB292_110
.LBB292_47:                             ;   in Loop: Header=BB292_12 Depth=1
	s_or_b64 exec, exec, s[40:41]
	v_add_u32_e32 v0, s27, v0
	s_and_saveexec_b64 s[40:41], vcc
	s_cbranch_execnz .LBB292_115
.LBB292_48:                             ;   in Loop: Header=BB292_12 Depth=1
	s_or_b64 exec, exec, s[40:41]
	s_and_saveexec_b64 s[40:41], s[6:7]
	s_cbranch_execnz .LBB292_120
.LBB292_49:                             ;   in Loop: Header=BB292_12 Depth=1
	s_or_b64 exec, exec, s[40:41]
	s_and_saveexec_b64 s[40:41], s[8:9]
	s_cbranch_execnz .LBB292_125
.LBB292_50:                             ;   in Loop: Header=BB292_12 Depth=1
	s_or_b64 exec, exec, s[40:41]
	s_and_saveexec_b64 s[40:41], s[10:11]
	s_cbranch_execnz .LBB292_130
.LBB292_51:                             ;   in Loop: Header=BB292_12 Depth=1
	s_or_b64 exec, exec, s[40:41]
	v_add_u32_e32 v0, s27, v0
	s_and_saveexec_b64 s[12:13], vcc
	s_cbranch_execnz .LBB292_135
.LBB292_52:                             ;   in Loop: Header=BB292_12 Depth=1
	s_or_b64 exec, exec, s[12:13]
	s_and_saveexec_b64 s[12:13], s[6:7]
	s_cbranch_execnz .LBB292_140
.LBB292_53:                             ;   in Loop: Header=BB292_12 Depth=1
	s_or_b64 exec, exec, s[12:13]
	s_and_saveexec_b64 s[6:7], s[8:9]
	s_cbranch_execnz .LBB292_145
.LBB292_54:                             ;   in Loop: Header=BB292_12 Depth=1
	s_or_b64 exec, exec, s[6:7]
	s_and_b64 exec, exec, s[10:11]
	s_cbranch_execnz .LBB292_150
	s_branch .LBB292_155
.LBB292_55:                             ;   in Loop: Header=BB292_12 Depth=1
	v_cvt_f32_i32_e32 v60, v71
	s_waitcnt vmcnt(19)
	v_lshlrev_b32_e32 v57, 16, v57
	v_add_f32_e32 v60, v74, v60
	v_add_f32_e32 v60, v60, v57
	v_and_b32_e32 v57, 0x7f800000, v60
	v_cmp_ne_u32_e64 s[6:7], s58, v57
                                        ; implicit-def: $vgpr57
	s_and_saveexec_b64 s[10:11], s[6:7]
	s_xor_b64 s[6:7], exec, s[10:11]
; %bb.56:                               ;   in Loop: Header=BB292_12 Depth=1
	v_bfe_u32 v57, v60, 16, 1
	v_add3_u32 v57, v60, v57, s59
                                        ; implicit-def: $vgpr60
; %bb.57:                               ;   in Loop: Header=BB292_12 Depth=1
	s_andn2_saveexec_b64 s[10:11], s[6:7]
; %bb.58:                               ;   in Loop: Header=BB292_12 Depth=1
	v_or_b32_e32 v57, 0x10000, v60
	v_cmp_eq_u32_sdwa s[6:7], v60, v1 src0_sel:WORD_0 src1_sel:DWORD
	s_nop 1
	v_cndmask_b32_e64 v57, v57, v60, s[6:7]
; %bb.59:                               ;   in Loop: Header=BB292_12 Depth=1
	s_or_b64 exec, exec, s[10:11]
	v_mov_b32_e32 v159, v1
	v_lshl_add_u64 v[60:61], v[158:159], 1, s[14:15]
	global_store_short_d16_hi v[60:61], v57, off
	s_or_b64 exec, exec, s[8:9]
	v_cmp_ne_u32_e64 s[6:7], 0, v3
	s_and_saveexec_b64 s[10:11], s[6:7]
	s_cbranch_execz .LBB292_37
.LBB292_60:                             ;   in Loop: Header=BB292_12 Depth=1
	s_waitcnt vmcnt(19)
	v_cvt_f32_i32_e32 v57, v67
	s_waitcnt vmcnt(18)
	v_lshlrev_b32_e32 v53, 16, v53
	v_add_f32_e32 v57, v70, v57
	v_add_f32_e32 v57, v57, v53
	v_and_b32_e32 v53, 0x7f800000, v57
	v_cmp_ne_u32_e64 s[8:9], s58, v53
                                        ; implicit-def: $vgpr53
	s_and_saveexec_b64 s[12:13], s[8:9]
	s_xor_b64 s[8:9], exec, s[12:13]
; %bb.61:                               ;   in Loop: Header=BB292_12 Depth=1
	v_bfe_u32 v53, v57, 16, 1
	v_add3_u32 v53, v57, v53, s59
                                        ; implicit-def: $vgpr57
; %bb.62:                               ;   in Loop: Header=BB292_12 Depth=1
	s_andn2_saveexec_b64 s[12:13], s[8:9]
; %bb.63:                               ;   in Loop: Header=BB292_12 Depth=1
	v_or_b32_e32 v53, 0x10000, v57
	v_cmp_eq_u32_sdwa s[8:9], v57, v1 src0_sel:WORD_0 src1_sel:DWORD
	s_nop 1
	v_cndmask_b32_e64 v53, v53, v57, s[8:9]
; %bb.64:                               ;   in Loop: Header=BB292_12 Depth=1
	s_or_b64 exec, exec, s[12:13]
	v_mov_b32_e32 v159, v1
	v_lshl_add_u64 v[60:61], v[158:159], 1, s[34:35]
	global_store_short_d16_hi v[60:61], v53, off
	s_or_b64 exec, exec, s[10:11]
	v_cmp_ne_u32_e64 s[8:9], 0, v4
	s_and_saveexec_b64 s[12:13], s[8:9]
	s_cbranch_execz .LBB292_38
.LBB292_65:                             ;   in Loop: Header=BB292_12 Depth=1
	s_waitcnt vmcnt(18)
	v_cvt_f32_i32_e32 v53, v63
	s_waitcnt vmcnt(17)
	v_lshlrev_b32_e32 v52, 16, v52
	v_add_f32_e32 v53, v66, v53
	v_add_f32_e32 v53, v53, v52
	v_and_b32_e32 v52, 0x7f800000, v53
	v_cmp_ne_u32_e64 s[10:11], s58, v52
                                        ; implicit-def: $vgpr52
	s_and_saveexec_b64 s[40:41], s[10:11]
	s_xor_b64 s[10:11], exec, s[40:41]
; %bb.66:                               ;   in Loop: Header=BB292_12 Depth=1
	v_bfe_u32 v52, v53, 16, 1
	v_add3_u32 v52, v53, v52, s59
                                        ; implicit-def: $vgpr53
; %bb.67:                               ;   in Loop: Header=BB292_12 Depth=1
	s_andn2_saveexec_b64 s[40:41], s[10:11]
; %bb.68:                               ;   in Loop: Header=BB292_12 Depth=1
	v_or_b32_e32 v52, 0x10000, v53
	v_cmp_eq_u32_sdwa s[10:11], v53, v1 src0_sel:WORD_0 src1_sel:DWORD
	s_nop 1
	v_cndmask_b32_e64 v52, v52, v53, s[10:11]
; %bb.69:                               ;   in Loop: Header=BB292_12 Depth=1
	s_or_b64 exec, exec, s[40:41]
	v_lshl_add_u64 v[60:61], v[0:1], 1, s[14:15]
	global_store_short_d16_hi v[60:61], v52, off
	s_or_b64 exec, exec, s[12:13]
	v_cmp_ne_u32_e64 s[10:11], 0, v5
	s_and_saveexec_b64 s[40:41], s[10:11]
	s_cbranch_execz .LBB292_39
.LBB292_70:                             ;   in Loop: Header=BB292_12 Depth=1
	v_cvt_f32_i32_e32 v0, v59
	s_waitcnt vmcnt(16)
	v_lshlrev_b32_e32 v7, 16, v7
	v_add_f32_e32 v0, v62, v0
	v_add_f32_e32 v7, v0, v7
	v_and_b32_e32 v0, 0x7f800000, v7
	v_cmp_ne_u32_e64 s[12:13], s58, v0
                                        ; implicit-def: $vgpr0
	s_and_saveexec_b64 s[42:43], s[12:13]
	s_xor_b64 s[12:13], exec, s[42:43]
; %bb.71:                               ;   in Loop: Header=BB292_12 Depth=1
	v_bfe_u32 v0, v7, 16, 1
	v_add3_u32 v0, v7, v0, s59
                                        ; implicit-def: $vgpr7
; %bb.72:                               ;   in Loop: Header=BB292_12 Depth=1
	s_andn2_saveexec_b64 s[42:43], s[12:13]
; %bb.73:                               ;   in Loop: Header=BB292_12 Depth=1
	v_or_b32_e32 v0, 0x10000, v7
	v_cmp_eq_u32_sdwa s[12:13], v7, v1 src0_sel:WORD_0 src1_sel:DWORD
	s_nop 1
	v_cndmask_b32_e64 v0, v0, v7, s[12:13]
; %bb.74:                               ;   in Loop: Header=BB292_12 Depth=1
	s_or_b64 exec, exec, s[42:43]
	v_mov_b32_e32 v7, v1
	v_lshl_add_u64 v[6:7], v[6:7], 1, s[14:15]
	global_store_short_d16_hi v[6:7], v0, off
	s_or_b64 exec, exec, s[40:41]
	v_add_u32_e32 v0, s27, v158
	s_and_saveexec_b64 s[40:41], vcc
	s_cbranch_execz .LBB292_40
.LBB292_75:                             ;   in Loop: Header=BB292_12 Depth=1
	v_cvt_f32_i32_e32 v6, v56
	s_waitcnt vmcnt(15)
	v_lshlrev_b32_e32 v7, 16, v51
	v_add_f32_e32 v6, v58, v6
	v_add_f32_e32 v7, v6, v7
	v_and_b32_e32 v6, 0x7f800000, v7
	v_cmp_ne_u32_e64 s[12:13], s58, v6
                                        ; implicit-def: $vgpr6
	s_and_saveexec_b64 s[42:43], s[12:13]
	s_xor_b64 s[12:13], exec, s[42:43]
; %bb.76:                               ;   in Loop: Header=BB292_12 Depth=1
	v_bfe_u32 v6, v7, 16, 1
	v_add3_u32 v6, v7, v6, s59
                                        ; implicit-def: $vgpr7
; %bb.77:                               ;   in Loop: Header=BB292_12 Depth=1
	s_andn2_saveexec_b64 s[42:43], s[12:13]
; %bb.78:                               ;   in Loop: Header=BB292_12 Depth=1
	v_or_b32_e32 v6, 0x10000, v7
	v_cmp_eq_u32_sdwa s[12:13], v7, v1 src0_sel:WORD_0 src1_sel:DWORD
	s_nop 1
	v_cndmask_b32_e64 v6, v6, v7, s[12:13]
; %bb.79:                               ;   in Loop: Header=BB292_12 Depth=1
	s_or_b64 exec, exec, s[42:43]
	v_lshl_add_u64 v[52:53], v[0:1], 1, s[14:15]
	global_store_short_d16_hi v[52:53], v6, off
	s_or_b64 exec, exec, s[40:41]
	s_and_saveexec_b64 s[40:41], s[6:7]
	s_cbranch_execz .LBB292_41
.LBB292_80:                             ;   in Loop: Header=BB292_12 Depth=1
	v_cvt_f32_i32_e32 v6, v55
	s_waitcnt vmcnt(14)
	v_lshlrev_b32_e32 v7, 16, v49
	v_add_f32_e32 v6, v54, v6
	v_add_f32_e32 v7, v6, v7
	v_and_b32_e32 v6, 0x7f800000, v7
	v_cmp_ne_u32_e64 s[12:13], s58, v6
                                        ; implicit-def: $vgpr6
	s_and_saveexec_b64 s[42:43], s[12:13]
	s_xor_b64 s[12:13], exec, s[42:43]
; %bb.81:                               ;   in Loop: Header=BB292_12 Depth=1
	v_bfe_u32 v6, v7, 16, 1
	v_add3_u32 v6, v7, v6, s59
                                        ; implicit-def: $vgpr7
; %bb.82:                               ;   in Loop: Header=BB292_12 Depth=1
	s_andn2_saveexec_b64 s[42:43], s[12:13]
; %bb.83:                               ;   in Loop: Header=BB292_12 Depth=1
	v_or_b32_e32 v6, 0x10000, v7
	v_cmp_eq_u32_sdwa s[12:13], v7, v1 src0_sel:WORD_0 src1_sel:DWORD
	s_nop 1
	v_cndmask_b32_e64 v6, v6, v7, s[12:13]
; %bb.84:                               ;   in Loop: Header=BB292_12 Depth=1
	s_or_b64 exec, exec, s[42:43]
	v_add_u32_e32 v52, 1, v0
	v_mov_b32_e32 v53, v1
	v_lshl_add_u64 v[52:53], v[52:53], 1, s[14:15]
	global_store_short_d16_hi v[52:53], v6, off
	s_or_b64 exec, exec, s[40:41]
	s_and_saveexec_b64 s[40:41], s[8:9]
	s_cbranch_execz .LBB292_42
.LBB292_85:                             ;   in Loop: Header=BB292_12 Depth=1
	v_cvt_f32_i32_e32 v6, v47
	s_waitcnt vmcnt(13)
	v_lshlrev_b32_e32 v7, 16, v48
	v_add_f32_e32 v6, v50, v6
	v_add_f32_e32 v7, v6, v7
	v_and_b32_e32 v6, 0x7f800000, v7
	v_cmp_ne_u32_e64 s[12:13], s58, v6
                                        ; implicit-def: $vgpr6
	s_and_saveexec_b64 s[42:43], s[12:13]
	s_xor_b64 s[12:13], exec, s[42:43]
; %bb.86:                               ;   in Loop: Header=BB292_12 Depth=1
	v_bfe_u32 v6, v7, 16, 1
	v_add3_u32 v6, v7, v6, s59
                                        ; implicit-def: $vgpr7
; %bb.87:                               ;   in Loop: Header=BB292_12 Depth=1
	s_andn2_saveexec_b64 s[42:43], s[12:13]
; %bb.88:                               ;   in Loop: Header=BB292_12 Depth=1
	v_or_b32_e32 v6, 0x10000, v7
	v_cmp_eq_u32_sdwa s[12:13], v7, v1 src0_sel:WORD_0 src1_sel:DWORD
	s_nop 1
	v_cndmask_b32_e64 v6, v6, v7, s[12:13]
; %bb.89:                               ;   in Loop: Header=BB292_12 Depth=1
	s_or_b64 exec, exec, s[42:43]
	v_add_u32_e32 v48, 2, v0
	v_mov_b32_e32 v49, v1
	v_lshl_add_u64 v[48:49], v[48:49], 1, s[14:15]
	global_store_short_d16_hi v[48:49], v6, off
	s_or_b64 exec, exec, s[40:41]
	s_and_saveexec_b64 s[40:41], s[10:11]
	s_cbranch_execz .LBB292_43
.LBB292_90:                             ;   in Loop: Header=BB292_12 Depth=1
	v_cvt_f32_i32_e32 v6, v43
	s_waitcnt vmcnt(12)
	v_lshlrev_b32_e32 v7, 16, v45
	v_add_f32_e32 v6, v46, v6
	v_add_f32_e32 v7, v6, v7
	v_and_b32_e32 v6, 0x7f800000, v7
	v_cmp_ne_u32_e64 s[12:13], s58, v6
                                        ; implicit-def: $vgpr6
	s_and_saveexec_b64 s[42:43], s[12:13]
	s_xor_b64 s[12:13], exec, s[42:43]
; %bb.91:                               ;   in Loop: Header=BB292_12 Depth=1
	v_bfe_u32 v6, v7, 16, 1
	v_add3_u32 v6, v7, v6, s59
                                        ; implicit-def: $vgpr7
; %bb.92:                               ;   in Loop: Header=BB292_12 Depth=1
	s_andn2_saveexec_b64 s[42:43], s[12:13]
; %bb.93:                               ;   in Loop: Header=BB292_12 Depth=1
	v_or_b32_e32 v6, 0x10000, v7
	v_cmp_eq_u32_sdwa s[12:13], v7, v1 src0_sel:WORD_0 src1_sel:DWORD
	s_nop 1
	v_cndmask_b32_e64 v6, v6, v7, s[12:13]
; %bb.94:                               ;   in Loop: Header=BB292_12 Depth=1
	s_or_b64 exec, exec, s[42:43]
	v_add_u32_e32 v46, 3, v0
	v_mov_b32_e32 v47, v1
	v_lshl_add_u64 v[46:47], v[46:47], 1, s[14:15]
	global_store_short_d16_hi v[46:47], v6, off
	s_or_b64 exec, exec, s[40:41]
	v_add_u32_e32 v0, s27, v0
	s_and_saveexec_b64 s[40:41], vcc
	s_cbranch_execz .LBB292_44
.LBB292_95:                             ;   in Loop: Header=BB292_12 Depth=1
	v_cvt_f32_i32_e32 v6, v39
	s_waitcnt vmcnt(11)
	v_lshlrev_b32_e32 v7, 16, v44
	v_add_f32_e32 v6, v42, v6
	v_add_f32_e32 v7, v6, v7
	v_and_b32_e32 v6, 0x7f800000, v7
	v_cmp_ne_u32_e64 s[12:13], s58, v6
                                        ; implicit-def: $vgpr6
	s_and_saveexec_b64 s[42:43], s[12:13]
	s_xor_b64 s[12:13], exec, s[42:43]
; %bb.96:                               ;   in Loop: Header=BB292_12 Depth=1
	v_bfe_u32 v6, v7, 16, 1
	v_add3_u32 v6, v7, v6, s59
                                        ; implicit-def: $vgpr7
; %bb.97:                               ;   in Loop: Header=BB292_12 Depth=1
	s_andn2_saveexec_b64 s[42:43], s[12:13]
; %bb.98:                               ;   in Loop: Header=BB292_12 Depth=1
	v_or_b32_e32 v6, 0x10000, v7
	v_cmp_eq_u32_sdwa s[12:13], v7, v1 src0_sel:WORD_0 src1_sel:DWORD
	s_nop 1
	v_cndmask_b32_e64 v6, v6, v7, s[12:13]
; %bb.99:                               ;   in Loop: Header=BB292_12 Depth=1
	s_or_b64 exec, exec, s[42:43]
	v_lshl_add_u64 v[42:43], v[0:1], 1, s[14:15]
	global_store_short_d16_hi v[42:43], v6, off
	s_or_b64 exec, exec, s[40:41]
	s_and_saveexec_b64 s[40:41], s[6:7]
	s_cbranch_execz .LBB292_45
.LBB292_100:                            ;   in Loop: Header=BB292_12 Depth=1
	v_cvt_f32_i32_e32 v6, v36
	s_waitcnt vmcnt(10)
	v_lshlrev_b32_e32 v7, 16, v41
	v_add_f32_e32 v6, v38, v6
	v_add_f32_e32 v7, v6, v7
	v_and_b32_e32 v6, 0x7f800000, v7
	v_cmp_ne_u32_e64 s[12:13], s58, v6
                                        ; implicit-def: $vgpr6
	s_and_saveexec_b64 s[42:43], s[12:13]
	s_xor_b64 s[12:13], exec, s[42:43]
; %bb.101:                              ;   in Loop: Header=BB292_12 Depth=1
	v_bfe_u32 v6, v7, 16, 1
	v_add3_u32 v6, v7, v6, s59
                                        ; implicit-def: $vgpr7
; %bb.102:                              ;   in Loop: Header=BB292_12 Depth=1
	s_andn2_saveexec_b64 s[42:43], s[12:13]
; %bb.103:                              ;   in Loop: Header=BB292_12 Depth=1
	v_or_b32_e32 v6, 0x10000, v7
	v_cmp_eq_u32_sdwa s[12:13], v7, v1 src0_sel:WORD_0 src1_sel:DWORD
	s_nop 1
	v_cndmask_b32_e64 v6, v6, v7, s[12:13]
; %bb.104:                              ;   in Loop: Header=BB292_12 Depth=1
	s_or_b64 exec, exec, s[42:43]
	v_add_u32_e32 v38, 1, v0
	v_mov_b32_e32 v39, v1
	v_lshl_add_u64 v[38:39], v[38:39], 1, s[14:15]
	global_store_short_d16_hi v[38:39], v6, off
	s_or_b64 exec, exec, s[40:41]
	s_and_saveexec_b64 s[40:41], s[8:9]
	s_cbranch_execz .LBB292_46
.LBB292_105:                            ;   in Loop: Header=BB292_12 Depth=1
	v_cvt_f32_i32_e32 v6, v35
	s_waitcnt vmcnt(9)
	v_lshlrev_b32_e32 v7, 16, v40
	v_add_f32_e32 v6, v34, v6
	v_add_f32_e32 v7, v6, v7
	v_and_b32_e32 v6, 0x7f800000, v7
	v_cmp_ne_u32_e64 s[12:13], s58, v6
                                        ; implicit-def: $vgpr6
	s_and_saveexec_b64 s[42:43], s[12:13]
	s_xor_b64 s[12:13], exec, s[42:43]
; %bb.106:                              ;   in Loop: Header=BB292_12 Depth=1
	v_bfe_u32 v6, v7, 16, 1
	v_add3_u32 v6, v7, v6, s59
                                        ; implicit-def: $vgpr7
; %bb.107:                              ;   in Loop: Header=BB292_12 Depth=1
	s_andn2_saveexec_b64 s[42:43], s[12:13]
; %bb.108:                              ;   in Loop: Header=BB292_12 Depth=1
	v_or_b32_e32 v6, 0x10000, v7
	v_cmp_eq_u32_sdwa s[12:13], v7, v1 src0_sel:WORD_0 src1_sel:DWORD
	s_nop 1
	v_cndmask_b32_e64 v6, v6, v7, s[12:13]
; %bb.109:                              ;   in Loop: Header=BB292_12 Depth=1
	s_or_b64 exec, exec, s[42:43]
	v_add_u32_e32 v34, 2, v0
	v_mov_b32_e32 v35, v1
	v_lshl_add_u64 v[34:35], v[34:35], 1, s[14:15]
	global_store_short_d16_hi v[34:35], v6, off
	s_or_b64 exec, exec, s[40:41]
	s_and_saveexec_b64 s[40:41], s[10:11]
	s_cbranch_execz .LBB292_47
.LBB292_110:                            ;   in Loop: Header=BB292_12 Depth=1
	v_cvt_f32_i32_e32 v6, v27
	s_waitcnt vmcnt(8)
	v_lshlrev_b32_e32 v7, 16, v37
	v_add_f32_e32 v6, v30, v6
	v_add_f32_e32 v7, v6, v7
	v_and_b32_e32 v6, 0x7f800000, v7
	v_cmp_ne_u32_e64 s[12:13], s58, v6
                                        ; implicit-def: $vgpr6
	s_and_saveexec_b64 s[42:43], s[12:13]
	s_xor_b64 s[12:13], exec, s[42:43]
; %bb.111:                              ;   in Loop: Header=BB292_12 Depth=1
	v_bfe_u32 v6, v7, 16, 1
	v_add3_u32 v6, v7, v6, s59
                                        ; implicit-def: $vgpr7
; %bb.112:                              ;   in Loop: Header=BB292_12 Depth=1
	s_andn2_saveexec_b64 s[42:43], s[12:13]
; %bb.113:                              ;   in Loop: Header=BB292_12 Depth=1
	v_or_b32_e32 v6, 0x10000, v7
	v_cmp_eq_u32_sdwa s[12:13], v7, v1 src0_sel:WORD_0 src1_sel:DWORD
	s_nop 1
	v_cndmask_b32_e64 v6, v6, v7, s[12:13]
; %bb.114:                              ;   in Loop: Header=BB292_12 Depth=1
	s_or_b64 exec, exec, s[42:43]
	v_add_u32_e32 v34, 3, v0
	v_mov_b32_e32 v35, v1
	v_lshl_add_u64 v[34:35], v[34:35], 1, s[14:15]
	global_store_short_d16_hi v[34:35], v6, off
	s_or_b64 exec, exec, s[40:41]
	v_add_u32_e32 v0, s27, v0
	s_and_saveexec_b64 s[40:41], vcc
	s_cbranch_execz .LBB292_48
.LBB292_115:                            ;   in Loop: Header=BB292_12 Depth=1
	v_cvt_f32_i32_e32 v6, v23
	s_waitcnt vmcnt(7)
	v_lshlrev_b32_e32 v7, 16, v33
	v_add_f32_e32 v6, v26, v6
	v_add_f32_e32 v7, v6, v7
	v_and_b32_e32 v6, 0x7f800000, v7
	v_cmp_ne_u32_e64 s[12:13], s58, v6
                                        ; implicit-def: $vgpr6
	s_and_saveexec_b64 s[42:43], s[12:13]
	s_xor_b64 s[12:13], exec, s[42:43]
; %bb.116:                              ;   in Loop: Header=BB292_12 Depth=1
	v_bfe_u32 v6, v7, 16, 1
	v_add3_u32 v6, v7, v6, s59
                                        ; implicit-def: $vgpr7
; %bb.117:                              ;   in Loop: Header=BB292_12 Depth=1
	s_andn2_saveexec_b64 s[42:43], s[12:13]
; %bb.118:                              ;   in Loop: Header=BB292_12 Depth=1
	v_or_b32_e32 v6, 0x10000, v7
	v_cmp_eq_u32_sdwa s[12:13], v7, v1 src0_sel:WORD_0 src1_sel:DWORD
	s_nop 1
	v_cndmask_b32_e64 v6, v6, v7, s[12:13]
; %bb.119:                              ;   in Loop: Header=BB292_12 Depth=1
	s_or_b64 exec, exec, s[42:43]
	v_lshl_add_u64 v[26:27], v[0:1], 1, s[14:15]
	global_store_short_d16_hi v[26:27], v6, off
	s_or_b64 exec, exec, s[40:41]
	s_and_saveexec_b64 s[40:41], s[6:7]
	s_cbranch_execz .LBB292_49
.LBB292_120:                            ;   in Loop: Header=BB292_12 Depth=1
	v_cvt_f32_i32_e32 v6, v20
	s_waitcnt vmcnt(6)
	v_lshlrev_b32_e32 v7, 16, v32
	v_add_f32_e32 v6, v22, v6
	v_add_f32_e32 v7, v6, v7
	v_and_b32_e32 v6, 0x7f800000, v7
	v_cmp_ne_u32_e64 s[12:13], s58, v6
                                        ; implicit-def: $vgpr6
	s_and_saveexec_b64 s[42:43], s[12:13]
	s_xor_b64 s[12:13], exec, s[42:43]
; %bb.121:                              ;   in Loop: Header=BB292_12 Depth=1
	v_bfe_u32 v6, v7, 16, 1
	v_add3_u32 v6, v7, v6, s59
                                        ; implicit-def: $vgpr7
; %bb.122:                              ;   in Loop: Header=BB292_12 Depth=1
	s_andn2_saveexec_b64 s[42:43], s[12:13]
; %bb.123:                              ;   in Loop: Header=BB292_12 Depth=1
	v_or_b32_e32 v6, 0x10000, v7
	v_cmp_eq_u32_sdwa s[12:13], v7, v1 src0_sel:WORD_0 src1_sel:DWORD
	s_nop 1
	v_cndmask_b32_e64 v6, v6, v7, s[12:13]
; %bb.124:                              ;   in Loop: Header=BB292_12 Depth=1
	s_or_b64 exec, exec, s[42:43]
	v_add_u32_e32 v22, 1, v0
	v_mov_b32_e32 v23, v1
	v_lshl_add_u64 v[22:23], v[22:23], 1, s[14:15]
	global_store_short_d16_hi v[22:23], v6, off
	s_or_b64 exec, exec, s[40:41]
	s_and_saveexec_b64 s[40:41], s[8:9]
	s_cbranch_execz .LBB292_50
.LBB292_125:                            ;   in Loop: Header=BB292_12 Depth=1
	v_cvt_f32_i32_e32 v6, v17
	s_waitcnt vmcnt(5)
	v_lshlrev_b32_e32 v7, 16, v31
	v_add_f32_e32 v6, v19, v6
	v_add_f32_e32 v7, v6, v7
	v_and_b32_e32 v6, 0x7f800000, v7
	v_cmp_ne_u32_e64 s[12:13], s58, v6
                                        ; implicit-def: $vgpr6
	s_and_saveexec_b64 s[42:43], s[12:13]
	s_xor_b64 s[12:13], exec, s[42:43]
; %bb.126:                              ;   in Loop: Header=BB292_12 Depth=1
	v_bfe_u32 v6, v7, 16, 1
	v_add3_u32 v6, v7, v6, s59
                                        ; implicit-def: $vgpr7
; %bb.127:                              ;   in Loop: Header=BB292_12 Depth=1
	s_andn2_saveexec_b64 s[42:43], s[12:13]
; %bb.128:                              ;   in Loop: Header=BB292_12 Depth=1
	v_or_b32_e32 v6, 0x10000, v7
	v_cmp_eq_u32_sdwa s[12:13], v7, v1 src0_sel:WORD_0 src1_sel:DWORD
	s_nop 1
	v_cndmask_b32_e64 v6, v6, v7, s[12:13]
; %bb.129:                              ;   in Loop: Header=BB292_12 Depth=1
	s_or_b64 exec, exec, s[42:43]
	v_add_u32_e32 v22, 2, v0
	v_mov_b32_e32 v23, v1
	v_lshl_add_u64 v[22:23], v[22:23], 1, s[14:15]
	global_store_short_d16_hi v[22:23], v6, off
	s_or_b64 exec, exec, s[40:41]
	s_and_saveexec_b64 s[40:41], s[10:11]
	s_cbranch_execz .LBB292_51
.LBB292_130:                            ;   in Loop: Header=BB292_12 Depth=1
	v_cvt_f32_i32_e32 v6, v14
	s_waitcnt vmcnt(4)
	v_lshlrev_b32_e32 v7, 16, v29
	v_add_f32_e32 v6, v18, v6
	v_add_f32_e32 v7, v6, v7
	v_and_b32_e32 v6, 0x7f800000, v7
	v_cmp_ne_u32_e64 s[12:13], s58, v6
                                        ; implicit-def: $vgpr6
	s_and_saveexec_b64 s[42:43], s[12:13]
	s_xor_b64 s[12:13], exec, s[42:43]
; %bb.131:                              ;   in Loop: Header=BB292_12 Depth=1
	v_bfe_u32 v6, v7, 16, 1
	v_add3_u32 v6, v7, v6, s59
                                        ; implicit-def: $vgpr7
; %bb.132:                              ;   in Loop: Header=BB292_12 Depth=1
	s_andn2_saveexec_b64 s[42:43], s[12:13]
; %bb.133:                              ;   in Loop: Header=BB292_12 Depth=1
	v_or_b32_e32 v6, 0x10000, v7
	v_cmp_eq_u32_sdwa s[12:13], v7, v1 src0_sel:WORD_0 src1_sel:DWORD
	s_nop 1
	v_cndmask_b32_e64 v6, v6, v7, s[12:13]
; %bb.134:                              ;   in Loop: Header=BB292_12 Depth=1
	s_or_b64 exec, exec, s[42:43]
	v_add_u32_e32 v18, 3, v0
	v_mov_b32_e32 v19, v1
	v_lshl_add_u64 v[18:19], v[18:19], 1, s[14:15]
	global_store_short_d16_hi v[18:19], v6, off
	s_or_b64 exec, exec, s[40:41]
	v_add_u32_e32 v0, s27, v0
	s_and_saveexec_b64 s[12:13], vcc
	s_cbranch_execz .LBB292_52
.LBB292_135:                            ;   in Loop: Header=BB292_12 Depth=1
	v_cvt_f32_i32_e32 v6, v16
	s_waitcnt vmcnt(3)
	v_lshlrev_b32_e32 v7, 16, v28
	v_add_f32_e32 v6, v15, v6
	v_add_f32_e32 v7, v6, v7
	v_and_b32_e32 v6, 0x7f800000, v7
	v_cmp_ne_u32_e32 vcc, s58, v6
                                        ; implicit-def: $vgpr6
	s_and_saveexec_b64 s[40:41], vcc
	s_xor_b64 s[40:41], exec, s[40:41]
; %bb.136:                              ;   in Loop: Header=BB292_12 Depth=1
	v_bfe_u32 v6, v7, 16, 1
	v_add3_u32 v6, v7, v6, s59
                                        ; implicit-def: $vgpr7
; %bb.137:                              ;   in Loop: Header=BB292_12 Depth=1
	s_andn2_saveexec_b64 s[40:41], s[40:41]
; %bb.138:                              ;   in Loop: Header=BB292_12 Depth=1
	v_or_b32_e32 v6, 0x10000, v7
	v_cmp_eq_u32_sdwa vcc, v7, v1 src0_sel:WORD_0 src1_sel:DWORD
	s_nop 1
	v_cndmask_b32_e32 v6, v6, v7, vcc
; %bb.139:                              ;   in Loop: Header=BB292_12 Depth=1
	s_or_b64 exec, exec, s[40:41]
	v_lshl_add_u64 v[14:15], v[0:1], 1, s[14:15]
	global_store_short_d16_hi v[14:15], v6, off
	s_or_b64 exec, exec, s[12:13]
	s_and_saveexec_b64 s[12:13], s[6:7]
	s_cbranch_execz .LBB292_53
.LBB292_140:                            ;   in Loop: Header=BB292_12 Depth=1
	v_cvt_f32_i32_e32 v6, v13
	s_waitcnt vmcnt(2)
	v_lshlrev_b32_e32 v7, 16, v25
	v_add_f32_e32 v6, v12, v6
	v_add_f32_e32 v7, v6, v7
	v_and_b32_e32 v6, 0x7f800000, v7
	v_cmp_ne_u32_e32 vcc, s58, v6
                                        ; implicit-def: $vgpr6
	s_and_saveexec_b64 s[6:7], vcc
	s_xor_b64 s[6:7], exec, s[6:7]
; %bb.141:                              ;   in Loop: Header=BB292_12 Depth=1
	v_bfe_u32 v6, v7, 16, 1
	v_add3_u32 v6, v7, v6, s59
                                        ; implicit-def: $vgpr7
; %bb.142:                              ;   in Loop: Header=BB292_12 Depth=1
	s_andn2_saveexec_b64 s[6:7], s[6:7]
; %bb.143:                              ;   in Loop: Header=BB292_12 Depth=1
	v_or_b32_e32 v6, 0x10000, v7
	v_cmp_eq_u32_sdwa vcc, v7, v1 src0_sel:WORD_0 src1_sel:DWORD
	s_nop 1
	v_cndmask_b32_e32 v6, v6, v7, vcc
; %bb.144:                              ;   in Loop: Header=BB292_12 Depth=1
	s_or_b64 exec, exec, s[6:7]
	v_add_u32_e32 v12, 1, v0
	v_mov_b32_e32 v13, v1
	v_lshl_add_u64 v[12:13], v[12:13], 1, s[14:15]
	global_store_short_d16_hi v[12:13], v6, off
	s_or_b64 exec, exec, s[12:13]
	s_and_saveexec_b64 s[6:7], s[8:9]
	s_cbranch_execz .LBB292_54
.LBB292_145:                            ;   in Loop: Header=BB292_12 Depth=1
	v_cvt_f32_i32_e32 v6, v11
	s_waitcnt vmcnt(1)
	v_lshlrev_b32_e32 v7, 16, v24
	v_add_f32_e32 v6, v10, v6
	v_add_f32_e32 v7, v6, v7
	v_and_b32_e32 v6, 0x7f800000, v7
	v_cmp_ne_u32_e32 vcc, s58, v6
                                        ; implicit-def: $vgpr6
	s_and_saveexec_b64 s[8:9], vcc
	s_xor_b64 s[8:9], exec, s[8:9]
; %bb.146:                              ;   in Loop: Header=BB292_12 Depth=1
	v_bfe_u32 v6, v7, 16, 1
	v_add3_u32 v6, v7, v6, s59
                                        ; implicit-def: $vgpr7
; %bb.147:                              ;   in Loop: Header=BB292_12 Depth=1
	s_andn2_saveexec_b64 s[8:9], s[8:9]
; %bb.148:                              ;   in Loop: Header=BB292_12 Depth=1
	v_or_b32_e32 v6, 0x10000, v7
	v_cmp_eq_u32_sdwa vcc, v7, v1 src0_sel:WORD_0 src1_sel:DWORD
	s_nop 1
	v_cndmask_b32_e32 v6, v6, v7, vcc
; %bb.149:                              ;   in Loop: Header=BB292_12 Depth=1
	s_or_b64 exec, exec, s[8:9]
	v_add_u32_e32 v10, 2, v0
	v_mov_b32_e32 v11, v1
	v_lshl_add_u64 v[10:11], v[10:11], 1, s[14:15]
	global_store_short_d16_hi v[10:11], v6, off
	s_or_b64 exec, exec, s[6:7]
	s_and_b64 exec, exec, s[10:11]
	s_cbranch_execz .LBB292_155
.LBB292_150:                            ;   in Loop: Header=BB292_12 Depth=1
	v_cvt_f32_i32_e32 v6, v9
	s_waitcnt vmcnt(0)
	v_lshlrev_b32_e32 v7, 16, v21
	v_add_f32_e32 v6, v8, v6
	v_add_f32_e32 v7, v6, v7
	v_and_b32_e32 v6, 0x7f800000, v7
	v_cmp_ne_u32_e32 vcc, s58, v6
                                        ; implicit-def: $vgpr6
	s_and_saveexec_b64 s[6:7], vcc
	s_xor_b64 s[6:7], exec, s[6:7]
; %bb.151:                              ;   in Loop: Header=BB292_12 Depth=1
	v_bfe_u32 v6, v7, 16, 1
	v_add3_u32 v6, v7, v6, s59
                                        ; implicit-def: $vgpr7
; %bb.152:                              ;   in Loop: Header=BB292_12 Depth=1
	s_andn2_saveexec_b64 s[6:7], s[6:7]
; %bb.153:                              ;   in Loop: Header=BB292_12 Depth=1
	v_or_b32_e32 v6, 0x10000, v7
	v_cmp_eq_u32_sdwa vcc, v7, v1 src0_sel:WORD_0 src1_sel:DWORD
	s_nop 1
	v_cndmask_b32_e32 v6, v6, v7, vcc
; %bb.154:                              ;   in Loop: Header=BB292_12 Depth=1
	s_or_b64 exec, exec, s[6:7]
	v_add_u32_e32 v0, 3, v0
	v_lshl_add_u64 v[8:9], v[0:1], 1, s[14:15]
	global_store_short_d16_hi v[8:9], v6, off
.LBB292_155:                            ;   in Loop: Header=BB292_12 Depth=1
	s_or_b64 exec, exec, s[38:39]
	v_add_u32_e32 v158, s48, v158
	v_add_u32_e32 v0, 4, v158
	v_cmp_gt_u32_e32 vcc, s27, v158
	v_cmp_le_u32_e64 s[6:7], s27, v0
	s_and_b64 s[6:7], vcc, s[6:7]
	s_and_saveexec_b64 s[8:9], s[6:7]
	s_cbranch_execz .LBB292_10
; %bb.156:                              ;   in Loop: Header=BB292_12 Depth=1
	v_cmp_ne_u32_e32 vcc, s17, v158
	s_and_saveexec_b64 s[10:11], vcc
	s_cbranch_execz .LBB292_9
; %bb.157:                              ;   in Loop: Header=BB292_12 Depth=1
	v_subrev_u32_e32 v0, s17, v158
	v_cmp_lt_u32_e32 vcc, 1, v0
	s_mov_b64 s[12:13], 0
	s_mov_b64 s[38:39], 0
	v_cndmask_b32_e32 v0, 1, v0, vcc
.LBB292_158:                            ;   Parent Loop BB292_12 Depth=1
                                        ; =>  This Inner Loop Header: Depth=2
	s_cmp_lg_u32 s38, 3
	s_cselect_b64 vcc, -1, 0
	s_cmp_lg_u32 s38, 2
	v_cndmask_b32_e32 v5, 0, v5, vcc
	s_cselect_b64 vcc, -1, 0
	s_cmp_lg_u32 s38, 1
	v_cndmask_b32_e32 v4, 0, v4, vcc
	;; [unrolled: 3-line block ×3, first 2 shown]
	s_cselect_b64 vcc, -1, 0
	s_add_u32 s38, s38, 1
	s_addc_u32 s39, s39, 0
	v_cmp_eq_u32_e64 s[6:7], s38, v0
	s_or_b64 s[12:13], s[6:7], s[12:13]
	v_cndmask_b32_e32 v2, 0, v2, vcc
	s_andn2_b64 exec, exec, s[12:13]
	s_cbranch_execnz .LBB292_158
; %bb.159:                              ;   in Loop: Header=BB292_12 Depth=1
	s_or_b64 exec, exec, s[12:13]
	s_branch .LBB292_9
.LBB292_160:
	s_endpgm
	.section	.rodata,"a",@progbits
	.p2align	6, 0x0
	.amdhsa_kernel _Z16wvSplitK_hf_big_I14__hip_bfloat16Li32ELi4ELi16ELi8ELi2ELi5EEviiiiiiPKT_S3_S3_PS1_ii
		.amdhsa_group_segment_fixed_size 65536
		.amdhsa_private_segment_fixed_size 0
		.amdhsa_kernarg_size 64
		.amdhsa_user_sgpr_count 2
		.amdhsa_user_sgpr_dispatch_ptr 0
		.amdhsa_user_sgpr_queue_ptr 0
		.amdhsa_user_sgpr_kernarg_segment_ptr 1
		.amdhsa_user_sgpr_dispatch_id 0
		.amdhsa_user_sgpr_kernarg_preload_length 0
		.amdhsa_user_sgpr_kernarg_preload_offset 0
		.amdhsa_user_sgpr_private_segment_size 0
		.amdhsa_uses_dynamic_stack 0
		.amdhsa_enable_private_segment 0
		.amdhsa_system_sgpr_workgroup_id_x 1
		.amdhsa_system_sgpr_workgroup_id_y 0
		.amdhsa_system_sgpr_workgroup_id_z 0
		.amdhsa_system_sgpr_workgroup_info 0
		.amdhsa_system_vgpr_workitem_id 1
		.amdhsa_next_free_vgpr 180
		.amdhsa_next_free_sgpr 60
		.amdhsa_accum_offset 180
		.amdhsa_reserve_vcc 1
		.amdhsa_float_round_mode_32 0
		.amdhsa_float_round_mode_16_64 0
		.amdhsa_float_denorm_mode_32 3
		.amdhsa_float_denorm_mode_16_64 3
		.amdhsa_dx10_clamp 1
		.amdhsa_ieee_mode 1
		.amdhsa_fp16_overflow 0
		.amdhsa_tg_split 0
		.amdhsa_exception_fp_ieee_invalid_op 0
		.amdhsa_exception_fp_denorm_src 0
		.amdhsa_exception_fp_ieee_div_zero 0
		.amdhsa_exception_fp_ieee_overflow 0
		.amdhsa_exception_fp_ieee_underflow 0
		.amdhsa_exception_fp_ieee_inexact 0
		.amdhsa_exception_int_div_zero 0
	.end_amdhsa_kernel
	.section	.text._Z16wvSplitK_hf_big_I14__hip_bfloat16Li32ELi4ELi16ELi8ELi2ELi5EEviiiiiiPKT_S3_S3_PS1_ii,"axG",@progbits,_Z16wvSplitK_hf_big_I14__hip_bfloat16Li32ELi4ELi16ELi8ELi2ELi5EEviiiiiiPKT_S3_S3_PS1_ii,comdat
.Lfunc_end292:
	.size	_Z16wvSplitK_hf_big_I14__hip_bfloat16Li32ELi4ELi16ELi8ELi2ELi5EEviiiiiiPKT_S3_S3_PS1_ii, .Lfunc_end292-_Z16wvSplitK_hf_big_I14__hip_bfloat16Li32ELi4ELi16ELi8ELi2ELi5EEviiiiiiPKT_S3_S3_PS1_ii
                                        ; -- End function
	.section	.AMDGPU.csdata,"",@progbits
; Kernel info:
; codeLenInByte = 9468
; NumSgprs: 66
; NumVgprs: 180
; NumAgprs: 0
; TotalNumVgprs: 180
; ScratchSize: 0
; MemoryBound: 0
; FloatMode: 240
; IeeeMode: 1
; LDSByteSize: 65536 bytes/workgroup (compile time only)
; SGPRBlocks: 8
; VGPRBlocks: 22
; NumSGPRsForWavesPerEU: 66
; NumVGPRsForWavesPerEU: 180
; AccumOffset: 180
; Occupancy: 2
; WaveLimiterHint : 0
; COMPUTE_PGM_RSRC2:SCRATCH_EN: 0
; COMPUTE_PGM_RSRC2:USER_SGPR: 2
; COMPUTE_PGM_RSRC2:TRAP_HANDLER: 0
; COMPUTE_PGM_RSRC2:TGID_X_EN: 1
; COMPUTE_PGM_RSRC2:TGID_Y_EN: 0
; COMPUTE_PGM_RSRC2:TGID_Z_EN: 0
; COMPUTE_PGM_RSRC2:TIDIG_COMP_CNT: 1
; COMPUTE_PGM_RSRC3_GFX90A:ACCUM_OFFSET: 44
; COMPUTE_PGM_RSRC3_GFX90A:TG_SPLIT: 0
	.section	.text._Z16wvSplitK_hf_sml_I14__hip_bfloat16Li64ELi1ELi16ELi8ELi4ELi5EEviiiiiiPKT_S3_S3_PS1_ii,"axG",@progbits,_Z16wvSplitK_hf_sml_I14__hip_bfloat16Li64ELi1ELi16ELi8ELi4ELi5EEviiiiiiPKT_S3_S3_PS1_ii,comdat
	.protected	_Z16wvSplitK_hf_sml_I14__hip_bfloat16Li64ELi1ELi16ELi8ELi4ELi5EEviiiiiiPKT_S3_S3_PS1_ii ; -- Begin function _Z16wvSplitK_hf_sml_I14__hip_bfloat16Li64ELi1ELi16ELi8ELi4ELi5EEviiiiiiPKT_S3_S3_PS1_ii
	.globl	_Z16wvSplitK_hf_sml_I14__hip_bfloat16Li64ELi1ELi16ELi8ELi4ELi5EEviiiiiiPKT_S3_S3_PS1_ii
	.p2align	8
	.type	_Z16wvSplitK_hf_sml_I14__hip_bfloat16Li64ELi1ELi16ELi8ELi4ELi5EEviiiiiiPKT_S3_S3_PS1_ii,@function
_Z16wvSplitK_hf_sml_I14__hip_bfloat16Li64ELi1ELi16ELi8ELi4ELi5EEviiiiiiPKT_S3_S3_PS1_ii: ; @_Z16wvSplitK_hf_sml_I14__hip_bfloat16Li64ELi1ELi16ELi8ELi4ELi5EEviiiiiiPKT_S3_S3_PS1_ii
; %bb.0:
	s_load_dwordx4 s[4:7], s[0:1], 0x0
	s_load_dwordx2 s[8:9], s[0:1], 0x10
	s_load_dwordx2 s[10:11], s[0:1], 0x28
	v_and_b32_e32 v2, 0x3ff, v0
	v_bfe_u32 v3, v0, 10, 10
	v_lshlrev_b32_e32 v100, 3, v2
	s_waitcnt lgkmcnt(0)
	s_mul_i32 s3, s6, 5
	v_lshl_add_u32 v4, v3, 9, v100
	s_min_u32 s3, s3, 0x8000
	v_cmp_gt_u32_e32 vcc, s3, v4
	s_and_saveexec_b64 s[12:13], vcc
	s_cbranch_execz .LBB293_3
; %bb.1:
	s_load_dwordx2 s[14:15], s[0:1], 0x20
	v_mov_b32_e32 v7, 0
	v_lshlrev_b32_e32 v6, 10, v3
	v_lshlrev_b32_e32 v8, 4, v2
	v_mov_b32_e32 v9, v7
	v_lshl_add_u64 v[0:1], v[6:7], 0, v[8:9]
	s_waitcnt lgkmcnt(0)
	v_lshl_add_u64 v[0:1], s[14:15], 0, v[0:1]
	v_add_u32_e32 v5, v6, v8
	s_mov_b64 s[14:15], 0
	s_mov_b64 s[16:17], 0x4000
.LBB293_2:                              ; =>This Inner Loop Header: Depth=1
	global_load_dwordx4 v[6:9], v[0:1], off
	v_add_u32_e32 v4, 0x2000, v4
	v_cmp_le_u32_e32 vcc, s3, v4
	v_lshl_add_u64 v[0:1], v[0:1], 0, s[16:17]
	s_or_b64 s[14:15], vcc, s[14:15]
	s_waitcnt vmcnt(0)
	ds_write_b128 v5, v[6:9]
	v_add_u32_e32 v5, 0x4000, v5
	s_andn2_b64 exec, exec, s[14:15]
	s_cbranch_execnz .LBB293_2
.LBB293_3:
	s_or_b64 exec, exec, s[12:13]
	s_load_dwordx2 s[20:21], s[0:1], 0x38
	s_waitcnt lgkmcnt(0)
	s_barrier
	v_cmp_gt_u32_e32 vcc, s20, v3
	s_and_saveexec_b64 s[12:13], vcc
	s_cbranch_execz .LBB293_43
; %bb.4:
	s_mul_i32 s2, s2, s20
	v_add_u32_e32 v26, s2, v3
	v_cmp_gt_u32_e32 vcc, s7, v26
	s_and_b64 exec, exec, vcc
	s_cbranch_execz .LBB293_43
; %bb.5:
	s_cmp_lg_u32 s4, 0
	s_cselect_b64 s[2:3], -1, 0
	s_add_i32 s28, s4, -8
	s_add_i32 s29, s7, -1
	s_cmp_lg_u64 s[10:11], 0
	s_cselect_b64 s[18:19], -1, 0
	s_abs_i32 s22, s9
	v_cvt_f32_u32_e32 v0, s8
	v_cvt_f32_u32_e32 v1, s22
	s_mul_i32 s9, s21, s20
	s_sub_i32 s20, 0, s8
	v_rcp_iflag_f32_e32 v0, v0
	v_rcp_iflag_f32_e32 v1, v1
	s_load_dwordx2 s[12:13], s[0:1], 0x18
	s_load_dwordx2 s[14:15], s[0:1], 0x30
	v_cmp_eq_u32_e64 s[0:1], 63, v2
	v_mul_f32_e32 v0, 0x4f7ffffe, v0
	v_mul_f32_e32 v1, 0x4f7ffffe, v1
	v_cvt_u32_f32_e32 v0, v0
	v_cvt_u32_f32_e32 v1, v1
	s_mov_b64 s[16:17], 0
	v_mov_b32_e32 v103, 0
	v_mul_lo_u32 v3, s20, v0
	s_sub_i32 s20, 0, s22
	v_readfirstlane_b32 s21, v1
	s_mul_i32 s20, s20, s21
	s_mul_hi_u32 s20, s21, s20
	s_add_i32 s21, s21, s20
	s_sub_i32 s20, 1, s22
	s_cmp_lt_u32 s22, 2
	s_cselect_b32 s20, s20, 1
	s_sub_i32 s23, s20, s22
	s_cmp_ge_u32 s20, s22
	s_cselect_b32 s30, s23, s20
	s_lshr_b32 s20, s21, 31
	s_mul_i32 s20, s20, s22
	s_sub_i32 s20, 2, s20
	s_sub_i32 s23, s20, s22
	s_cmp_ge_u32 s20, s22
	s_cselect_b32 s20, s23, s20
	s_sub_i32 s23, s20, s22
	s_cmp_ge_u32 s20, s22
	s_cselect_b32 s31, s23, s20
	s_mul_hi_u32 s20, s21, 3
	s_mul_i32 s20, s20, s22
	s_sub_i32 s20, 3, s20
	s_sub_i32 s23, s20, s22
	s_cmp_ge_u32 s20, s22
	s_cselect_b32 s20, s23, s20
	s_sub_i32 s23, s20, s22
	s_cmp_ge_u32 s20, s22
	s_cselect_b32 s33, s23, s20
	s_lshr_b32 s20, s21, 30
	s_mul_i32 s20, s20, s22
	s_sub_i32 s20, 4, s20
	s_sub_i32 s21, s20, s22
	s_cmp_ge_u32 s20, s22
	v_mul_hi_u32 v3, v0, v3
	s_cselect_b32 s20, s21, s20
	v_add_u32_e32 v0, v0, v3
	s_sub_i32 s21, s20, s22
	scratch_store_dword off, v0, off offset:12 ; 4-byte Folded Spill
	s_cmp_ge_u32 s20, s22
	v_lshlrev_b32_e32 v0, 4, v2
	s_cselect_b32 s34, s21, s20
	scratch_store_dword off, v0, off offset:8 ; 4-byte Folded Spill
	v_cndmask_b32_e64 v0, 0, 1, s[2:3]
	s_mul_i32 s30, s30, s8
	s_mul_i32 s31, s31, s8
	;; [unrolled: 1-line block ×4, first 2 shown]
	s_lshl_b32 s35, s6, 3
	s_mul_i32 s36, s6, 6
	s_lshl_b32 s37, s6, 2
	s_lshl_b32 s6, s6, 1
	v_cmp_ne_u32_e64 s[2:3], 1, v0
	s_mov_b32 s38, 0x7f800000
	s_movk_i32 s39, 0x7fff
	s_branch .LBB293_8
.LBB293_6:                              ;   in Loop: Header=BB293_8 Depth=1
	s_or_b64 exec, exec, s[22:23]
	v_add_u32_e32 v102, s7, v102
	v_lshl_add_u64 v[2:3], v[102:103], 1, s[14:15]
	global_store_short_d16_hi v[2:3], v0, off
.LBB293_7:                              ;   in Loop: Header=BB293_8 Depth=1
	s_or_b64 exec, exec, s[20:21]
	s_waitcnt vmcnt(0)
	v_add_u32_e32 v26, s9, v26
	v_cmp_le_u32_e32 vcc, s7, v26
	s_or_b64 s[16:17], vcc, s[16:17]
	s_andn2_b64 exec, exec, s[16:17]
	s_cbranch_execz .LBB293_43
.LBB293_8:                              ; =>This Loop Header: Depth=1
                                        ;     Child Loop BB293_14 Depth 2
	s_and_b64 vcc, exec, s[2:3]
	v_mov_b32_e32 v3, v103
	v_mov_b32_e32 v2, v103
	v_mov_b32_e32 v1, v103
	v_mov_b32_e32 v0, v103
	v_mov_b32_e32 v7, v103
	v_mov_b32_e32 v6, v103
	v_mov_b32_e32 v5, v103
	v_mov_b32_e32 v4, v103
	v_mov_b32_e32 v11, v103
	v_mov_b32_e32 v10, v103
	v_mov_b32_e32 v9, v103
	v_mov_b32_e32 v8, v103
	v_mov_b32_e32 v15, v103
	v_mov_b32_e32 v14, v103
	v_mov_b32_e32 v13, v103
	v_mov_b32_e32 v12, v103
	v_mov_b32_e32 v19, v103
	v_mov_b32_e32 v18, v103
	v_mov_b32_e32 v17, v103
	v_mov_b32_e32 v16, v103
	s_cbranch_vccnz .LBB293_20
; %bb.9:                                ;   in Loop: Header=BB293_8 Depth=1
	scratch_load_dword v101, off, off offset:8 ; 4-byte Folded Reload
	v_mov_b32_e32 v0, v26
	scratch_store_dwordx2 off, v[0:1], off  ; 8-byte Folded Spill
	v_min_u32_e32 v0, s29, v26
	v_mul_lo_u32 v102, v0, s5
	v_mov_b32_e32 v16, 0
	s_waitcnt lgkmcnt(0)
	v_lshl_add_u64 v[104:105], v[102:103], 1, s[12:13]
	s_mov_b32 s40, 0
	v_mov_b32_e32 v17, v16
	v_mov_b32_e32 v18, v16
	;; [unrolled: 1-line block ×19, first 2 shown]
	s_branch .LBB293_14
.LBB293_10:                             ;   in Loop: Header=BB293_14 Depth=2
	s_or_b64 exec, exec, s[26:27]
.LBB293_11:                             ;   in Loop: Header=BB293_14 Depth=2
	s_or_b64 exec, exec, s[24:25]
.LBB293_12:                             ;   in Loop: Header=BB293_14 Depth=2
	s_or_b64 exec, exec, s[22:23]
.LBB293_13:                             ;   in Loop: Header=BB293_14 Depth=2
	s_or_b64 exec, exec, s[20:21]
	s_waitcnt vmcnt(3) lgkmcnt(1)
	v_mfma_f32_4x4x4_16b_bf16 v[16:19], v[80:81], v[32:33], v[16:19]
	s_addk_i32 s40, 0x800
	v_mfma_f32_4x4x4_16b_bf16 v[12:15], v[52:53], v[32:33], v[12:15]
	v_add_u32_e32 v101, 0x1000, v101
	v_mfma_f32_4x4x4_16b_bf16 v[8:11], v[108:109], v[32:33], v[8:11]
	s_cmp_ge_u32 s40, s4
	v_mfma_f32_4x4x4_16b_bf16 v[4:7], v[40:41], v[32:33], v[4:7]
	s_waitcnt lgkmcnt(0)
	v_mfma_f32_4x4x4_16b_bf16 v[0:3], v[36:37], v[32:33], v[0:3]
	v_mfma_f32_4x4x4_16b_bf16 v[16:19], v[82:83], v[34:35], v[16:19]
	v_mfma_f32_4x4x4_16b_bf16 v[12:15], v[54:55], v[34:35], v[12:15]
	v_mfma_f32_4x4x4_16b_bf16 v[8:11], v[106:107], v[34:35], v[8:11]
	v_mfma_f32_4x4x4_16b_bf16 v[4:7], v[42:43], v[34:35], v[4:7]
	v_mfma_f32_4x4x4_16b_bf16 v[0:3], v[38:39], v[34:35], v[0:3]
	s_waitcnt vmcnt(2)
	v_mfma_f32_4x4x4_16b_bf16 v[16:19], v[60:61], v[28:29], v[16:19]
	v_mfma_f32_4x4x4_16b_bf16 v[12:15], v[56:57], v[28:29], v[12:15]
	v_mfma_f32_4x4x4_16b_bf16 v[8:11], v[112:113], v[28:29], v[8:11]
	v_mfma_f32_4x4x4_16b_bf16 v[4:7], v[48:49], v[28:29], v[4:7]
	v_mfma_f32_4x4x4_16b_bf16 v[0:3], v[44:45], v[28:29], v[0:3]
	v_mfma_f32_4x4x4_16b_bf16 v[16:19], v[62:63], v[30:31], v[16:19]
	v_mfma_f32_4x4x4_16b_bf16 v[12:15], v[58:59], v[30:31], v[12:15]
	v_mfma_f32_4x4x4_16b_bf16 v[8:11], v[110:111], v[30:31], v[8:11]
	v_mfma_f32_4x4x4_16b_bf16 v[4:7], v[50:51], v[30:31], v[4:7]
	v_mfma_f32_4x4x4_16b_bf16 v[0:3], v[46:47], v[30:31], v[0:3]
	s_waitcnt vmcnt(1)
	v_mfma_f32_4x4x4_16b_bf16 v[16:19], v[64:65], v[24:25], v[16:19]
	v_mfma_f32_4x4x4_16b_bf16 v[12:15], v[68:69], v[24:25], v[12:15]
	v_mfma_f32_4x4x4_16b_bf16 v[8:11], v[114:115], v[24:25], v[8:11]
	v_mfma_f32_4x4x4_16b_bf16 v[4:7], v[72:73], v[24:25], v[4:7]
	;; [unrolled: 11-line block ×3, first 2 shown]
	v_mfma_f32_4x4x4_16b_bf16 v[0:3], v[92:93], v[20:21], v[0:3]
	v_mfma_f32_4x4x4_16b_bf16 v[16:19], v[86:87], v[22:23], v[16:19]
	;; [unrolled: 1-line block ×6, first 2 shown]
	s_cbranch_scc1 .LBB293_19
.LBB293_14:                             ;   Parent Loop BB293_8 Depth=1
                                        ; =>  This Inner Loop Header: Depth=2
	v_add_u32_e32 v40, s40, v100
	v_min_u32_e32 v102, s28, v40
	v_add_u32_e32 v122, 0x200, v40
	v_lshl_add_u64 v[20:21], v[102:103], 1, v[104:105]
	v_min_u32_e32 v102, s28, v122
	v_add_u32_e32 v126, 0x400, v40
	v_lshl_add_u64 v[22:23], v[102:103], 1, v[104:105]
	;; [unrolled: 3-line block ×3, first 2 shown]
	v_min_u32_e32 v102, s28, v125
	global_load_dwordx4 v[32:35], v[20:21], off nt
	global_load_dwordx4 v[28:31], v[22:23], off nt
	v_lshl_add_u64 v[38:39], v[102:103], 1, v[104:105]
	global_load_dwordx4 v[24:27], v[36:37], off nt
	global_load_dwordx4 v[20:23], v[38:39], off nt
	v_cmp_gt_u32_e32 vcc, s4, v40
	v_mov_b32_e32 v94, 0
	v_mov_b32_e32 v95, 0
	;; [unrolled: 1-line block ×80, first 2 shown]
	s_and_saveexec_b64 s[20:21], vcc
	s_cbranch_execz .LBB293_13
; %bb.15:                               ;   in Loop: Header=BB293_14 Depth=2
	s_waitcnt vmcnt(5)
	v_add_u32_e32 v102, s6, v101
	v_add_u32_e32 v123, s37, v101
	ds_read_b128 v[52:55], v102
	ds_read2_b32 v[108:109], v123 offset1:1
	v_add_u32_e32 v124, s36, v101
	ds_read2_b32 v[106:107], v123 offset0:2 offset1:3
	ds_read_b128 v[40:43], v124
	v_add_u32_e32 v127, s35, v101
	ds_read_b128 v[80:83], v101
	ds_read2_b64 v[36:39], v127 offset1:1
	v_cmp_gt_u32_e32 vcc, s4, v122
	v_mov_b32_e32 v61, 0
	v_mov_b32_e32 v60, 0
	;; [unrolled: 1-line block ×60, first 2 shown]
	s_and_saveexec_b64 s[22:23], vcc
	s_cbranch_execz .LBB293_12
; %bb.16:                               ;   in Loop: Header=BB293_14 Depth=2
	v_add_u32_e32 v44, 0x400, v123
	v_add_u32_e32 v45, 0x408, v123
	ds_read_b128 v[60:63], v101 offset:1024
	ds_read2_b32 v[110:111], v45 offset1:1
	ds_read_b128 v[56:59], v102 offset:1024
	ds_read_b128 v[48:51], v124 offset:1024
	ds_read2_b32 v[112:113], v44 offset1:1
	ds_read2_b64 v[44:47], v127 offset0:128 offset1:129
	v_cmp_gt_u32_e32 vcc, s4, v126
	v_mov_b32_e32 v65, 0
	v_mov_b32_e32 v64, 0
	;; [unrolled: 1-line block ×40, first 2 shown]
	s_and_saveexec_b64 s[24:25], vcc
	s_cbranch_execz .LBB293_11
; %bb.17:                               ;   in Loop: Header=BB293_14 Depth=2
	v_add_u32_e32 v64, 0x800, v123
	v_add_u32_e32 v65, 0x808, v123
	ds_read2_b32 v[114:115], v64 offset1:1
	ds_read2_b32 v[116:117], v65 offset1:1
	ds_read_b128 v[68:71], v102 offset:2048
	ds_read_b128 v[72:75], v124 offset:2048
	v_add_u32_e32 v76, 0x800, v127
	ds_read_b128 v[64:67], v101 offset:2048
	ds_read2_b64 v[76:79], v76 offset1:1
	v_cmp_gt_u32_e32 vcc, s4, v125
	v_mov_b32_e32 v85, 0
	v_mov_b32_e32 v84, 0
	;; [unrolled: 1-line block ×20, first 2 shown]
	s_and_saveexec_b64 s[26:27], vcc
	s_cbranch_execz .LBB293_10
; %bb.18:                               ;   in Loop: Header=BB293_14 Depth=2
	v_add_u32_e32 v84, 0xc00, v123
	v_add_u32_e32 v85, 0xc08, v123
	ds_read2_b32 v[118:119], v84 offset1:1
	ds_read2_b32 v[120:121], v85 offset1:1
	ds_read_b128 v[88:91], v102 offset:3072
	ds_read_b128 v[96:99], v124 offset:3072
	v_add_u32_e32 v92, 0xc00, v127
	ds_read_b128 v[84:87], v101 offset:3072
	ds_read2_b64 v[92:95], v92 offset1:1
	s_branch .LBB293_10
.LBB293_19:                             ;   in Loop: Header=BB293_8 Depth=1
	scratch_load_dwordx2 v[26:27], off, off ; 8-byte Folded Reload
.LBB293_20:                             ;   in Loop: Header=BB293_8 Depth=1
	; sched_barrier mask(0x00000000)
	v_cvt_i32_f32_e32 v17, v17
	v_cvt_i32_f32_e32 v18, v18
	;; [unrolled: 1-line block ×4, first 2 shown]
	v_cvt_f32_i32_dpp v17, v17 row_shl:1 row_mask:0xf bank_mask:0xf bound_ctrl:1
	v_cvt_f32_i32_dpp v18, v18 row_shl:2 row_mask:0xf bank_mask:0xf bound_ctrl:1
	;; [unrolled: 1-line block ×3, first 2 shown]
	v_cvt_i32_f32_e32 v14, v14
	v_add_f32_e32 v16, v16, v17
	v_add_f32_e32 v16, v16, v18
	;; [unrolled: 1-line block ×3, first 2 shown]
	v_cvt_i32_f32_e32 v17, v16
	v_cvt_i32_f32_e32 v18, v6
	;; [unrolled: 1-line block ×3, first 2 shown]
	v_cvt_f32_i32_dpp v13, v13 row_shl:1 row_mask:0xf bank_mask:0xf bound_ctrl:1
	v_cvt_f32_i32_dpp v17, v17 row_shl:4 row_mask:0xf bank_mask:0xf bound_ctrl:1
	v_cvt_f32_i32_dpp v14, v14 row_shl:2 row_mask:0xf bank_mask:0xf bound_ctrl:1
	v_cvt_f32_i32_dpp v15, v15 row_shl:3 row_mask:0xf bank_mask:0xf bound_ctrl:1
	v_cvt_i32_f32_e32 v9, v9
	v_add_f32_e32 v6, v16, v17
	v_cvt_i32_f32_e32 v16, v6
	v_add_f32_e32 v12, v12, v13
	v_add_f32_e32 v12, v12, v14
	v_add_f32_e32 v12, v12, v15
	v_cvt_f32_i32_dpp v16, v16 row_shl:8 row_mask:0xf bank_mask:0xf bound_ctrl:1
	v_cvt_i32_f32_e32 v10, v10
	v_cvt_i32_f32_e32 v13, v12
	;; [unrolled: 1-line block ×3, first 2 shown]
	v_add_f32_e32 v6, v6, v16
	v_cvt_i32_f32_e32 v6, v6
	v_cvt_f32_i32_dpp v9, v9 row_shl:1 row_mask:0xf bank_mask:0xf bound_ctrl:1
	v_cvt_f32_i32_dpp v10, v10 row_shl:2 row_mask:0xf bank_mask:0xf bound_ctrl:1
	;; [unrolled: 1-line block ×3, first 2 shown]
	v_cvt_f32_i32_dpp v6, v6 row_shr:15 row_mask:0xf bank_mask:0xf bound_ctrl:1
	v_cvt_f32_i32_dpp v11, v11 row_shl:3 row_mask:0xf bank_mask:0xf bound_ctrl:1
	v_add_f32_e32 v8, v8, v9
	v_add_f32_e32 v8, v8, v10
	v_cvt_i32_f32_e32 v9, v6
	v_add_f32_e32 v10, v12, v13
	v_cvt_i32_f32_e32 v12, v10
	v_add_f32_e32 v11, v8, v11
	v_cvt_f32_i32_dpp v9, v9 row_bcast:15 row_mask:0xf bank_mask:0xf bound_ctrl:1
	v_cvt_i32_f32_e32 v8, v11
	v_cvt_i32_f32_e32 v5, v5
	v_cvt_f32_i32_dpp v12, v12 row_shl:8 row_mask:0xf bank_mask:0xf bound_ctrl:1
	v_add_f32_e32 v6, v6, v9
	v_cvt_i32_f32_e32 v1, v1
	v_cvt_i32_f32_e32 v9, v6
	v_cvt_f32_i32_dpp v13, v8 row_shl:4 row_mask:0xf bank_mask:0xf bound_ctrl:1
	v_cvt_i32_f32_e32 v2, v2
	v_cvt_f32_i32_dpp v5, v5 row_shl:1 row_mask:0xf bank_mask:0xf bound_ctrl:1
	v_cvt_i32_f32_e32 v7, v7
	v_cvt_i32_f32_e32 v3, v3
	v_add_f32_e32 v8, v10, v12
	v_cvt_f32_i32_dpp v1, v1 row_shl:1 row_mask:0xf bank_mask:0xf bound_ctrl:1
	v_cvt_i32_f32_e32 v10, v8
	v_mov_b32_dpp v8, v9 row_bcast:31 row_mask:0xf bank_mask:0xf bound_ctrl:1
	v_add_f32_e32 v9, v11, v13
	v_cvt_f32_i32_dpp v11, v18 row_shl:2 row_mask:0xf bank_mask:0xf bound_ctrl:1
	v_cvt_f32_i32_dpp v2, v2 row_shl:2 row_mask:0xf bank_mask:0xf bound_ctrl:1
	v_add_f32_e32 v4, v4, v5
	v_cvt_f32_i32_dpp v5, v7 row_shl:3 row_mask:0xf bank_mask:0xf bound_ctrl:1
	v_cvt_f32_i32_dpp v3, v3 row_shl:3 row_mask:0xf bank_mask:0xf bound_ctrl:1
	v_add_f32_e32 v0, v0, v1
	v_add_f32_e32 v4, v4, v11
	;; [unrolled: 1-line block ×5, first 2 shown]
	v_cvt_i32_f32_e32 v5, v4
	v_cvt_i32_f32_e32 v1, v0
	;; [unrolled: 1-line block ×3, first 2 shown]
	v_cvt_f32_i32_dpp v3, v5 row_shl:4 row_mask:0xf bank_mask:0xf bound_ctrl:1
	v_cvt_f32_i32_dpp v1, v1 row_shl:4 row_mask:0xf bank_mask:0xf bound_ctrl:1
	;; [unrolled: 1-line block ×3, first 2 shown]
	v_cvt_f32_i32_dpp v5, v10 row_shr:15 row_mask:0xf bank_mask:0xf bound_ctrl:1
	v_add_f32_e32 v3, v4, v3
	v_add_f32_e32 v0, v0, v1
	v_cvt_i32_f32_e32 v4, v3
	v_cvt_i32_f32_e32 v1, v0
	v_add_f32_e32 v2, v9, v2
	v_cvt_i32_f32_e32 v2, v2
	v_cvt_f32_i32_dpp v4, v4 row_shl:8 row_mask:0xf bank_mask:0xf bound_ctrl:1
	v_cvt_f32_i32_dpp v1, v1 row_shl:8 row_mask:0xf bank_mask:0xf bound_ctrl:1
	v_cvt_i32_f32_e32 v7, v5
	v_cvt_f32_i32_dpp v2, v2 row_shr:15 row_mask:0xf bank_mask:0xf bound_ctrl:1
	v_add_f32_e32 v3, v3, v4
	v_add_f32_e32 v0, v0, v1
	v_cvt_i32_f32_e32 v3, v3
	v_cvt_i32_f32_e32 v0, v0
	v_cvt_f32_i32_dpp v1, v7 row_bcast:15 row_mask:0xf bank_mask:0xf bound_ctrl:1
	v_cvt_i32_f32_e32 v4, v2
	v_cvt_f32_i32_dpp v3, v3 row_shr:15 row_mask:0xf bank_mask:0xf bound_ctrl:1
	v_cvt_f32_i32_dpp v0, v0 row_shr:15 row_mask:0xf bank_mask:0xf bound_ctrl:1
	v_add_f32_e32 v10, v5, v1
	v_cvt_f32_i32_dpp v4, v4 row_bcast:15 row_mask:0xf bank_mask:0xf bound_ctrl:1
	v_cvt_i32_f32_e32 v1, v3
	v_cvt_i32_f32_e32 v7, v0
	;; [unrolled: 1-line block ×3, first 2 shown]
	v_add_f32_e32 v5, v2, v4
	v_cvt_f32_i32_dpp v1, v1 row_bcast:15 row_mask:0xf bank_mask:0xf bound_ctrl:1
	v_cvt_f32_i32_dpp v4, v7 row_bcast:15 row_mask:0xf bank_mask:0xf bound_ctrl:1
	v_cvt_i32_f32_e32 v7, v5
	v_mov_b32_dpp v11, v9 row_bcast:31 row_mask:0xf bank_mask:0xf bound_ctrl:1
	v_add_f32_e32 v2, v3, v1
	v_add_f32_e32 v0, v0, v4
	v_cvt_i32_f32_e32 v1, v2
	v_cvt_i32_f32_e32 v4, v0
	v_mov_b32_dpp v7, v7 row_bcast:31 row_mask:0xf bank_mask:0xf bound_ctrl:1
	v_mov_b32_dpp v3, v1 row_bcast:31 row_mask:0xf bank_mask:0xf bound_ctrl:1
	;; [unrolled: 1-line block ×3, first 2 shown]
	s_and_saveexec_b64 s[20:21], s[0:1]
	s_cbranch_execz .LBB293_7
; %bb.21:                               ;   in Loop: Header=BB293_8 Depth=1
	s_andn2_b64 vcc, exec, s[18:19]
	v_mov_b32_e32 v14, 0
	v_mov_b32_e32 v13, 0
	v_mov_b32_e32 v12, 0
	v_mov_b32_e32 v9, 0
	v_mov_b32_e32 v4, 0
	s_cbranch_vccnz .LBB293_23
; %bb.22:                               ;   in Loop: Header=BB293_8 Depth=1
	scratch_load_dword v4, off, off offset:12 ; 4-byte Folded Reload
	v_mov_b32_e32 v13, v103
	s_waitcnt vmcnt(0)
	v_mul_hi_u32 v4, v26, v4
	v_mul_lo_u32 v4, v4, s8
	v_sub_u32_e32 v4, v26, v4
	v_subrev_u32_e32 v9, s8, v4
	v_cmp_le_u32_e32 vcc, s8, v4
	s_nop 1
	v_cndmask_b32_e32 v4, v4, v9, vcc
	v_subrev_u32_e32 v9, s8, v4
	v_cmp_le_u32_e32 vcc, s8, v4
	s_nop 1
	v_cndmask_b32_e32 v102, v4, v9, vcc
	v_add_u32_e32 v12, s30, v102
	v_lshl_add_u64 v[18:19], v[12:13], 1, s[10:11]
	v_add_u32_e32 v12, s31, v102
	v_lshl_add_u64 v[16:17], v[102:103], 1, s[10:11]
	v_lshl_add_u64 v[20:21], v[12:13], 1, s[10:11]
	v_add_u32_e32 v12, s33, v102
	v_add_u32_e32 v102, s34, v102
	v_lshl_add_u64 v[22:23], v[12:13], 1, s[10:11]
	v_lshl_add_u64 v[24:25], v[102:103], 1, s[10:11]
	global_load_ushort v14, v[16:17], off
	global_load_ushort v13, v[18:19], off
	;; [unrolled: 1-line block ×5, first 2 shown]
.LBB293_23:                             ;   in Loop: Header=BB293_8 Depth=1
	v_cvt_f32_i32_e32 v8, v8
	v_add_f32_e32 v6, v6, v8
	s_waitcnt vmcnt(4)
	v_lshlrev_b32_e32 v8, 16, v14
	v_add_f32_e32 v8, v6, v8
	v_and_b32_e32 v6, 0x7f800000, v8
	v_cmp_ne_u32_e32 vcc, s38, v6
                                        ; implicit-def: $vgpr6
	s_and_saveexec_b64 s[22:23], vcc
	s_xor_b64 s[22:23], exec, s[22:23]
; %bb.24:                               ;   in Loop: Header=BB293_8 Depth=1
	v_bfe_u32 v6, v8, 16, 1
	v_add3_u32 v6, v8, v6, s39
                                        ; implicit-def: $vgpr8
; %bb.25:                               ;   in Loop: Header=BB293_8 Depth=1
	s_andn2_saveexec_b64 s[22:23], s[22:23]
; %bb.26:                               ;   in Loop: Header=BB293_8 Depth=1
	v_or_b32_e32 v6, 0x10000, v8
	v_cmp_eq_u32_sdwa vcc, v8, v103 src0_sel:WORD_0 src1_sel:DWORD
	s_nop 1
	v_cndmask_b32_e32 v6, v6, v8, vcc
; %bb.27:                               ;   in Loop: Header=BB293_8 Depth=1
	s_or_b64 exec, exec, s[22:23]
	v_cvt_f32_i32_e32 v8, v11
	s_waitcnt vmcnt(0)
	v_mov_b32_e32 v27, v103
	s_waitcnt lgkmcnt(0)
	v_lshl_add_u64 v[14:15], v[26:27], 1, s[14:15]
	global_store_short_d16_hi v[14:15], v6, off
	v_add_f32_e32 v6, v10, v8
	v_lshlrev_b32_e32 v8, 16, v13
	v_add_f32_e32 v8, v6, v8
	v_and_b32_e32 v6, 0x7f800000, v8
	v_cmp_ne_u32_e32 vcc, s38, v6
                                        ; implicit-def: $vgpr6
	s_and_saveexec_b64 s[22:23], vcc
	s_xor_b64 s[22:23], exec, s[22:23]
; %bb.28:                               ;   in Loop: Header=BB293_8 Depth=1
	v_bfe_u32 v6, v8, 16, 1
	v_add3_u32 v6, v8, v6, s39
                                        ; implicit-def: $vgpr8
; %bb.29:                               ;   in Loop: Header=BB293_8 Depth=1
	s_andn2_saveexec_b64 s[22:23], s[22:23]
; %bb.30:                               ;   in Loop: Header=BB293_8 Depth=1
	v_or_b32_e32 v6, 0x10000, v8
	v_cmp_eq_u32_sdwa vcc, v8, v103 src0_sel:WORD_0 src1_sel:DWORD
	s_nop 1
	v_cndmask_b32_e32 v6, v6, v8, vcc
; %bb.31:                               ;   in Loop: Header=BB293_8 Depth=1
	s_or_b64 exec, exec, s[22:23]
	v_cvt_f32_i32_e32 v7, v7
	v_add_u32_e32 v102, s7, v26
	v_lshl_add_u64 v[10:11], v[102:103], 1, s[14:15]
	global_store_short_d16_hi v[10:11], v6, off
	v_add_f32_e32 v5, v5, v7
	v_lshlrev_b32_e32 v6, 16, v12
	v_add_f32_e32 v6, v5, v6
	v_and_b32_e32 v5, 0x7f800000, v6
	v_cmp_ne_u32_e32 vcc, s38, v5
                                        ; implicit-def: $vgpr5
	s_and_saveexec_b64 s[22:23], vcc
	s_xor_b64 s[22:23], exec, s[22:23]
; %bb.32:                               ;   in Loop: Header=BB293_8 Depth=1
	v_bfe_u32 v5, v6, 16, 1
	v_add3_u32 v5, v6, v5, s39
                                        ; implicit-def: $vgpr6
; %bb.33:                               ;   in Loop: Header=BB293_8 Depth=1
	s_andn2_saveexec_b64 s[22:23], s[22:23]
; %bb.34:                               ;   in Loop: Header=BB293_8 Depth=1
	v_or_b32_e32 v5, 0x10000, v6
	v_cmp_eq_u32_sdwa vcc, v6, v103 src0_sel:WORD_0 src1_sel:DWORD
	s_nop 1
	v_cndmask_b32_e32 v5, v5, v6, vcc
; %bb.35:                               ;   in Loop: Header=BB293_8 Depth=1
	s_or_b64 exec, exec, s[22:23]
	v_cvt_f32_i32_e32 v3, v3
	v_add_u32_e32 v102, s7, v102
	v_lshl_add_u64 v[6:7], v[102:103], 1, s[14:15]
	global_store_short_d16_hi v[6:7], v5, off
	v_add_f32_e32 v2, v2, v3
	v_lshlrev_b32_e32 v3, 16, v9
	v_add_f32_e32 v3, v2, v3
	v_and_b32_e32 v2, 0x7f800000, v3
	v_cmp_ne_u32_e32 vcc, s38, v2
                                        ; implicit-def: $vgpr2
	s_and_saveexec_b64 s[22:23], vcc
	s_xor_b64 s[22:23], exec, s[22:23]
; %bb.36:                               ;   in Loop: Header=BB293_8 Depth=1
	v_bfe_u32 v2, v3, 16, 1
	v_add3_u32 v2, v3, v2, s39
                                        ; implicit-def: $vgpr3
; %bb.37:                               ;   in Loop: Header=BB293_8 Depth=1
	s_andn2_saveexec_b64 s[22:23], s[22:23]
; %bb.38:                               ;   in Loop: Header=BB293_8 Depth=1
	v_or_b32_e32 v2, 0x10000, v3
	v_cmp_eq_u32_sdwa vcc, v3, v103 src0_sel:WORD_0 src1_sel:DWORD
	s_nop 1
	v_cndmask_b32_e32 v2, v2, v3, vcc
; %bb.39:                               ;   in Loop: Header=BB293_8 Depth=1
	s_or_b64 exec, exec, s[22:23]
	v_cvt_f32_i32_e32 v1, v1
	v_add_u32_e32 v102, s7, v102
	v_lshl_add_u64 v[6:7], v[102:103], 1, s[14:15]
	global_store_short_d16_hi v[6:7], v2, off
	v_add_f32_e32 v0, v0, v1
	v_lshlrev_b32_e32 v1, 16, v4
	v_add_f32_e32 v1, v0, v1
	v_and_b32_e32 v0, 0x7f800000, v1
	v_cmp_ne_u32_e32 vcc, s38, v0
                                        ; implicit-def: $vgpr0
	s_and_saveexec_b64 s[22:23], vcc
	s_xor_b64 s[22:23], exec, s[22:23]
; %bb.40:                               ;   in Loop: Header=BB293_8 Depth=1
	v_bfe_u32 v0, v1, 16, 1
	v_add3_u32 v0, v1, v0, s39
                                        ; implicit-def: $vgpr1
; %bb.41:                               ;   in Loop: Header=BB293_8 Depth=1
	s_andn2_saveexec_b64 s[22:23], s[22:23]
	s_cbranch_execz .LBB293_6
; %bb.42:                               ;   in Loop: Header=BB293_8 Depth=1
	v_or_b32_e32 v0, 0x10000, v1
	v_cmp_eq_u32_sdwa vcc, v1, v103 src0_sel:WORD_0 src1_sel:DWORD
	s_nop 1
	v_cndmask_b32_e32 v0, v0, v1, vcc
	s_branch .LBB293_6
.LBB293_43:
	s_endpgm
	.section	.rodata,"a",@progbits
	.p2align	6, 0x0
	.amdhsa_kernel _Z16wvSplitK_hf_sml_I14__hip_bfloat16Li64ELi1ELi16ELi8ELi4ELi5EEviiiiiiPKT_S3_S3_PS1_ii
		.amdhsa_group_segment_fixed_size 65536
		.amdhsa_private_segment_fixed_size 20
		.amdhsa_kernarg_size 64
		.amdhsa_user_sgpr_count 2
		.amdhsa_user_sgpr_dispatch_ptr 0
		.amdhsa_user_sgpr_queue_ptr 0
		.amdhsa_user_sgpr_kernarg_segment_ptr 1
		.amdhsa_user_sgpr_dispatch_id 0
		.amdhsa_user_sgpr_kernarg_preload_length 0
		.amdhsa_user_sgpr_kernarg_preload_offset 0
		.amdhsa_user_sgpr_private_segment_size 0
		.amdhsa_uses_dynamic_stack 0
		.amdhsa_enable_private_segment 1
		.amdhsa_system_sgpr_workgroup_id_x 1
		.amdhsa_system_sgpr_workgroup_id_y 0
		.amdhsa_system_sgpr_workgroup_id_z 0
		.amdhsa_system_sgpr_workgroup_info 0
		.amdhsa_system_vgpr_workitem_id 1
		.amdhsa_next_free_vgpr 128
		.amdhsa_next_free_sgpr 41
		.amdhsa_accum_offset 128
		.amdhsa_reserve_vcc 1
		.amdhsa_float_round_mode_32 0
		.amdhsa_float_round_mode_16_64 0
		.amdhsa_float_denorm_mode_32 3
		.amdhsa_float_denorm_mode_16_64 3
		.amdhsa_dx10_clamp 1
		.amdhsa_ieee_mode 1
		.amdhsa_fp16_overflow 0
		.amdhsa_tg_split 0
		.amdhsa_exception_fp_ieee_invalid_op 0
		.amdhsa_exception_fp_denorm_src 0
		.amdhsa_exception_fp_ieee_div_zero 0
		.amdhsa_exception_fp_ieee_overflow 0
		.amdhsa_exception_fp_ieee_underflow 0
		.amdhsa_exception_fp_ieee_inexact 0
		.amdhsa_exception_int_div_zero 0
	.end_amdhsa_kernel
	.section	.text._Z16wvSplitK_hf_sml_I14__hip_bfloat16Li64ELi1ELi16ELi8ELi4ELi5EEviiiiiiPKT_S3_S3_PS1_ii,"axG",@progbits,_Z16wvSplitK_hf_sml_I14__hip_bfloat16Li64ELi1ELi16ELi8ELi4ELi5EEviiiiiiPKT_S3_S3_PS1_ii,comdat
.Lfunc_end293:
	.size	_Z16wvSplitK_hf_sml_I14__hip_bfloat16Li64ELi1ELi16ELi8ELi4ELi5EEviiiiiiPKT_S3_S3_PS1_ii, .Lfunc_end293-_Z16wvSplitK_hf_sml_I14__hip_bfloat16Li64ELi1ELi16ELi8ELi4ELi5EEviiiiiiPKT_S3_S3_PS1_ii
                                        ; -- End function
	.section	.AMDGPU.csdata,"",@progbits
; Kernel info:
; codeLenInByte = 3828
; NumSgprs: 47
; NumVgprs: 128
; NumAgprs: 0
; TotalNumVgprs: 128
; ScratchSize: 20
; MemoryBound: 0
; FloatMode: 240
; IeeeMode: 1
; LDSByteSize: 65536 bytes/workgroup (compile time only)
; SGPRBlocks: 5
; VGPRBlocks: 15
; NumSGPRsForWavesPerEU: 47
; NumVGPRsForWavesPerEU: 128
; AccumOffset: 128
; Occupancy: 4
; WaveLimiterHint : 0
; COMPUTE_PGM_RSRC2:SCRATCH_EN: 1
; COMPUTE_PGM_RSRC2:USER_SGPR: 2
; COMPUTE_PGM_RSRC2:TRAP_HANDLER: 0
; COMPUTE_PGM_RSRC2:TGID_X_EN: 1
; COMPUTE_PGM_RSRC2:TGID_Y_EN: 0
; COMPUTE_PGM_RSRC2:TGID_Z_EN: 0
; COMPUTE_PGM_RSRC2:TIDIG_COMP_CNT: 1
; COMPUTE_PGM_RSRC3_GFX90A:ACCUM_OFFSET: 31
; COMPUTE_PGM_RSRC3_GFX90A:TG_SPLIT: 0
	.section	.text._Z12wvSplitK_hf_I14__hip_bfloat16Li64ELi1ELi16ELi8ELi4ELi5EEviiiiiiPKT_S3_S3_PS1_ii,"axG",@progbits,_Z12wvSplitK_hf_I14__hip_bfloat16Li64ELi1ELi16ELi8ELi4ELi5EEviiiiiiPKT_S3_S3_PS1_ii,comdat
	.protected	_Z12wvSplitK_hf_I14__hip_bfloat16Li64ELi1ELi16ELi8ELi4ELi5EEviiiiiiPKT_S3_S3_PS1_ii ; -- Begin function _Z12wvSplitK_hf_I14__hip_bfloat16Li64ELi1ELi16ELi8ELi4ELi5EEviiiiiiPKT_S3_S3_PS1_ii
	.globl	_Z12wvSplitK_hf_I14__hip_bfloat16Li64ELi1ELi16ELi8ELi4ELi5EEviiiiiiPKT_S3_S3_PS1_ii
	.p2align	8
	.type	_Z12wvSplitK_hf_I14__hip_bfloat16Li64ELi1ELi16ELi8ELi4ELi5EEviiiiiiPKT_S3_S3_PS1_ii,@function
_Z12wvSplitK_hf_I14__hip_bfloat16Li64ELi1ELi16ELi8ELi4ELi5EEviiiiiiPKT_S3_S3_PS1_ii: ; @_Z12wvSplitK_hf_I14__hip_bfloat16Li64ELi1ELi16ELi8ELi4ELi5EEviiiiiiPKT_S3_S3_PS1_ii
; %bb.0:
	s_load_dwordx2 s[4:5], s[0:1], 0x38
	s_load_dwordx4 s[8:11], s[0:1], 0x0
	s_load_dwordx2 s[16:17], s[0:1], 0x10
	v_bfe_u32 v3, v0, 10, 10
	v_mov_b32_e32 v26, 1
	s_waitcnt lgkmcnt(0)
	s_mul_i32 s2, s2, s4
	v_add_u32_e32 v28, s2, v3
	v_add_u32_e32 v1, 1, v28
	v_cmp_gt_u32_e32 vcc, s11, v28
	v_cmp_le_u32_e64 s[2:3], s11, v1
	s_and_b64 s[6:7], vcc, s[2:3]
	s_and_saveexec_b64 s[2:3], s[6:7]
; %bb.1:
	v_subrev_u32_e32 v1, s11, v28
	v_cmp_eq_u32_e32 vcc, -1, v1
	s_add_i32 s6, s11, -1
	v_mov_b32_e32 v28, s6
	v_cndmask_b32_e64 v26, 0, 1, vcc
; %bb.2:
	s_or_b64 exec, exec, s[2:3]
	s_load_dwordx4 s[12:15], s[0:1], 0x20
	v_and_b32_e32 v2, 0x3ff, v0
	v_lshlrev_b32_e32 v4, 3, v2
	s_mul_i32 s2, s10, 5
	v_mov_b32_e32 v0, v4
	v_lshl_add_u32 v4, v3, 9, v4
	s_min_u32 s20, s2, 0x8000
	v_cmp_gt_u32_e32 vcc, s20, v4
	scratch_store_dwordx2 off, v[0:1], off offset:40 ; 8-byte Folded Spill
	s_and_saveexec_b64 s[2:3], vcc
	s_cbranch_execz .LBB294_5
; %bb.3:
	v_mov_b32_e32 v7, 0
	v_lshlrev_b32_e32 v6, 10, v3
	v_lshlrev_b32_e32 v8, 4, v2
	v_mov_b32_e32 v9, v7
	v_lshl_add_u64 v[0:1], v[6:7], 0, v[8:9]
	s_waitcnt lgkmcnt(0)
	v_lshl_add_u64 v[0:1], s[12:13], 0, v[0:1]
	v_add_u32_e32 v5, v6, v8
	s_mov_b64 s[6:7], 0
	s_mov_b64 s[18:19], 0x4000
.LBB294_4:                              ; =>This Inner Loop Header: Depth=1
	global_load_dwordx4 v[6:9], v[0:1], off
	v_add_u32_e32 v4, 0x2000, v4
	v_cmp_le_u32_e32 vcc, s20, v4
	v_lshl_add_u64 v[0:1], v[0:1], 0, s[18:19]
	s_or_b64 s[6:7], vcc, s[6:7]
	s_waitcnt vmcnt(0)
	ds_write_b128 v5, v[6:9]
	v_add_u32_e32 v5, 0x4000, v5
	s_andn2_b64 exec, exec, s[6:7]
	s_cbranch_execnz .LBB294_4
.LBB294_5:
	s_or_b64 exec, exec, s[2:3]
	v_cmp_gt_u32_e32 vcc, s4, v3
	v_cmp_gt_u32_e64 s[2:3], s11, v28
	s_and_b64 s[2:3], vcc, s[2:3]
	s_waitcnt lgkmcnt(0)
	s_barrier
	s_and_saveexec_b64 s[6:7], s[2:3]
	s_cbranch_execz .LBB294_126
; %bb.6:
	s_cmp_lg_u32 s8, 0
	v_cvt_f32_u32_e32 v0, s16
	s_cselect_b64 s[2:3], -1, 0
	s_add_i32 s33, s8, -8
	s_add_i32 s38, s11, -1
	s_cmp_lg_u64 s[14:15], 0
	s_cselect_b64 s[24:25], -1, 0
	s_mul_i32 s39, s5, s4
	s_abs_i32 s4, s17
	v_rcp_iflag_f32_e32 v0, v0
	v_cvt_f32_u32_e32 v1, s4
	s_sub_i32 s5, 0, s16
	s_load_dwordx2 s[18:19], s[0:1], 0x18
	s_load_dwordx2 s[20:21], s[0:1], 0x30
	v_mul_f32_e32 v0, 0x4f7ffffe, v0
	v_rcp_iflag_f32_e32 v1, v1
	v_cvt_u32_f32_e32 v0, v0
	s_sub_i32 s40, s39, s11
	s_add_i32 s40, s40, 2
	v_mul_f32_e32 v1, 0x4f7ffffe, v1
	v_mul_lo_u32 v3, s5, v0
	v_cvt_u32_f32_e32 v1, v1
	v_mul_hi_u32 v3, v0, v3
	v_add_u32_e32 v0, v0, v3
	scratch_store_dword off, v0, off offset:68 ; 4-byte Folded Spill
	v_lshlrev_b32_e32 v0, 4, v2
	v_readfirstlane_b32 s6, v1
	scratch_store_dword off, v0, off offset:64 ; 4-byte Folded Spill
	scratch_load_dwordx2 v[0:1], off, off offset:40 ; 8-byte Folded Reload
	s_sub_i32 s5, 0, s4
	s_mul_i32 s5, s5, s6
	s_mul_hi_u32 s5, s6, s5
	s_lshl_b32 s41, s10, 1
	s_lshl_b32 s17, s10, 2
	s_add_i32 s6, s6, s5
	s_sub_i32 s5, 1, s4
	s_cmp_lt_u32 s4, 2
	s_cselect_b32 s5, s5, 1
	s_sub_i32 s7, s5, s4
	s_cmp_ge_u32 s5, s4
	s_cselect_b32 s42, s7, s5
	s_lshr_b32 s5, s6, 31
	s_mul_i32 s5, s5, s4
	s_sub_i32 s5, 2, s5
	s_sub_i32 s7, s5, s4
	s_cmp_ge_u32 s5, s4
	s_cselect_b32 s5, s7, s5
	s_sub_i32 s7, s5, s4
	s_cmp_ge_u32 s5, s4
	s_cselect_b32 s43, s7, s5
	s_mul_hi_u32 s5, s6, 3
	s_mul_i32 s5, s5, s4
	s_sub_i32 s5, 3, s5
	s_sub_i32 s7, s5, s4
	s_cmp_ge_u32 s5, s4
	s_cselect_b32 s5, s7, s5
	s_sub_i32 s7, s5, s4
	s_cmp_ge_u32 s5, s4
	s_cselect_b32 s44, s7, s5
	s_lshr_b32 s5, s6, 30
	s_mul_i32 s5, s5, s4
	s_sub_i32 s5, 4, s5
	s_sub_i32 s6, s5, s4
	s_cmp_ge_u32 s5, s4
	s_cselect_b32 s5, s6, s5
	s_sub_i32 s6, s5, s4
	s_cmp_ge_u32 s5, s4
	v_cmp_eq_u32_e64 s[0:1], 63, v2
	s_cselect_b32 s45, s6, s5
	s_mov_b64 s[22:23], 0
	v_mov_b32_e32 v117, 0
	s_mul_i32 s42, s42, s16
	s_mul_i32 s43, s43, s16
	;; [unrolled: 1-line block ×4, first 2 shown]
	s_lshl_b32 s46, s10, 3
	s_mul_i32 s47, s10, 6
	s_mov_b32 s48, 0x7f800000
	s_mov_b32 s26, 0
	s_waitcnt vmcnt(0)
	v_add_u32_e32 v127, s41, v0
	v_mad_u64_u32 v[2:3], s[4:5], s10, 3, v[0:1]
	v_add_u32_e32 v125, s17, v0
	v_add_u32_e32 v121, s10, v0
	v_cndmask_b32_e64 v0, 0, 1, s[2:3]
	v_cmp_ne_u32_e64 s[2:3], 1, v0
	s_movk_i32 s10, 0x7fff
	scratch_store_dwordx2 off, v[2:3], off offset:48 ; 8-byte Folded Spill
	s_branch .LBB294_9
.LBB294_7:                              ;   in Loop: Header=BB294_9 Depth=1
	s_or_b64 exec, exec, s[6:7]
	v_add_u32_e32 v116, s11, v116
	v_lshl_add_u64 v[2:3], v[116:117], 1, s[20:21]
	global_store_short_d16_hi v[2:3], v0, off
.LBB294_8:                              ;   in Loop: Header=BB294_9 Depth=1
	s_or_b64 exec, exec, s[4:5]
	s_waitcnt vmcnt(0)
	v_add_u32_e32 v0, s39, v28
	v_add_u32_e32 v1, 1, v0
	v_cmp_le_u32_e32 vcc, s11, v0
	v_cmp_gt_u32_e64 s[4:5], s11, v1
	v_add_u32_e32 v1, s40, v28
	v_cmp_eq_u32_e64 s[6:7], 1, v1
	v_mov_b32_e32 v1, s38
	s_or_b64 vcc, vcc, s[4:5]
	v_cndmask_b32_e32 v28, v1, v0, vcc
	v_cmp_le_u32_e64 s[4:5], s11, v28
	s_or_b64 vcc, vcc, s[6:7]
	s_or_b64 s[22:23], s[4:5], s[22:23]
	v_cndmask_b32_e32 v26, 0, v26, vcc
	s_andn2_b64 exec, exec, s[22:23]
	s_cbranch_execz .LBB294_126
.LBB294_9:                              ; =>This Loop Header: Depth=1
                                        ;     Child Loop BB294_11 Depth 2
	s_and_b64 vcc, exec, s[2:3]
	v_mov_b32_e32 v23, v117
	v_mov_b32_e32 v22, v117
	;; [unrolled: 1-line block ×20, first 2 shown]
	s_cbranch_vccnz .LBB294_102
; %bb.10:                               ;   in Loop: Header=BB294_9 Depth=1
	scratch_load_dword v4, off, off offset:64 ; 4-byte Folded Reload
	v_mov_b32_e32 v0, v28
	scratch_store_dwordx2 off, v[0:1], off offset:56 ; 8-byte Folded Spill
	v_min_u32_e32 v0, s38, v28
	v_mul_lo_u32 v116, v0, s9
	s_waitcnt lgkmcnt(0)
	v_lshl_add_u64 v[0:1], v[116:117], 1, s[18:19]
	v_mov_b32_e32 v16, 0
	v_mov_b32_e32 v5, v26
	scratch_store_dwordx2 off, v[0:1], off offset:32 ; 8-byte Folded Spill
	s_mov_b32 s4, 0
	s_mov_b32 s49, 0
	v_mov_b32_e32 v17, v16
	v_mov_b32_e32 v18, v16
	;; [unrolled: 1-line block ×15, first 2 shown]
	scratch_store_dwordx4 off, v[0:3], off offset:16 ; 16-byte Folded Spill
	scratch_store_dwordx4 off, v[0:3], off  ; 16-byte Folded Spill
.LBB294_11:                             ;   Parent Loop BB294_9 Depth=1
                                        ; =>  This Inner Loop Header: Depth=2
	scratch_load_dwordx2 v[0:1], off, off offset:40 ; 8-byte Folded Reload
	s_nop 0
	scratch_load_dwordx2 v[20:21], off, off offset:32 ; 8-byte Folded Reload
	s_mov_b32 s5, s4
	v_mov_b64_e32 v[36:37], s[4:5]
	v_mov_b32_e32 v105, 0
	v_mov_b32_e32 v104, 0
	;; [unrolled: 1-line block ×4, first 2 shown]
	v_mov_b64_e32 v[38:39], s[4:5]
	v_mov_b64_e32 v[56:57], s[4:5]
	v_mov_b64_e32 v[58:59], s[4:5]
	v_mov_b64_e32 v[76:77], s[4:5]
	v_mov_b64_e32 v[78:79], s[4:5]
	v_mov_b64_e32 v[92:93], s[4:5]
	v_mov_b64_e32 v[94:95], s[4:5]
	v_mov_b64_e32 v[40:41], s[4:5]
	v_mov_b64_e32 v[42:43], s[4:5]
	v_mov_b64_e32 v[60:61], s[4:5]
	v_mov_b64_e32 v[62:63], s[4:5]
	v_mov_b64_e32 v[80:81], s[4:5]
	v_mov_b64_e32 v[82:83], s[4:5]
	v_mov_b64_e32 v[100:101], s[4:5]
	v_mov_b64_e32 v[102:103], s[4:5]
	v_mov_b64_e32 v[44:45], s[4:5]
	v_mov_b64_e32 v[46:47], s[4:5]
	v_mov_b64_e32 v[64:65], s[4:5]
	v_mov_b64_e32 v[66:67], s[4:5]
	v_mov_b64_e32 v[84:85], s[4:5]
	v_mov_b64_e32 v[86:87], s[4:5]
	v_mov_b64_e32 v[108:109], s[4:5]
	v_mov_b64_e32 v[110:111], s[4:5]
	v_mov_b64_e32 v[48:49], s[4:5]
	v_mov_b64_e32 v[50:51], s[4:5]
	v_mov_b64_e32 v[68:69], s[4:5]
	v_mov_b64_e32 v[70:71], s[4:5]
	v_mov_b64_e32 v[88:89], s[4:5]
	v_mov_b64_e32 v[90:91], s[4:5]
	v_mov_b64_e32 v[112:113], s[4:5]
	v_mov_b64_e32 v[114:115], s[4:5]
	v_mov_b64_e32 v[52:53], s[4:5]
	v_mov_b64_e32 v[54:55], s[4:5]
	v_mov_b64_e32 v[72:73], s[4:5]
	v_mov_b64_e32 v[74:75], s[4:5]
	v_mov_b64_e32 v[96:97], s[4:5]
	v_mov_b64_e32 v[98:99], s[4:5]
	s_waitcnt vmcnt(1)
	v_add_u32_e32 v0, s49, v0
	v_min_u32_e32 v116, s33, v0
	v_add_u32_e32 v120, 0x200, v0
	s_waitcnt vmcnt(0)
	v_lshl_add_u64 v[2:3], v[116:117], 1, v[20:21]
	v_min_u32_e32 v116, s33, v120
	v_add_u32_e32 v124, 0x400, v0
	v_lshl_add_u64 v[6:7], v[116:117], 1, v[20:21]
	v_min_u32_e32 v116, s33, v124
	v_add_u32_e32 v126, 0x600, v0
	global_load_dwordx4 v[28:31], v[2:3], off nt
	global_load_dwordx4 v[24:27], v[6:7], off nt
	v_lshl_add_u64 v[2:3], v[116:117], 1, v[20:21]
	v_min_u32_e32 v116, s33, v126
	v_lshl_add_u64 v[6:7], v[116:117], 1, v[20:21]
	global_load_dwordx4 v[32:35], v[2:3], off nt
	global_load_dwordx4 v[20:23], v[6:7], off nt
	v_cmp_gt_u32_e32 vcc, s8, v0
	s_and_saveexec_b64 s[6:7], vcc
	s_cbranch_execz .LBB294_99
; %bb.12:                               ;   in Loop: Header=BB294_11 Depth=2
	v_cmp_lt_u32_e32 vcc, s10, v0
                                        ; implicit-def: $vgpr36_vgpr37
	s_and_saveexec_b64 s[28:29], vcc
	s_xor_b64 s[28:29], exec, s[28:29]
	s_cbranch_execz .LBB294_14
; %bb.13:                               ;   in Loop: Header=BB294_11 Depth=2
	v_mov_b32_e32 v1, v117
	v_lshl_add_u64 v[0:1], v[0:1], 1, s[12:13]
	global_load_dwordx4 v[36:39], v[0:1], off
.LBB294_14:                             ;   in Loop: Header=BB294_11 Depth=2
	s_andn2_saveexec_b64 s[28:29], s[28:29]
	s_cbranch_execz .LBB294_16
; %bb.15:                               ;   in Loop: Header=BB294_11 Depth=2
	s_waitcnt vmcnt(0)
	ds_read_b128 v[36:39], v4
.LBB294_16:                             ;   in Loop: Header=BB294_11 Depth=2
	s_or_b64 exec, exec, s[28:29]
	v_add_u32_e32 v116, s49, v121
	v_cmp_lt_u32_e32 vcc, s10, v116
                                        ; implicit-def: $vgpr40_vgpr41
	s_and_saveexec_b64 s[28:29], vcc
	s_xor_b64 s[28:29], exec, s[28:29]
	s_cbranch_execz .LBB294_18
; %bb.17:                               ;   in Loop: Header=BB294_11 Depth=2
	v_lshl_add_u64 v[0:1], v[116:117], 1, s[12:13]
	global_load_dwordx4 v[40:43], v[0:1], off
.LBB294_18:                             ;   in Loop: Header=BB294_11 Depth=2
	s_andn2_saveexec_b64 s[28:29], s[28:29]
	s_cbranch_execz .LBB294_20
; %bb.19:                               ;   in Loop: Header=BB294_11 Depth=2
	v_add_u32_e32 v0, s41, v4
	s_waitcnt vmcnt(0)
	ds_read_b128 v[40:43], v0
.LBB294_20:                             ;   in Loop: Header=BB294_11 Depth=2
	s_or_b64 exec, exec, s[28:29]
	v_add_u32_e32 v122, s49, v127
	v_cmp_lt_u32_e32 vcc, s10, v122
                                        ; implicit-def: $vgpr44_vgpr45
	s_and_saveexec_b64 s[28:29], vcc
	s_xor_b64 s[28:29], exec, s[28:29]
	s_cbranch_execz .LBB294_22
; %bb.21:                               ;   in Loop: Header=BB294_11 Depth=2
	v_mov_b32_e32 v123, v117
	v_lshl_add_u64 v[0:1], v[122:123], 1, s[12:13]
	global_load_dwordx4 v[44:47], v[0:1], off
.LBB294_22:                             ;   in Loop: Header=BB294_11 Depth=2
	s_andn2_saveexec_b64 s[28:29], s[28:29]
	s_cbranch_execz .LBB294_24
; %bb.23:                               ;   in Loop: Header=BB294_11 Depth=2
	v_add_u32_e32 v0, s17, v4
	s_waitcnt vmcnt(0)
	ds_read2_b32 v[44:45], v0 offset1:1
	ds_read2_b32 v[46:47], v0 offset0:2 offset1:3
.LBB294_24:                             ;   in Loop: Header=BB294_11 Depth=2
	s_or_b64 exec, exec, s[28:29]
	scratch_load_dwordx2 v[0:1], off, off offset:48 ; 8-byte Folded Reload
                                        ; implicit-def: $vgpr48_vgpr49
	s_waitcnt vmcnt(0)
	v_add_u32_e32 v118, s49, v0
	v_cmp_lt_u32_e32 vcc, s10, v118
	s_and_saveexec_b64 s[28:29], vcc
	s_xor_b64 s[28:29], exec, s[28:29]
	s_cbranch_execz .LBB294_26
; %bb.25:                               ;   in Loop: Header=BB294_11 Depth=2
	v_mov_b32_e32 v119, v117
	v_lshl_add_u64 v[0:1], v[118:119], 1, s[12:13]
	global_load_dwordx4 v[48:51], v[0:1], off
.LBB294_26:                             ;   in Loop: Header=BB294_11 Depth=2
	s_andn2_saveexec_b64 s[28:29], s[28:29]
	s_cbranch_execz .LBB294_28
; %bb.27:                               ;   in Loop: Header=BB294_11 Depth=2
	v_add_u32_e32 v0, s47, v4
	s_waitcnt vmcnt(0)
	ds_read_b128 v[48:51], v0
.LBB294_28:                             ;   in Loop: Header=BB294_11 Depth=2
	s_or_b64 exec, exec, s[28:29]
	v_add_u32_e32 v0, s49, v125
	v_cmp_lt_u32_e32 vcc, s10, v0
                                        ; implicit-def: $vgpr52_vgpr53
	s_and_saveexec_b64 s[28:29], vcc
	s_xor_b64 s[28:29], exec, s[28:29]
	s_cbranch_execz .LBB294_30
; %bb.29:                               ;   in Loop: Header=BB294_11 Depth=2
	v_mov_b32_e32 v1, v117
	v_lshl_add_u64 v[2:3], v[0:1], 1, s[12:13]
	global_load_dwordx4 v[52:55], v[2:3], off
.LBB294_30:                             ;   in Loop: Header=BB294_11 Depth=2
	s_andn2_saveexec_b64 s[28:29], s[28:29]
	s_cbranch_execz .LBB294_32
; %bb.31:                               ;   in Loop: Header=BB294_11 Depth=2
	v_add_u32_e32 v1, s46, v4
	s_waitcnt vmcnt(0)
	ds_read2_b64 v[52:55], v1 offset1:1
.LBB294_32:                             ;   in Loop: Header=BB294_11 Depth=2
	s_or_b64 exec, exec, s[28:29]
	s_mov_b32 s27, s26
	v_cmp_gt_u32_e32 vcc, s8, v120
	v_mov_b32_e32 v105, 0
	v_mov_b64_e32 v[56:57], s[26:27]
	v_mov_b32_e32 v104, 0
	v_mov_b32_e32 v107, 0
	;; [unrolled: 1-line block ×3, first 2 shown]
	v_mov_b64_e32 v[58:59], s[26:27]
	v_mov_b64_e32 v[76:77], s[26:27]
	;; [unrolled: 1-line block ×27, first 2 shown]
	s_and_saveexec_b64 s[28:29], vcc
	s_cbranch_execz .LBB294_98
; %bb.33:                               ;   in Loop: Header=BB294_11 Depth=2
	v_cmp_lt_u32_e32 vcc, s10, v120
                                        ; implicit-def: $vgpr56_vgpr57
	s_and_saveexec_b64 s[30:31], vcc
	s_xor_b64 s[30:31], exec, s[30:31]
	s_cbranch_execz .LBB294_35
; %bb.34:                               ;   in Loop: Header=BB294_11 Depth=2
	v_mov_b32_e32 v1, v121
	v_mov_b32_e32 v121, v117
	v_lshl_add_u64 v[2:3], v[120:121], 1, s[12:13]
	global_load_dwordx4 v[56:59], v[2:3], off
	v_mov_b32_e32 v121, v1
.LBB294_35:                             ;   in Loop: Header=BB294_11 Depth=2
	s_andn2_saveexec_b64 s[30:31], s[30:31]
	s_cbranch_execz .LBB294_37
; %bb.36:                               ;   in Loop: Header=BB294_11 Depth=2
	s_waitcnt vmcnt(0)
	ds_read_b128 v[56:59], v4 offset:1024
.LBB294_37:                             ;   in Loop: Header=BB294_11 Depth=2
	s_or_b64 exec, exec, s[30:31]
	v_add_u32_e32 v2, 0x200, v116
	v_cmp_lt_u32_e32 vcc, s10, v2
                                        ; implicit-def: $vgpr60_vgpr61
	s_and_saveexec_b64 s[30:31], vcc
	s_xor_b64 s[30:31], exec, s[30:31]
	s_cbranch_execz .LBB294_39
; %bb.38:                               ;   in Loop: Header=BB294_11 Depth=2
	v_mov_b32_e32 v3, v117
	v_lshl_add_u64 v[2:3], v[2:3], 1, s[12:13]
	global_load_dwordx4 v[60:63], v[2:3], off
.LBB294_39:                             ;   in Loop: Header=BB294_11 Depth=2
	s_andn2_saveexec_b64 s[30:31], s[30:31]
	s_cbranch_execz .LBB294_41
; %bb.40:                               ;   in Loop: Header=BB294_11 Depth=2
	v_add_u32_e32 v1, s41, v4
	s_waitcnt vmcnt(0)
	ds_read_b128 v[60:63], v1 offset:1024
.LBB294_41:                             ;   in Loop: Header=BB294_11 Depth=2
	s_or_b64 exec, exec, s[30:31]
	v_add_u32_e32 v2, 0x200, v122
	v_cmp_lt_u32_e32 vcc, s10, v2
                                        ; implicit-def: $vgpr64_vgpr65
	s_and_saveexec_b64 s[30:31], vcc
	s_xor_b64 s[30:31], exec, s[30:31]
	s_cbranch_execz .LBB294_43
; %bb.42:                               ;   in Loop: Header=BB294_11 Depth=2
	v_mov_b32_e32 v3, v117
	v_lshl_add_u64 v[2:3], v[2:3], 1, s[12:13]
	global_load_dwordx4 v[64:67], v[2:3], off
.LBB294_43:                             ;   in Loop: Header=BB294_11 Depth=2
	s_andn2_saveexec_b64 s[30:31], s[30:31]
	s_cbranch_execz .LBB294_45
; %bb.44:                               ;   in Loop: Header=BB294_11 Depth=2
	v_add_u32_e32 v1, s17, v4
	v_add_u32_e32 v2, 0x400, v1
	;; [unrolled: 1-line block ×3, first 2 shown]
	s_waitcnt vmcnt(0)
	ds_read2_b32 v[64:65], v2 offset1:1
	ds_read2_b32 v[66:67], v1 offset1:1
.LBB294_45:                             ;   in Loop: Header=BB294_11 Depth=2
	s_or_b64 exec, exec, s[30:31]
	v_add_u32_e32 v2, 0x200, v118
	v_cmp_lt_u32_e32 vcc, s10, v2
                                        ; implicit-def: $vgpr68_vgpr69
	s_and_saveexec_b64 s[30:31], vcc
	s_xor_b64 s[30:31], exec, s[30:31]
	s_cbranch_execz .LBB294_47
; %bb.46:                               ;   in Loop: Header=BB294_11 Depth=2
	v_mov_b32_e32 v3, v117
	v_lshl_add_u64 v[2:3], v[2:3], 1, s[12:13]
	global_load_dwordx4 v[68:71], v[2:3], off
.LBB294_47:                             ;   in Loop: Header=BB294_11 Depth=2
	s_andn2_saveexec_b64 s[30:31], s[30:31]
	s_cbranch_execz .LBB294_49
; %bb.48:                               ;   in Loop: Header=BB294_11 Depth=2
	v_add_u32_e32 v1, s47, v4
	s_waitcnt vmcnt(0)
	ds_read_b128 v[68:71], v1 offset:1024
.LBB294_49:                             ;   in Loop: Header=BB294_11 Depth=2
	s_or_b64 exec, exec, s[30:31]
	v_add_u32_e32 v2, 0x200, v0
	v_cmp_lt_u32_e32 vcc, s10, v2
                                        ; implicit-def: $vgpr72_vgpr73
	s_and_saveexec_b64 s[30:31], vcc
	s_xor_b64 s[30:31], exec, s[30:31]
	s_cbranch_execz .LBB294_51
; %bb.50:                               ;   in Loop: Header=BB294_11 Depth=2
	v_mov_b32_e32 v3, v117
	v_lshl_add_u64 v[2:3], v[2:3], 1, s[12:13]
	global_load_dwordx4 v[72:75], v[2:3], off
.LBB294_51:                             ;   in Loop: Header=BB294_11 Depth=2
	s_andn2_saveexec_b64 s[30:31], s[30:31]
	s_cbranch_execz .LBB294_53
; %bb.52:                               ;   in Loop: Header=BB294_11 Depth=2
	v_add_u32_e32 v1, s46, v4
	s_waitcnt vmcnt(0)
	ds_read2_b64 v[72:75], v1 offset0:128 offset1:129
.LBB294_53:                             ;   in Loop: Header=BB294_11 Depth=2
	s_or_b64 exec, exec, s[30:31]
	s_mov_b32 s27, s26
	v_cmp_gt_u32_e32 vcc, s8, v124
	v_mov_b32_e32 v105, 0
	v_mov_b64_e32 v[76:77], s[26:27]
	v_mov_b32_e32 v104, 0
	v_mov_b32_e32 v107, 0
	;; [unrolled: 1-line block ×3, first 2 shown]
	v_mov_b64_e32 v[78:79], s[26:27]
	v_mov_b64_e32 v[92:93], s[26:27]
	;; [unrolled: 1-line block ×17, first 2 shown]
	s_and_saveexec_b64 s[30:31], vcc
	s_cbranch_execz .LBB294_97
; %bb.54:                               ;   in Loop: Header=BB294_11 Depth=2
	v_cmp_lt_u32_e32 vcc, s10, v124
                                        ; implicit-def: $vgpr76_vgpr77
	s_and_saveexec_b64 s[34:35], vcc
	s_xor_b64 s[34:35], exec, s[34:35]
	s_cbranch_execz .LBB294_56
; %bb.55:                               ;   in Loop: Header=BB294_11 Depth=2
	v_mov_b32_e32 v1, v125
	v_mov_b32_e32 v125, v117
	v_lshl_add_u64 v[2:3], v[124:125], 1, s[12:13]
	global_load_dwordx4 v[76:79], v[2:3], off
	v_mov_b32_e32 v125, v1
.LBB294_56:                             ;   in Loop: Header=BB294_11 Depth=2
	s_andn2_saveexec_b64 s[34:35], s[34:35]
	s_cbranch_execz .LBB294_58
; %bb.57:                               ;   in Loop: Header=BB294_11 Depth=2
	s_waitcnt vmcnt(0)
	ds_read_b128 v[76:79], v4 offset:2048
.LBB294_58:                             ;   in Loop: Header=BB294_11 Depth=2
	s_or_b64 exec, exec, s[34:35]
	v_add_u32_e32 v2, 0x400, v116
	v_cmp_lt_u32_e32 vcc, s10, v2
                                        ; implicit-def: $vgpr80_vgpr81
	s_and_saveexec_b64 s[34:35], vcc
	s_xor_b64 s[34:35], exec, s[34:35]
	s_cbranch_execz .LBB294_60
; %bb.59:                               ;   in Loop: Header=BB294_11 Depth=2
	v_mov_b32_e32 v3, v117
	v_lshl_add_u64 v[2:3], v[2:3], 1, s[12:13]
	global_load_dwordx4 v[80:83], v[2:3], off
.LBB294_60:                             ;   in Loop: Header=BB294_11 Depth=2
	s_andn2_saveexec_b64 s[34:35], s[34:35]
	s_cbranch_execz .LBB294_62
; %bb.61:                               ;   in Loop: Header=BB294_11 Depth=2
	v_add_u32_e32 v1, s41, v4
	s_waitcnt vmcnt(0)
	ds_read_b128 v[80:83], v1 offset:2048
.LBB294_62:                             ;   in Loop: Header=BB294_11 Depth=2
	s_or_b64 exec, exec, s[34:35]
	v_add_u32_e32 v2, 0x400, v122
	v_cmp_lt_u32_e32 vcc, s10, v2
                                        ; implicit-def: $vgpr84_vgpr85
	s_and_saveexec_b64 s[34:35], vcc
	s_xor_b64 s[34:35], exec, s[34:35]
	s_cbranch_execz .LBB294_64
; %bb.63:                               ;   in Loop: Header=BB294_11 Depth=2
	v_mov_b32_e32 v3, v117
	v_lshl_add_u64 v[2:3], v[2:3], 1, s[12:13]
	global_load_dwordx4 v[84:87], v[2:3], off
.LBB294_64:                             ;   in Loop: Header=BB294_11 Depth=2
	s_andn2_saveexec_b64 s[34:35], s[34:35]
	s_cbranch_execz .LBB294_66
; %bb.65:                               ;   in Loop: Header=BB294_11 Depth=2
	v_add_u32_e32 v1, s17, v4
	v_add_u32_e32 v2, 0x800, v1
	;; [unrolled: 1-line block ×3, first 2 shown]
	s_waitcnt vmcnt(0)
	ds_read2_b32 v[84:85], v2 offset1:1
	ds_read2_b32 v[86:87], v1 offset1:1
.LBB294_66:                             ;   in Loop: Header=BB294_11 Depth=2
	s_or_b64 exec, exec, s[34:35]
	v_add_u32_e32 v2, 0x400, v118
	v_cmp_lt_u32_e32 vcc, s10, v2
                                        ; implicit-def: $vgpr88_vgpr89
	s_and_saveexec_b64 s[34:35], vcc
	s_xor_b64 s[34:35], exec, s[34:35]
	s_cbranch_execz .LBB294_68
; %bb.67:                               ;   in Loop: Header=BB294_11 Depth=2
	v_mov_b32_e32 v3, v117
	v_lshl_add_u64 v[2:3], v[2:3], 1, s[12:13]
	global_load_dwordx4 v[88:91], v[2:3], off
.LBB294_68:                             ;   in Loop: Header=BB294_11 Depth=2
	s_andn2_saveexec_b64 s[34:35], s[34:35]
	s_cbranch_execz .LBB294_70
; %bb.69:                               ;   in Loop: Header=BB294_11 Depth=2
	v_add_u32_e32 v1, s47, v4
	s_waitcnt vmcnt(0)
	ds_read_b128 v[88:91], v1 offset:2048
.LBB294_70:                             ;   in Loop: Header=BB294_11 Depth=2
	s_or_b64 exec, exec, s[34:35]
	v_add_u32_e32 v2, 0x400, v0
	v_cmp_lt_u32_e32 vcc, s10, v2
                                        ; implicit-def: $vgpr96_vgpr97
	s_and_saveexec_b64 s[34:35], vcc
	s_xor_b64 s[34:35], exec, s[34:35]
	s_cbranch_execz .LBB294_72
; %bb.71:                               ;   in Loop: Header=BB294_11 Depth=2
	v_mov_b32_e32 v3, v117
	v_lshl_add_u64 v[2:3], v[2:3], 1, s[12:13]
	global_load_dwordx4 v[96:99], v[2:3], off
.LBB294_72:                             ;   in Loop: Header=BB294_11 Depth=2
	s_andn2_saveexec_b64 s[34:35], s[34:35]
	s_cbranch_execz .LBB294_74
; %bb.73:                               ;   in Loop: Header=BB294_11 Depth=2
	v_add_u32_e32 v1, s46, v4
	v_add_u32_e32 v1, 0x800, v1
	s_waitcnt vmcnt(0)
	ds_read2_b64 v[96:99], v1 offset1:1
.LBB294_74:                             ;   in Loop: Header=BB294_11 Depth=2
	s_or_b64 exec, exec, s[34:35]
	s_mov_b32 s27, s26
	v_cmp_gt_u32_e32 vcc, s8, v126
	v_mov_b32_e32 v105, 0
	v_mov_b64_e32 v[92:93], s[26:27]
	v_mov_b32_e32 v104, 0
	v_mov_b32_e32 v107, 0
	;; [unrolled: 1-line block ×3, first 2 shown]
	v_mov_b64_e32 v[94:95], s[26:27]
	v_mov_b64_e32 v[100:101], s[26:27]
	;; [unrolled: 1-line block ×7, first 2 shown]
	s_and_saveexec_b64 s[34:35], vcc
	s_cbranch_execz .LBB294_96
; %bb.75:                               ;   in Loop: Header=BB294_11 Depth=2
	v_cmp_lt_u32_e32 vcc, s10, v126
                                        ; implicit-def: $vgpr92_vgpr93
	s_and_saveexec_b64 s[36:37], vcc
	s_xor_b64 s[36:37], exec, s[36:37]
	s_cbranch_execz .LBB294_77
; %bb.76:                               ;   in Loop: Header=BB294_11 Depth=2
	v_mov_b32_e32 v1, v127
	v_mov_b32_e32 v127, v117
	v_lshl_add_u64 v[2:3], v[126:127], 1, s[12:13]
	global_load_dwordx4 v[92:95], v[2:3], off
	v_mov_b32_e32 v127, v1
.LBB294_77:                             ;   in Loop: Header=BB294_11 Depth=2
	s_andn2_saveexec_b64 s[36:37], s[36:37]
	s_cbranch_execz .LBB294_79
; %bb.78:                               ;   in Loop: Header=BB294_11 Depth=2
	s_waitcnt vmcnt(0)
	ds_read_b128 v[92:95], v4 offset:3072
.LBB294_79:                             ;   in Loop: Header=BB294_11 Depth=2
	s_or_b64 exec, exec, s[36:37]
	v_add_u32_e32 v116, 0x600, v116
	v_cmp_lt_u32_e32 vcc, s10, v116
                                        ; implicit-def: $vgpr100_vgpr101
	s_and_saveexec_b64 s[36:37], vcc
	s_xor_b64 s[36:37], exec, s[36:37]
	s_cbranch_execz .LBB294_81
; %bb.80:                               ;   in Loop: Header=BB294_11 Depth=2
	v_lshl_add_u64 v[2:3], v[116:117], 1, s[12:13]
	global_load_dwordx4 v[100:103], v[2:3], off
.LBB294_81:                             ;   in Loop: Header=BB294_11 Depth=2
	s_andn2_saveexec_b64 s[36:37], s[36:37]
	s_cbranch_execz .LBB294_83
; %bb.82:                               ;   in Loop: Header=BB294_11 Depth=2
	v_add_u32_e32 v1, s41, v4
	s_waitcnt vmcnt(0)
	ds_read_b128 v[100:103], v1 offset:3072
.LBB294_83:                             ;   in Loop: Header=BB294_11 Depth=2
	s_or_b64 exec, exec, s[36:37]
	v_add_u32_e32 v116, 0x600, v122
	v_cmp_lt_u32_e32 vcc, s10, v116
                                        ; implicit-def: $vgpr108_vgpr109
	s_and_saveexec_b64 s[36:37], vcc
	s_xor_b64 s[36:37], exec, s[36:37]
	s_cbranch_execz .LBB294_85
; %bb.84:                               ;   in Loop: Header=BB294_11 Depth=2
	v_lshl_add_u64 v[2:3], v[116:117], 1, s[12:13]
	global_load_dwordx4 v[108:111], v[2:3], off
.LBB294_85:                             ;   in Loop: Header=BB294_11 Depth=2
	s_andn2_saveexec_b64 s[36:37], s[36:37]
	s_cbranch_execz .LBB294_87
; %bb.86:                               ;   in Loop: Header=BB294_11 Depth=2
	v_add_u32_e32 v1, s17, v4
	v_add_u32_e32 v2, 0xc00, v1
	;; [unrolled: 1-line block ×3, first 2 shown]
	s_waitcnt vmcnt(0)
	ds_read2_b32 v[108:109], v2 offset1:1
	ds_read2_b32 v[110:111], v1 offset1:1
.LBB294_87:                             ;   in Loop: Header=BB294_11 Depth=2
	s_or_b64 exec, exec, s[36:37]
	v_add_u32_e32 v116, 0x600, v118
	v_cmp_lt_u32_e32 vcc, s10, v116
                                        ; implicit-def: $vgpr112_vgpr113
	s_and_saveexec_b64 s[36:37], vcc
	s_xor_b64 s[36:37], exec, s[36:37]
	s_cbranch_execz .LBB294_89
; %bb.88:                               ;   in Loop: Header=BB294_11 Depth=2
	v_lshl_add_u64 v[2:3], v[116:117], 1, s[12:13]
	global_load_dwordx4 v[112:115], v[2:3], off
.LBB294_89:                             ;   in Loop: Header=BB294_11 Depth=2
	s_andn2_saveexec_b64 s[36:37], s[36:37]
	s_cbranch_execz .LBB294_91
; %bb.90:                               ;   in Loop: Header=BB294_11 Depth=2
	v_add_u32_e32 v1, s47, v4
	s_waitcnt vmcnt(0)
	ds_read_b128 v[112:115], v1 offset:3072
.LBB294_91:                             ;   in Loop: Header=BB294_11 Depth=2
	s_or_b64 exec, exec, s[36:37]
	v_add_u32_e32 v116, 0x600, v0
	v_cmp_lt_u32_e32 vcc, s10, v116
                                        ; implicit-def: $vgpr105
	s_and_saveexec_b64 s[36:37], vcc
	s_xor_b64 s[36:37], exec, s[36:37]
	s_cbranch_execz .LBB294_93
; %bb.92:                               ;   in Loop: Header=BB294_11 Depth=2
	v_lshl_add_u64 v[0:1], v[116:117], 1, s[12:13]
	global_load_dwordx4 v[104:107], v[0:1], off
.LBB294_93:                             ;   in Loop: Header=BB294_11 Depth=2
	s_andn2_saveexec_b64 s[36:37], s[36:37]
	s_cbranch_execz .LBB294_95
; %bb.94:                               ;   in Loop: Header=BB294_11 Depth=2
	v_add_u32_e32 v0, s46, v4
	v_add_u32_e32 v0, 0xc00, v0
	s_waitcnt vmcnt(0)
	ds_read2_b64 v[104:107], v0 offset1:1
.LBB294_95:                             ;   in Loop: Header=BB294_11 Depth=2
	s_or_b64 exec, exec, s[36:37]
.LBB294_96:                             ;   in Loop: Header=BB294_11 Depth=2
	s_or_b64 exec, exec, s[34:35]
.LBB294_97:                             ;   in Loop: Header=BB294_11 Depth=2
	s_or_b64 exec, exec, s[30:31]
.LBB294_98:                             ;   in Loop: Header=BB294_11 Depth=2
	s_or_b64 exec, exec, s[28:29]
.LBB294_99:                             ;   in Loop: Header=BB294_11 Depth=2
	s_or_b64 exec, exec, s[6:7]
	s_waitcnt vmcnt(3) lgkmcnt(0)
	v_mfma_f32_4x4x4_16b_bf16 v[0:3], v[36:37], v[28:29], v[16:19]
	s_addk_i32 s49, 0x800
	v_add_u32_e32 v4, 0x1000, v4
	v_mfma_f32_4x4x4_16b_bf16 v[0:3], v[38:39], v[30:31], v[0:3]
	s_cmp_ge_u32 s49, s8
	s_waitcnt vmcnt(0)
	v_mfma_f32_4x4x4_16b_bf16 v[0:3], v[56:57], v[24:25], v[0:3]
	s_nop 1
	v_mfma_f32_4x4x4_16b_bf16 v[0:3], v[58:59], v[26:27], v[0:3]
	s_nop 1
	;; [unrolled: 2-line block ×5, first 2 shown]
	v_mfma_f32_4x4x4_16b_bf16 v[16:19], v[94:95], v[22:23], v[0:3]
	v_mfma_f32_4x4x4_16b_bf16 v[0:3], v[40:41], v[28:29], v[12:15]
	s_nop 1
	v_mfma_f32_4x4x4_16b_bf16 v[0:3], v[42:43], v[30:31], v[0:3]
	s_nop 1
	;; [unrolled: 2-line block ×7, first 2 shown]
	v_mfma_f32_4x4x4_16b_bf16 v[12:15], v[102:103], v[22:23], v[0:3]
	v_mfma_f32_4x4x4_16b_bf16 v[0:3], v[44:45], v[28:29], v[8:11]
	s_nop 1
	v_mfma_f32_4x4x4_16b_bf16 v[0:3], v[46:47], v[30:31], v[0:3]
	s_nop 1
	;; [unrolled: 2-line block ×8, first 2 shown]
	scratch_load_dwordx4 v[0:3], off, off offset:16 ; 16-byte Folded Reload
	s_waitcnt vmcnt(0)
	v_mfma_f32_4x4x4_16b_bf16 v[0:3], v[48:49], v[28:29], v[0:3]
	s_nop 1
	v_mfma_f32_4x4x4_16b_bf16 v[0:3], v[50:51], v[30:31], v[0:3]
	s_nop 1
	;; [unrolled: 2-line block ×8, first 2 shown]
	scratch_load_dwordx4 v[0:3], off, off   ; 16-byte Folded Reload
	s_waitcnt vmcnt(0)
	v_mfma_f32_4x4x4_16b_bf16 v[0:3], v[52:53], v[28:29], v[0:3]
	s_nop 1
	v_mfma_f32_4x4x4_16b_bf16 v[0:3], v[54:55], v[30:31], v[0:3]
	s_nop 1
	;; [unrolled: 2-line block ×7, first 2 shown]
	v_mfma_f32_4x4x4_16b_bf16 v[20:23], v[106:107], v[22:23], v[0:3]
	s_cbranch_scc1 .LBB294_101
; %bb.100:                              ;   in Loop: Header=BB294_11 Depth=2
	scratch_store_dwordx4 off, v[36:39], off offset:16 ; 16-byte Folded Spill
	s_nop 2
	scratch_store_dwordx4 off, v[20:23], off ; 16-byte Folded Spill
	s_branch .LBB294_11
.LBB294_101:                            ;   in Loop: Header=BB294_9 Depth=1
	scratch_load_dwordx2 v[28:29], off, off offset:56 ; 8-byte Folded Reload
	v_mov_b32_e32 v26, v5
.LBB294_102:                            ;   in Loop: Header=BB294_9 Depth=1
	v_cvt_i32_f32_e32 v0, v17
	v_cvt_i32_f32_e32 v1, v18
	;; [unrolled: 1-line block ×4, first 2 shown]
	v_cvt_f32_i32_dpp v0, v0 row_shl:1 row_mask:0xf bank_mask:0xf bound_ctrl:1
	v_cvt_f32_i32_dpp v1, v1 row_shl:2 row_mask:0xf bank_mask:0xf bound_ctrl:1
	;; [unrolled: 1-line block ×3, first 2 shown]
	v_cvt_i32_f32_e32 v4, v14
	v_add_f32_e32 v0, v16, v0
	v_add_f32_e32 v0, v0, v1
	;; [unrolled: 1-line block ×3, first 2 shown]
	v_cvt_i32_f32_e32 v1, v0
	v_cvt_i32_f32_e32 v2, v15
	v_cvt_f32_i32_dpp v3, v3 row_shl:1 row_mask:0xf bank_mask:0xf bound_ctrl:1
	v_cvt_f32_i32_dpp v4, v4 row_shl:2 row_mask:0xf bank_mask:0xf bound_ctrl:1
	;; [unrolled: 1-line block ×4, first 2 shown]
	v_add_f32_e32 v3, v12, v3
	v_add_f32_e32 v3, v3, v4
	;; [unrolled: 1-line block ×3, first 2 shown]
	v_cvt_i32_f32_e32 v1, v0
	v_cvt_i32_f32_e32 v5, v9
	;; [unrolled: 1-line block ×4, first 2 shown]
	v_cvt_f32_i32_dpp v1, v1 row_shl:8 row_mask:0xf bank_mask:0xf bound_ctrl:1
	v_cvt_f32_i32_dpp v5, v5 row_shl:1 row_mask:0xf bank_mask:0xf bound_ctrl:1
	v_cvt_i32_f32_e32 v10, v37
	v_cvt_f32_i32_dpp v4, v7 row_shl:3 row_mask:0xf bank_mask:0xf bound_ctrl:1
	v_add_f32_e32 v0, v0, v1
	v_cvt_i32_f32_e32 v0, v0
	v_add_f32_e32 v1, v3, v2
	v_cvt_i32_f32_e32 v2, v1
	v_cvt_f32_i32_dpp v3, v6 row_shl:2 row_mask:0xf bank_mask:0xf bound_ctrl:1
	v_cvt_f32_i32_dpp v0, v0 row_shr:15 row_mask:0xf bank_mask:0xf bound_ctrl:1
	v_add_f32_e32 v5, v8, v5
	v_cvt_f32_i32_dpp v2, v2 row_shl:4 row_mask:0xf bank_mask:0xf bound_ctrl:1
	v_add_f32_e32 v3, v5, v3
	v_cvt_i32_f32_e32 v6, v0
	v_add_f32_e32 v3, v3, v4
	v_add_f32_e32 v1, v1, v2
	v_cvt_i32_f32_e32 v2, v1
	v_cvt_f32_i32_dpp v5, v6 row_bcast:15 row_mask:0xf bank_mask:0xf bound_ctrl:1
	v_cvt_i32_f32_e32 v4, v3
	v_cvt_i32_f32_e32 v11, v38
	v_cvt_f32_i32_dpp v2, v2 row_shl:8 row_mask:0xf bank_mask:0xf bound_ctrl:1
	v_add_f32_e32 v6, v0, v5
	v_cvt_i32_f32_e32 v0, v6
	v_cvt_f32_i32_dpp v4, v4 row_shl:4 row_mask:0xf bank_mask:0xf bound_ctrl:1
	v_add_f32_e32 v1, v1, v2
	v_cvt_f32_i32_dpp v2, v10 row_shl:1 row_mask:0xf bank_mask:0xf bound_ctrl:1
	v_mov_b32_dpp v9, v0 row_bcast:31 row_mask:0xf bank_mask:0xf bound_ctrl:1
	v_add_f32_e32 v0, v3, v4
	v_cvt_f32_i32_dpp v3, v11 row_shl:2 row_mask:0xf bank_mask:0xf bound_ctrl:1
	v_cvt_i32_f32_e32 v4, v39
	v_add_f32_e32 v2, v36, v2
	v_cvt_i32_f32_e32 v7, v22
	v_add_f32_e32 v2, v2, v3
	v_cvt_f32_i32_dpp v3, v4 row_shl:3 row_mask:0xf bank_mask:0xf bound_ctrl:1
	v_cvt_i32_f32_e32 v4, v21
	v_cvt_i32_f32_e32 v8, v23
	;; [unrolled: 1-line block ×3, first 2 shown]
	v_add_f32_e32 v2, v2, v3
	v_cvt_f32_i32_dpp v3, v4 row_shl:1 row_mask:0xf bank_mask:0xf bound_ctrl:1
	v_cvt_f32_i32_dpp v4, v7 row_shl:2 row_mask:0xf bank_mask:0xf bound_ctrl:1
	;; [unrolled: 1-line block ×3, first 2 shown]
	v_cvt_i32_f32_e32 v8, v2
	v_add_f32_e32 v3, v20, v3
	v_add_f32_e32 v3, v3, v4
	;; [unrolled: 1-line block ×3, first 2 shown]
	v_cvt_i32_f32_e32 v4, v3
	v_cvt_f32_i32_dpp v7, v8 row_shl:4 row_mask:0xf bank_mask:0xf bound_ctrl:1
	v_cvt_f32_i32_dpp v5, v5 row_shl:8 row_mask:0xf bank_mask:0xf bound_ctrl:1
	v_cvt_i32_f32_e32 v1, v1
	v_cvt_f32_i32_dpp v4, v4 row_shl:4 row_mask:0xf bank_mask:0xf bound_ctrl:1
	v_add_f32_e32 v2, v2, v7
	v_add_f32_e32 v0, v0, v5
	v_cvt_i32_f32_e32 v5, v2
	v_add_f32_e32 v3, v3, v4
	v_cvt_i32_f32_e32 v4, v3
	v_cvt_f32_i32_dpp v1, v1 row_shr:15 row_mask:0xf bank_mask:0xf bound_ctrl:1
	v_cvt_f32_i32_dpp v5, v5 row_shl:8 row_mask:0xf bank_mask:0xf bound_ctrl:1
	v_cvt_i32_f32_e32 v0, v0
	v_cvt_f32_i32_dpp v4, v4 row_shl:8 row_mask:0xf bank_mask:0xf bound_ctrl:1
	v_cvt_i32_f32_e32 v7, v1
	v_add_f32_e32 v2, v2, v5
	v_cvt_f32_i32_dpp v0, v0 row_shr:15 row_mask:0xf bank_mask:0xf bound_ctrl:1
	v_add_f32_e32 v3, v3, v4
	v_cvt_i32_f32_e32 v2, v2
	v_cvt_i32_f32_e32 v3, v3
	v_cvt_f32_i32_dpp v4, v7 row_bcast:15 row_mask:0xf bank_mask:0xf bound_ctrl:1
	v_cvt_i32_f32_e32 v5, v0
	v_cvt_f32_i32_dpp v2, v2 row_shr:15 row_mask:0xf bank_mask:0xf bound_ctrl:1
	v_cvt_f32_i32_dpp v3, v3 row_shr:15 row_mask:0xf bank_mask:0xf bound_ctrl:1
	v_add_f32_e32 v10, v1, v4
	v_cvt_f32_i32_dpp v4, v5 row_bcast:15 row_mask:0xf bank_mask:0xf bound_ctrl:1
	v_cvt_i32_f32_e32 v1, v2
	v_cvt_i32_f32_e32 v7, v3
	;; [unrolled: 1-line block ×3, first 2 shown]
	v_add_f32_e32 v5, v0, v4
	v_cvt_f32_i32_dpp v1, v1 row_bcast:15 row_mask:0xf bank_mask:0xf bound_ctrl:1
	v_cvt_f32_i32_dpp v0, v7 row_bcast:15 row_mask:0xf bank_mask:0xf bound_ctrl:1
	v_cvt_i32_f32_e32 v4, v5
	v_mov_b32_dpp v11, v8 row_bcast:31 row_mask:0xf bank_mask:0xf bound_ctrl:1
	v_add_f32_e32 v2, v2, v1
	v_add_f32_e32 v0, v3, v0
	v_cvt_i32_f32_e32 v1, v2
	v_cvt_i32_f32_e32 v12, v0
	v_mov_b32_dpp v7, v4 row_bcast:31 row_mask:0xf bank_mask:0xf bound_ctrl:1
	v_mov_b32_dpp v3, v1 row_bcast:31 row_mask:0xf bank_mask:0xf bound_ctrl:1
	;; [unrolled: 1-line block ×3, first 2 shown]
	s_and_saveexec_b64 s[4:5], s[0:1]
	s_cbranch_execz .LBB294_8
; %bb.103:                              ;   in Loop: Header=BB294_9 Depth=1
	s_andn2_b64 vcc, exec, s[24:25]
	v_mov_b32_e32 v14, 0
	v_mov_b32_e32 v13, 0
	v_mov_b32_e32 v12, 0
	v_mov_b32_e32 v8, 0
	v_mov_b32_e32 v4, 0
	s_cbranch_vccnz .LBB294_105
; %bb.104:                              ;   in Loop: Header=BB294_9 Depth=1
	scratch_load_dword v4, off, off offset:68 ; 4-byte Folded Reload
	v_mov_b32_e32 v13, v117
	s_waitcnt vmcnt(0)
	v_mul_hi_u32 v4, v28, v4
	v_mul_lo_u32 v4, v4, s16
	v_sub_u32_e32 v4, v28, v4
	v_subrev_u32_e32 v8, s16, v4
	v_cmp_le_u32_e32 vcc, s16, v4
	s_nop 1
	v_cndmask_b32_e32 v4, v4, v8, vcc
	v_subrev_u32_e32 v8, s16, v4
	v_cmp_le_u32_e32 vcc, s16, v4
	s_nop 1
	v_cndmask_b32_e32 v116, v4, v8, vcc
	v_add_u32_e32 v12, s42, v116
	v_lshl_add_u64 v[18:19], v[12:13], 1, s[14:15]
	v_add_u32_e32 v12, s43, v116
	v_lshl_add_u64 v[16:17], v[116:117], 1, s[14:15]
	v_lshl_add_u64 v[20:21], v[12:13], 1, s[14:15]
	v_add_u32_e32 v12, s44, v116
	v_add_u32_e32 v116, s45, v116
	v_lshl_add_u64 v[22:23], v[12:13], 1, s[14:15]
	v_lshl_add_u64 v[24:25], v[116:117], 1, s[14:15]
	global_load_ushort v14, v[16:17], off
	global_load_ushort v13, v[18:19], off
	;; [unrolled: 1-line block ×5, first 2 shown]
.LBB294_105:                            ;   in Loop: Header=BB294_9 Depth=1
	v_cmp_ne_u32_e32 vcc, 0, v26
	s_and_b64 exec, exec, vcc
	s_cbranch_execz .LBB294_8
; %bb.106:                              ;   in Loop: Header=BB294_9 Depth=1
	v_cvt_f32_i32_e32 v9, v9
	v_add_f32_e32 v6, v6, v9
	s_waitcnt vmcnt(4)
	v_lshlrev_b32_e32 v9, 16, v14
	v_add_f32_e32 v9, v6, v9
	v_and_b32_e32 v6, 0x7f800000, v9
	v_cmp_ne_u32_e32 vcc, s48, v6
                                        ; implicit-def: $vgpr6
	s_and_saveexec_b64 s[6:7], vcc
	s_xor_b64 s[6:7], exec, s[6:7]
; %bb.107:                              ;   in Loop: Header=BB294_9 Depth=1
	v_bfe_u32 v6, v9, 16, 1
	v_add3_u32 v6, v9, v6, s10
                                        ; implicit-def: $vgpr9
; %bb.108:                              ;   in Loop: Header=BB294_9 Depth=1
	s_andn2_saveexec_b64 s[6:7], s[6:7]
; %bb.109:                              ;   in Loop: Header=BB294_9 Depth=1
	v_or_b32_e32 v6, 0x10000, v9
	v_cmp_eq_u32_sdwa vcc, v9, v117 src0_sel:WORD_0 src1_sel:DWORD
	s_nop 1
	v_cndmask_b32_e32 v6, v6, v9, vcc
; %bb.110:                              ;   in Loop: Header=BB294_9 Depth=1
	s_or_b64 exec, exec, s[6:7]
	v_cvt_f32_i32_e32 v9, v11
	s_waitcnt vmcnt(0)
	v_mov_b32_e32 v29, v117
	s_waitcnt lgkmcnt(0)
	v_lshl_add_u64 v[14:15], v[28:29], 1, s[20:21]
	global_store_short_d16_hi v[14:15], v6, off
	v_add_f32_e32 v6, v10, v9
	v_lshlrev_b32_e32 v9, 16, v13
	v_add_f32_e32 v9, v6, v9
	v_and_b32_e32 v6, 0x7f800000, v9
	v_cmp_ne_u32_e32 vcc, s48, v6
                                        ; implicit-def: $vgpr6
	s_and_saveexec_b64 s[6:7], vcc
	s_xor_b64 s[6:7], exec, s[6:7]
; %bb.111:                              ;   in Loop: Header=BB294_9 Depth=1
	v_bfe_u32 v6, v9, 16, 1
	v_add3_u32 v6, v9, v6, s10
                                        ; implicit-def: $vgpr9
; %bb.112:                              ;   in Loop: Header=BB294_9 Depth=1
	s_andn2_saveexec_b64 s[6:7], s[6:7]
; %bb.113:                              ;   in Loop: Header=BB294_9 Depth=1
	v_or_b32_e32 v6, 0x10000, v9
	v_cmp_eq_u32_sdwa vcc, v9, v117 src0_sel:WORD_0 src1_sel:DWORD
	s_nop 1
	v_cndmask_b32_e32 v6, v6, v9, vcc
; %bb.114:                              ;   in Loop: Header=BB294_9 Depth=1
	s_or_b64 exec, exec, s[6:7]
	v_cvt_f32_i32_e32 v7, v7
	v_add_u32_e32 v116, s11, v28
	v_lshl_add_u64 v[10:11], v[116:117], 1, s[20:21]
	global_store_short_d16_hi v[10:11], v6, off
	v_add_f32_e32 v5, v5, v7
	v_lshlrev_b32_e32 v6, 16, v12
	v_add_f32_e32 v6, v5, v6
	v_and_b32_e32 v5, 0x7f800000, v6
	v_cmp_ne_u32_e32 vcc, s48, v5
                                        ; implicit-def: $vgpr5
	s_and_saveexec_b64 s[6:7], vcc
	s_xor_b64 s[6:7], exec, s[6:7]
; %bb.115:                              ;   in Loop: Header=BB294_9 Depth=1
	v_bfe_u32 v5, v6, 16, 1
	v_add3_u32 v5, v6, v5, s10
                                        ; implicit-def: $vgpr6
; %bb.116:                              ;   in Loop: Header=BB294_9 Depth=1
	s_andn2_saveexec_b64 s[6:7], s[6:7]
; %bb.117:                              ;   in Loop: Header=BB294_9 Depth=1
	v_or_b32_e32 v5, 0x10000, v6
	v_cmp_eq_u32_sdwa vcc, v6, v117 src0_sel:WORD_0 src1_sel:DWORD
	s_nop 1
	v_cndmask_b32_e32 v5, v5, v6, vcc
; %bb.118:                              ;   in Loop: Header=BB294_9 Depth=1
	s_or_b64 exec, exec, s[6:7]
	v_cvt_f32_i32_e32 v3, v3
	v_add_u32_e32 v116, s11, v116
	v_lshl_add_u64 v[6:7], v[116:117], 1, s[20:21]
	global_store_short_d16_hi v[6:7], v5, off
	v_add_f32_e32 v2, v2, v3
	v_lshlrev_b32_e32 v3, 16, v8
	v_add_f32_e32 v3, v2, v3
	v_and_b32_e32 v2, 0x7f800000, v3
	v_cmp_ne_u32_e32 vcc, s48, v2
                                        ; implicit-def: $vgpr2
	s_and_saveexec_b64 s[6:7], vcc
	s_xor_b64 s[6:7], exec, s[6:7]
; %bb.119:                              ;   in Loop: Header=BB294_9 Depth=1
	v_bfe_u32 v2, v3, 16, 1
	v_add3_u32 v2, v3, v2, s10
                                        ; implicit-def: $vgpr3
; %bb.120:                              ;   in Loop: Header=BB294_9 Depth=1
	s_andn2_saveexec_b64 s[6:7], s[6:7]
; %bb.121:                              ;   in Loop: Header=BB294_9 Depth=1
	v_or_b32_e32 v2, 0x10000, v3
	v_cmp_eq_u32_sdwa vcc, v3, v117 src0_sel:WORD_0 src1_sel:DWORD
	s_nop 1
	v_cndmask_b32_e32 v2, v2, v3, vcc
; %bb.122:                              ;   in Loop: Header=BB294_9 Depth=1
	s_or_b64 exec, exec, s[6:7]
	v_cvt_f32_i32_e32 v1, v1
	v_add_u32_e32 v116, s11, v116
	v_lshl_add_u64 v[6:7], v[116:117], 1, s[20:21]
	global_store_short_d16_hi v[6:7], v2, off
	v_add_f32_e32 v0, v0, v1
	v_lshlrev_b32_e32 v1, 16, v4
	v_add_f32_e32 v1, v0, v1
	v_and_b32_e32 v0, 0x7f800000, v1
	v_cmp_ne_u32_e32 vcc, s48, v0
                                        ; implicit-def: $vgpr0
	s_and_saveexec_b64 s[6:7], vcc
	s_xor_b64 s[6:7], exec, s[6:7]
; %bb.123:                              ;   in Loop: Header=BB294_9 Depth=1
	v_bfe_u32 v0, v1, 16, 1
	v_add3_u32 v0, v1, v0, s10
                                        ; implicit-def: $vgpr1
; %bb.124:                              ;   in Loop: Header=BB294_9 Depth=1
	s_andn2_saveexec_b64 s[6:7], s[6:7]
	s_cbranch_execz .LBB294_7
; %bb.125:                              ;   in Loop: Header=BB294_9 Depth=1
	v_or_b32_e32 v0, 0x10000, v1
	v_cmp_eq_u32_sdwa vcc, v1, v117 src0_sel:WORD_0 src1_sel:DWORD
	s_nop 1
	v_cndmask_b32_e32 v0, v0, v1, vcc
	s_branch .LBB294_7
.LBB294_126:
	s_endpgm
	.section	.rodata,"a",@progbits
	.p2align	6, 0x0
	.amdhsa_kernel _Z12wvSplitK_hf_I14__hip_bfloat16Li64ELi1ELi16ELi8ELi4ELi5EEviiiiiiPKT_S3_S3_PS1_ii
		.amdhsa_group_segment_fixed_size 65536
		.amdhsa_private_segment_fixed_size 76
		.amdhsa_kernarg_size 64
		.amdhsa_user_sgpr_count 2
		.amdhsa_user_sgpr_dispatch_ptr 0
		.amdhsa_user_sgpr_queue_ptr 0
		.amdhsa_user_sgpr_kernarg_segment_ptr 1
		.amdhsa_user_sgpr_dispatch_id 0
		.amdhsa_user_sgpr_kernarg_preload_length 0
		.amdhsa_user_sgpr_kernarg_preload_offset 0
		.amdhsa_user_sgpr_private_segment_size 0
		.amdhsa_uses_dynamic_stack 0
		.amdhsa_enable_private_segment 1
		.amdhsa_system_sgpr_workgroup_id_x 1
		.amdhsa_system_sgpr_workgroup_id_y 0
		.amdhsa_system_sgpr_workgroup_id_z 0
		.amdhsa_system_sgpr_workgroup_info 0
		.amdhsa_system_vgpr_workitem_id 1
		.amdhsa_next_free_vgpr 128
		.amdhsa_next_free_sgpr 50
		.amdhsa_accum_offset 128
		.amdhsa_reserve_vcc 1
		.amdhsa_float_round_mode_32 0
		.amdhsa_float_round_mode_16_64 0
		.amdhsa_float_denorm_mode_32 3
		.amdhsa_float_denorm_mode_16_64 3
		.amdhsa_dx10_clamp 1
		.amdhsa_ieee_mode 1
		.amdhsa_fp16_overflow 0
		.amdhsa_tg_split 0
		.amdhsa_exception_fp_ieee_invalid_op 0
		.amdhsa_exception_fp_denorm_src 0
		.amdhsa_exception_fp_ieee_div_zero 0
		.amdhsa_exception_fp_ieee_overflow 0
		.amdhsa_exception_fp_ieee_underflow 0
		.amdhsa_exception_fp_ieee_inexact 0
		.amdhsa_exception_int_div_zero 0
	.end_amdhsa_kernel
	.section	.text._Z12wvSplitK_hf_I14__hip_bfloat16Li64ELi1ELi16ELi8ELi4ELi5EEviiiiiiPKT_S3_S3_PS1_ii,"axG",@progbits,_Z12wvSplitK_hf_I14__hip_bfloat16Li64ELi1ELi16ELi8ELi4ELi5EEviiiiiiPKT_S3_S3_PS1_ii,comdat
.Lfunc_end294:
	.size	_Z12wvSplitK_hf_I14__hip_bfloat16Li64ELi1ELi16ELi8ELi4ELi5EEviiiiiiPKT_S3_S3_PS1_ii, .Lfunc_end294-_Z12wvSplitK_hf_I14__hip_bfloat16Li64ELi1ELi16ELi8ELi4ELi5EEviiiiiiPKT_S3_S3_PS1_ii
                                        ; -- End function
	.section	.AMDGPU.csdata,"",@progbits
; Kernel info:
; codeLenInByte = 5080
; NumSgprs: 56
; NumVgprs: 128
; NumAgprs: 0
; TotalNumVgprs: 128
; ScratchSize: 76
; MemoryBound: 1
; FloatMode: 240
; IeeeMode: 1
; LDSByteSize: 65536 bytes/workgroup (compile time only)
; SGPRBlocks: 6
; VGPRBlocks: 15
; NumSGPRsForWavesPerEU: 56
; NumVGPRsForWavesPerEU: 128
; AccumOffset: 128
; Occupancy: 4
; WaveLimiterHint : 0
; COMPUTE_PGM_RSRC2:SCRATCH_EN: 1
; COMPUTE_PGM_RSRC2:USER_SGPR: 2
; COMPUTE_PGM_RSRC2:TRAP_HANDLER: 0
; COMPUTE_PGM_RSRC2:TGID_X_EN: 1
; COMPUTE_PGM_RSRC2:TGID_Y_EN: 0
; COMPUTE_PGM_RSRC2:TGID_Z_EN: 0
; COMPUTE_PGM_RSRC2:TIDIG_COMP_CNT: 1
; COMPUTE_PGM_RSRC3_GFX90A:ACCUM_OFFSET: 31
; COMPUTE_PGM_RSRC3_GFX90A:TG_SPLIT: 0
	.section	.text._Z16wvSplitK_hf_big_I14__hip_bfloat16Li64ELi1ELi16ELi8ELi4ELi5EEviiiiiiPKT_S3_S3_PS1_ii,"axG",@progbits,_Z16wvSplitK_hf_big_I14__hip_bfloat16Li64ELi1ELi16ELi8ELi4ELi5EEviiiiiiPKT_S3_S3_PS1_ii,comdat
	.protected	_Z16wvSplitK_hf_big_I14__hip_bfloat16Li64ELi1ELi16ELi8ELi4ELi5EEviiiiiiPKT_S3_S3_PS1_ii ; -- Begin function _Z16wvSplitK_hf_big_I14__hip_bfloat16Li64ELi1ELi16ELi8ELi4ELi5EEviiiiiiPKT_S3_S3_PS1_ii
	.globl	_Z16wvSplitK_hf_big_I14__hip_bfloat16Li64ELi1ELi16ELi8ELi4ELi5EEviiiiiiPKT_S3_S3_PS1_ii
	.p2align	8
	.type	_Z16wvSplitK_hf_big_I14__hip_bfloat16Li64ELi1ELi16ELi8ELi4ELi5EEviiiiiiPKT_S3_S3_PS1_ii,@function
_Z16wvSplitK_hf_big_I14__hip_bfloat16Li64ELi1ELi16ELi8ELi4ELi5EEviiiiiiPKT_S3_S3_PS1_ii: ; @_Z16wvSplitK_hf_big_I14__hip_bfloat16Li64ELi1ELi16ELi8ELi4ELi5EEviiiiiiPKT_S3_S3_PS1_ii
; %bb.0:
	s_load_dwordx2 s[4:5], s[0:1], 0x38
	v_bfe_u32 v1, v0, 10, 10
	s_waitcnt lgkmcnt(0)
	v_cmp_gt_u32_e32 vcc, s4, v1
	s_and_saveexec_b64 s[6:7], vcc
	s_cbranch_execz .LBB295_59
; %bb.1:
	s_load_dwordx4 s[20:23], s[0:1], 0x0
	s_mul_i32 s2, s2, s4
	v_add_u32_e32 v26, s2, v1
	v_add_u32_e32 v2, 1, v26
	s_waitcnt lgkmcnt(0)
	v_cmp_gt_u32_e32 vcc, s23, v26
	v_cmp_le_u32_e64 s[2:3], s23, v2
	s_and_b64 s[6:7], vcc, s[2:3]
	v_mov_b32_e32 v2, 1
	scratch_store_dword off, v2, off offset:36 ; 4-byte Folded Spill
	s_and_saveexec_b64 s[2:3], s[6:7]
	s_cbranch_execz .LBB295_3
; %bb.2:
	v_subrev_u32_e32 v2, s23, v26
	v_cmp_eq_u32_e32 vcc, -1, v2
	s_add_i32 s6, s23, -1
	v_mov_b32_e32 v26, s6
	v_cndmask_b32_e64 v2, 0, 1, vcc
	scratch_store_dword off, v2, off offset:36 ; 4-byte Folded Spill
.LBB295_3:
	s_or_b64 exec, exec, s[2:3]
	s_abs_i32 s2, s4
	v_cvt_f32_u32_e32 v2, s2
	s_sub_i32 s7, 0, s2
	s_abs_i32 s6, s23
	s_ashr_i32 s3, s23, 31
	v_rcp_iflag_f32_e32 v2, v2
	s_nop 0
	v_mul_f32_e32 v2, 0x4f7ffffe, v2
	v_cvt_u32_f32_e32 v2, v2
	s_nop 0
	v_readfirstlane_b32 s8, v2
	s_mul_i32 s7, s7, s8
	s_mul_hi_u32 s7, s8, s7
	s_add_i32 s8, s8, s7
	s_mul_hi_u32 s7, s6, s8
	s_mul_i32 s7, s7, s2
	s_sub_i32 s6, s6, s7
	s_sub_i32 s7, s6, s2
	s_cmp_ge_u32 s6, s2
	s_cselect_b32 s6, s7, s6
	s_sub_i32 s7, s6, s2
	s_cmp_ge_u32 s6, s2
	s_cselect_b32 s2, s7, s6
	s_xor_b32 s2, s2, s3
	s_sub_i32 s2, s2, s3
	s_add_i32 s3, s4, s23
	s_sub_i32 s3, s3, s2
	s_cmp_eq_u32 s2, 0
	s_cselect_b32 s33, s23, s3
	v_cmp_gt_u32_e32 vcc, s33, v26
	s_and_b64 exec, exec, vcc
	s_cbranch_execz .LBB295_59
; %bb.4:
	s_load_dwordx8 s[12:19], s[0:1], 0x10
	s_min_u32 s38, s22, 0x1800
	s_cmp_lg_u32 s20, 0
	s_cselect_b64 s[2:3], -1, 0
	s_cmp_lg_u32 s22, 0
	s_cselect_b64 s[6:7], -1, 0
	s_lshl_b32 s39, s4, 9
	s_add_i32 s40, s20, -8
	s_add_i32 s41, s23, -1
	s_waitcnt lgkmcnt(0)
	s_cmp_lg_u64 s[18:19], 0
	s_cselect_b64 s[26:27], -1, 0
	s_abs_i32 s8, s13
	v_cvt_f32_u32_e32 v2, s12
	v_cvt_f32_u32_e32 v3, s8
	s_mul_i32 s42, s5, s4
	s_sub_i32 s5, s42, s23
	v_rcp_iflag_f32_e32 v2, v2
	v_rcp_iflag_f32_e32 v3, v3
	s_add_i32 s13, s5, 2
	s_sub_i32 s5, 0, s12
	v_mul_f32_e32 v2, 0x4f7ffffe, v2
	v_mul_f32_e32 v3, 0x4f7ffffe, v3
	v_cvt_u32_f32_e32 v2, v2
	v_cvt_u32_f32_e32 v3, v3
	v_and_b32_e32 v0, 0x3ff, v0
	s_load_dwordx2 s[10:11], s[0:1], 0x30
	v_mul_lo_u32 v4, s5, v2
	s_sub_i32 s5, 0, s8
	v_readfirstlane_b32 s9, v3
	s_mul_i32 s5, s5, s9
	s_mul_hi_u32 s5, s9, s5
	s_add_i32 s9, s9, s5
	s_sub_i32 s5, 1, s8
	s_cmp_lt_u32 s8, 2
	s_cselect_b32 s5, s5, 1
	s_sub_i32 s28, s5, s8
	s_cmp_ge_u32 s5, s8
	s_cselect_b32 s43, s28, s5
	s_lshr_b32 s5, s9, 31
	s_mul_i32 s5, s5, s8
	s_sub_i32 s5, 2, s5
	s_sub_i32 s28, s5, s8
	s_cmp_ge_u32 s5, s8
	s_cselect_b32 s5, s28, s5
	s_sub_i32 s28, s5, s8
	s_cmp_ge_u32 s5, s8
	s_cselect_b32 s44, s28, s5
	s_mul_hi_u32 s5, s9, 3
	s_mul_i32 s5, s5, s8
	s_sub_i32 s5, 3, s5
	s_sub_i32 s28, s5, s8
	s_cmp_ge_u32 s5, s8
	s_cselect_b32 s5, s28, s5
	s_sub_i32 s28, s5, s8
	s_cmp_ge_u32 s5, s8
	s_cselect_b32 s45, s28, s5
	s_lshr_b32 s5, s9, 30
	s_mul_i32 s5, s5, s8
	s_sub_i32 s5, 4, s5
	s_sub_i32 s9, s5, s8
	s_cmp_ge_u32 s5, s8
	v_lshlrev_b32_e32 v122, 3, v0
	v_cmp_eq_u32_e64 s[0:1], 63, v0
	s_cselect_b32 s5, s9, s5
	v_lshlrev_b32_e32 v0, 4, v0
	s_sub_i32 s9, s5, s8
	v_lshl_add_u32 v0, v1, 10, v0
	v_lshl_add_u32 v120, v1, 9, v122
	s_cmp_ge_u32 s5, s8
	scratch_store_dword off, v0, off        ; 4-byte Folded Spill
	v_lshl_add_u32 v0, s22, 1, v120
	s_cselect_b32 s46, s9, s5
	s_lshl_b32 s48, s4, 10
	scratch_store_dword off, v0, off offset:4 ; 4-byte Folded Spill
	v_mad_u64_u32 v[0:1], s[4:5], s22, 3, v[120:121]
	scratch_store_dwordx2 off, v[0:1], off offset:8 ; 8-byte Folded Spill
	v_lshl_add_u32 v0, s22, 2, v120
	scratch_store_dword off, v0, off offset:16 ; 4-byte Folded Spill
	v_add_u32_e32 v0, s22, v120
	scratch_store_dword off, v0, off offset:20 ; 4-byte Folded Spill
	v_cndmask_b32_e64 v0, 0, 1, s[2:3]
	v_mul_hi_u32 v4, v2, v4
	v_cmp_ne_u32_e64 s[2:3], 1, v0
	v_cndmask_b32_e64 v0, 0, 1, s[6:7]
	s_mov_b64 s[24:25], 0
	v_add_u32_e32 v2, v2, v4
	v_mov_b32_e32 v119, 0
	s_mul_i32 s43, s43, s12
	s_mul_i32 s44, s44, s12
	;; [unrolled: 1-line block ×4, first 2 shown]
	s_lshl_b32 s47, s38, 3
	s_mul_i32 s49, s38, 6
	s_lshl_b32 s50, s38, 2
	s_lshl_b32 s51, s38, 1
	v_cmp_ne_u32_e64 s[4:5], 1, v0
	s_mov_b32 s52, 0x7f800000
	s_movk_i32 s53, 0x7fff
	scratch_store_dword off, v2, off offset:40 ; 4-byte Folded Spill
	scratch_store_dword off, v122, off offset:24 ; 4-byte Folded Spill
	s_branch .LBB295_7
.LBB295_5:                              ;   in Loop: Header=BB295_7 Depth=1
	s_or_b64 exec, exec, s[6:7]
.LBB295_6:                              ;   in Loop: Header=BB295_7 Depth=1
	s_or_b64 exec, exec, s[8:9]
	v_cmp_le_u32_e32 vcc, s33, v20
	s_or_b64 s[24:25], vcc, s[24:25]
	v_mov_b32_e32 v26, v20
	s_andn2_b64 exec, exec, s[24:25]
	s_cbranch_execz .LBB295_59
.LBB295_7:                              ; =>This Loop Header: Depth=1
                                        ;     Child Loop BB295_14 Depth 2
                                        ;       Child Loop BB295_19 Depth 3
	s_and_b64 vcc, exec, s[2:3]
	v_mov_b32_e32 v3, v119
	v_mov_b32_e32 v2, v119
	;; [unrolled: 1-line block ×20, first 2 shown]
	s_cbranch_vccnz .LBB295_29
; %bb.8:                                ;   in Loop: Header=BB295_7 Depth=1
	v_mov_b32_e32 v0, v26
	scratch_store_dwordx2 off, v[0:1], off offset:28 ; 8-byte Folded Spill
	v_min_u32_e32 v0, s41, v26
	v_mul_lo_u32 v118, v0, s21
	v_mov_b32_e32 v16, 0
	v_cmp_gt_u32_e64 s[6:7], s23, v26
	v_lshl_add_u64 v[124:125], v[118:119], 1, s[14:15]
	s_mov_b32 s54, 0
	s_mov_b32 s55, 0
	v_mov_b32_e32 v17, v16
	v_mov_b32_e32 v18, v16
	;; [unrolled: 1-line block ×19, first 2 shown]
	s_branch .LBB295_14
.LBB295_9:                              ;   in Loop: Header=BB295_14 Depth=2
	s_or_b64 exec, exec, s[36:37]
.LBB295_10:                             ;   in Loop: Header=BB295_14 Depth=2
	s_or_b64 exec, exec, s[34:35]
.LBB295_11:                             ;   in Loop: Header=BB295_14 Depth=2
	s_or_b64 exec, exec, s[30:31]
	scratch_load_dword v122, off, off offset:24 ; 4-byte Folded Reload
.LBB295_12:                             ;   in Loop: Header=BB295_14 Depth=2
	s_or_b64 exec, exec, s[28:29]
	s_waitcnt vmcnt(3) lgkmcnt(0)
	v_mfma_f32_4x4x4_16b_bf16 v[16:19], v[100:101], v[32:33], v[16:19]
	v_mfma_f32_4x4x4_16b_bf16 v[12:15], v[68:69], v[32:33], v[12:15]
	v_mfma_f32_4x4x4_16b_bf16 v[8:11], v[44:45], v[32:33], v[8:11]
	v_mfma_f32_4x4x4_16b_bf16 v[4:7], v[40:41], v[32:33], v[4:7]
	v_mfma_f32_4x4x4_16b_bf16 v[0:3], v[36:37], v[32:33], v[0:3]
	v_mfma_f32_4x4x4_16b_bf16 v[16:19], v[102:103], v[34:35], v[16:19]
	v_mfma_f32_4x4x4_16b_bf16 v[12:15], v[70:71], v[34:35], v[12:15]
	v_mfma_f32_4x4x4_16b_bf16 v[8:11], v[46:47], v[34:35], v[8:11]
	v_mfma_f32_4x4x4_16b_bf16 v[4:7], v[42:43], v[34:35], v[4:7]
	v_mfma_f32_4x4x4_16b_bf16 v[0:3], v[38:39], v[34:35], v[0:3]
	s_waitcnt vmcnt(2)
	v_mfma_f32_4x4x4_16b_bf16 v[16:19], v[84:85], v[28:29], v[16:19]
	v_mfma_f32_4x4x4_16b_bf16 v[12:15], v[72:73], v[28:29], v[12:15]
	v_mfma_f32_4x4x4_16b_bf16 v[8:11], v[60:61], v[28:29], v[8:11]
	v_mfma_f32_4x4x4_16b_bf16 v[4:7], v[52:53], v[28:29], v[4:7]
	v_mfma_f32_4x4x4_16b_bf16 v[0:3], v[48:49], v[28:29], v[0:3]
	v_mfma_f32_4x4x4_16b_bf16 v[16:19], v[86:87], v[30:31], v[16:19]
	v_mfma_f32_4x4x4_16b_bf16 v[12:15], v[74:75], v[30:31], v[12:15]
	v_mfma_f32_4x4x4_16b_bf16 v[8:11], v[62:63], v[30:31], v[8:11]
	v_mfma_f32_4x4x4_16b_bf16 v[4:7], v[54:55], v[30:31], v[4:7]
	v_mfma_f32_4x4x4_16b_bf16 v[0:3], v[50:51], v[30:31], v[0:3]
	s_waitcnt vmcnt(1)
	v_mfma_f32_4x4x4_16b_bf16 v[16:19], v[64:65], v[24:25], v[16:19]
	v_mfma_f32_4x4x4_16b_bf16 v[12:15], v[76:77], v[24:25], v[12:15]
	v_mfma_f32_4x4x4_16b_bf16 v[8:11], v[80:81], v[24:25], v[8:11]
	v_mfma_f32_4x4x4_16b_bf16 v[4:7], v[92:93], v[24:25], v[4:7]
	v_mfma_f32_4x4x4_16b_bf16 v[0:3], v[96:97], v[24:25], v[0:3]
	v_mfma_f32_4x4x4_16b_bf16 v[16:19], v[66:67], v[26:27], v[16:19]
	v_mfma_f32_4x4x4_16b_bf16 v[12:15], v[78:79], v[26:27], v[12:15]
	v_mfma_f32_4x4x4_16b_bf16 v[8:11], v[82:83], v[26:27], v[8:11]
	v_mfma_f32_4x4x4_16b_bf16 v[4:7], v[94:95], v[26:27], v[4:7]
	v_mfma_f32_4x4x4_16b_bf16 v[0:3], v[98:99], v[26:27], v[0:3]
	s_waitcnt vmcnt(0)
	v_mfma_f32_4x4x4_16b_bf16 v[16:19], v[56:57], v[20:21], v[16:19]
	v_mfma_f32_4x4x4_16b_bf16 v[12:15], v[88:89], v[20:21], v[12:15]
	;; [unrolled: 1-line block ×10, first 2 shown]
.LBB295_13:                             ;   in Loop: Header=BB295_14 Depth=2
	s_or_b64 exec, exec, s[8:9]
	s_addk_i32 s55, 0x800
	s_cmp_ge_u32 s55, s20
	s_cbranch_scc1 .LBB295_28
.LBB295_14:                             ;   Parent Loop BB295_7 Depth=1
                                        ; =>  This Loop Header: Depth=2
                                        ;       Child Loop BB295_19 Depth 3
	s_cmp_eq_u32 s55, 0
	s_cselect_b64 s[8:9], -1, 0
	s_add_i32 s28, s54, s38
	s_cmp_eq_u32 s55, s28
	s_cselect_b64 s[30:31], -1, 0
	s_or_b64 s[30:31], s[8:9], s[30:31]
	s_andn2_b64 vcc, exec, s[30:31]
	s_cbranch_vccz .LBB295_16
; %bb.15:                               ;   in Loop: Header=BB295_14 Depth=2
	s_and_saveexec_b64 s[8:9], s[6:7]
	s_cbranch_execz .LBB295_13
	s_branch .LBB295_23
.LBB295_16:                             ;   in Loop: Header=BB295_14 Depth=2
	s_and_b64 s[8:9], s[8:9], exec
	s_cselect_b32 s54, s54, s28
	s_and_b64 vcc, exec, s[4:5]
	s_waitcnt lgkmcnt(0)
	s_barrier
	s_cbranch_vccnz .LBB295_22
; %bb.17:                               ;   in Loop: Header=BB295_14 Depth=2
	scratch_load_dword v20, off, off offset:4 ; 4-byte Folded Reload
	scratch_load_dwordx2 v[22:23], off, off offset:8 ; 8-byte Folded Reload
	scratch_load_dword v25, off, off        ; 4-byte Folded Reload
	v_add_u32_e32 v24, s54, v120
	s_mov_b32 s34, 0
	s_mov_b64 s[28:29], 0
                                        ; implicit-def: $sgpr30_sgpr31
	scratch_load_dword v23, off, off offset:20 ; 4-byte Folded Reload
	s_waitcnt vmcnt(3)
	v_add_u32_e32 v20, s54, v20
	s_waitcnt vmcnt(2)
	v_add_u32_e32 v21, s54, v22
	scratch_load_dword v22, off, off offset:16 ; 4-byte Folded Reload
	s_waitcnt vmcnt(1)
	v_add_u32_e32 v23, s54, v23
	s_waitcnt vmcnt(0)
	v_add_u32_e32 v22, s54, v22
	s_branch .LBB295_19
.LBB295_18:                             ;   in Loop: Header=BB295_19 Depth=3
	s_or_b64 exec, exec, s[8:9]
	s_and_b64 s[8:9], exec, s[30:31]
	s_or_b64 s[28:29], s[8:9], s[28:29]
	s_andn2_b64 exec, exec, s[28:29]
	s_cbranch_execz .LBB295_21
.LBB295_19:                             ;   Parent Loop BB295_7 Depth=1
                                        ;     Parent Loop BB295_14 Depth=2
                                        ; =>    This Inner Loop Header: Depth=3
	v_add_u32_e32 v26, s34, v120
	v_add_u32_e32 v118, s34, v24
	v_cmp_gt_u32_e32 vcc, s22, v118
	v_cmp_gt_u32_e64 s[8:9], s38, v26
	s_and_b64 s[36:37], s[8:9], vcc
	s_or_b64 s[30:31], s[30:31], exec
	s_and_saveexec_b64 s[8:9], s[36:37]
	s_cbranch_execz .LBB295_18
; %bb.20:                               ;   in Loop: Header=BB295_19 Depth=3
	v_lshl_add_u64 v[26:27], v[118:119], 1, s[16:17]
	v_add_u32_e32 v118, s34, v23
	v_lshl_add_u64 v[30:31], v[118:119], 1, s[16:17]
	v_add_u32_e32 v118, s34, v20
	;; [unrolled: 2-line block ×3, first 2 shown]
	v_lshl_add_u64 v[38:39], v[118:119], 1, s[16:17]
	global_load_dwordx4 v[26:29], v[26:27], off
	s_nop 0
	global_load_dwordx4 v[30:33], v[30:31], off
	s_nop 0
	;; [unrolled: 2-line block ×3, first 2 shown]
	global_load_dwordx4 v[38:41], v[38:39], off
	v_add_u32_e32 v118, s34, v22
	v_lshl_add_u64 v[42:43], v[118:119], 1, s[16:17]
	global_load_dwordx4 v[42:45], v[42:43], off
	s_add_i32 s34, s34, s39
	s_cmp_ge_u32 s34, s38
	s_cselect_b64 s[36:37], -1, 0
	s_andn2_b64 s[30:31], s[30:31], exec
	s_and_b64 s[36:37], s[36:37], exec
	v_add_u32_e32 v46, s51, v25
	v_add_u32_e32 v47, s50, v25
	;; [unrolled: 1-line block ×4, first 2 shown]
	s_or_b64 s[30:31], s[30:31], s[36:37]
	s_waitcnt vmcnt(4)
	ds_write_b128 v25, v[26:29]
	v_add_u32_e32 v25, s48, v25
	s_waitcnt vmcnt(3)
	ds_write2_b64 v46, v[30:31], v[32:33] offset1:1
	s_waitcnt vmcnt(2)
	ds_write2_b32 v47, v34, v35 offset1:1
	ds_write2_b32 v47, v36, v37 offset0:2 offset1:3
	s_waitcnt vmcnt(1)
	ds_write2_b64 v48, v[38:39], v[40:41] offset1:1
	s_waitcnt vmcnt(0)
	ds_write2_b64 v49, v[42:43], v[44:45] offset1:1
	s_branch .LBB295_18
.LBB295_21:                             ;   in Loop: Header=BB295_14 Depth=2
	s_or_b64 exec, exec, s[28:29]
.LBB295_22:                             ;   in Loop: Header=BB295_14 Depth=2
	s_waitcnt lgkmcnt(0)
	s_barrier
	s_and_saveexec_b64 s[8:9], s[6:7]
	s_cbranch_execz .LBB295_13
.LBB295_23:                             ;   in Loop: Header=BB295_14 Depth=2
	v_add_u32_e32 v121, s55, v122
	v_min_u32_e32 v118, s40, v121
	v_add_u32_e32 v116, 0x200, v121
	v_lshl_add_u64 v[20:21], v[118:119], 1, v[124:125]
	v_min_u32_e32 v118, s40, v116
	v_add_u32_e32 v123, 0x400, v121
	v_lshl_add_u64 v[22:23], v[118:119], 1, v[124:125]
	;; [unrolled: 3-line block ×3, first 2 shown]
	v_min_u32_e32 v118, s40, v117
	global_load_dwordx4 v[32:35], v[20:21], off nt
	global_load_dwordx4 v[28:31], v[22:23], off nt
	v_lshl_add_u64 v[38:39], v[118:119], 1, v[124:125]
	global_load_dwordx4 v[24:27], v[36:37], off nt
	global_load_dwordx4 v[20:23], v[38:39], off nt
	v_cmp_gt_u32_e32 vcc, s20, v121
	v_mov_b32_e32 v114, 0
	v_mov_b32_e32 v115, 0
	;; [unrolled: 1-line block ×80, first 2 shown]
	s_and_saveexec_b64 s[28:29], vcc
	s_cbranch_execz .LBB295_12
; %bb.24:                               ;   in Loop: Header=BB295_14 Depth=2
	v_subrev_u32_e32 v36, s54, v121
	v_lshlrev_b32_e32 v126, 1, v36
	v_add_u32_e32 v127, s51, v126
	v_add_u32_e32 v121, s51, v127
	;; [unrolled: 1-line block ×4, first 2 shown]
	ds_read_b128 v[100:103], v126
	ds_read_b128 v[68:71], v127
	;; [unrolled: 1-line block ×5, first 2 shown]
	v_cmp_gt_u32_e32 vcc, s20, v116
	v_mov_b32_e32 v85, 0
	v_mov_b32_e32 v84, 0
	;; [unrolled: 1-line block ×60, first 2 shown]
	s_and_saveexec_b64 s[30:31], vcc
	s_cbranch_execz .LBB295_11
; %bb.25:                               ;   in Loop: Header=BB295_14 Depth=2
	ds_read_b128 v[84:87], v126 offset:1024
	ds_read_b128 v[72:75], v127 offset:1024
	;; [unrolled: 1-line block ×4, first 2 shown]
	ds_read2_b64 v[48:51], v122 offset0:128 offset1:129
	v_cmp_gt_u32_e32 vcc, s20, v123
	v_mov_b32_e32 v65, 0
	v_mov_b32_e32 v64, 0
	;; [unrolled: 1-line block ×40, first 2 shown]
	s_and_saveexec_b64 s[34:35], vcc
	s_cbranch_execz .LBB295_10
; %bb.26:                               ;   in Loop: Header=BB295_14 Depth=2
	ds_read_b128 v[64:67], v126 offset:2048
	ds_read_b128 v[76:79], v127 offset:2048
	;; [unrolled: 1-line block ×4, first 2 shown]
	v_add_u32_e32 v116, 0x800, v122
	ds_read2_b64 v[96:99], v116 offset1:1
	v_cmp_gt_u32_e32 vcc, s20, v117
	v_mov_b32_e32 v57, 0
	v_mov_b32_e32 v56, 0
	;; [unrolled: 1-line block ×20, first 2 shown]
	s_and_saveexec_b64 s[36:37], vcc
	s_cbranch_execz .LBB295_9
; %bb.27:                               ;   in Loop: Header=BB295_14 Depth=2
	ds_read_b128 v[56:59], v126 offset:3072
	ds_read_b128 v[88:91], v127 offset:3072
	;; [unrolled: 1-line block ×4, first 2 shown]
	ds_read2_b64 v[112:115], v116 offset0:128 offset1:129
	s_branch .LBB295_9
.LBB295_28:                             ;   in Loop: Header=BB295_7 Depth=1
	scratch_load_dwordx2 v[26:27], off, off offset:28 ; 8-byte Folded Reload
.LBB295_29:                             ;   in Loop: Header=BB295_7 Depth=1
	s_waitcnt vmcnt(0)
	v_cmp_le_u32_e32 vcc, s23, v26
                                        ; implicit-def: $vgpr20
	s_and_saveexec_b64 s[6:7], vcc
	s_xor_b64 s[6:7], exec, s[6:7]
; %bb.30:                               ;   in Loop: Header=BB295_7 Depth=1
	v_add_u32_e32 v20, s42, v26
                                        ; implicit-def: $vgpr26
                                        ; implicit-def: $vgpr3
                                        ; implicit-def: $vgpr7
                                        ; implicit-def: $vgpr11
                                        ; implicit-def: $vgpr15
                                        ; implicit-def: $vgpr19
; %bb.31:                               ;   in Loop: Header=BB295_7 Depth=1
	s_andn2_saveexec_b64 s[8:9], s[6:7]
	s_cbranch_execz .LBB295_6
; %bb.32:                               ;   in Loop: Header=BB295_7 Depth=1
	v_cvt_i32_f32_e32 v9, v9
	v_cvt_i32_f32_e32 v10, v10
	;; [unrolled: 1-line block ×6, first 2 shown]
	v_cvt_f32_i32_dpp v9, v9 row_shl:1 row_mask:0xf bank_mask:0xf bound_ctrl:1
	v_cvt_f32_i32_dpp v10, v10 row_shl:2 row_mask:0xf bank_mask:0xf bound_ctrl:1
	v_cvt_i32_f32_e32 v17, v17
	v_cvt_f32_i32_dpp v13, v13 row_shl:1 row_mask:0xf bank_mask:0xf bound_ctrl:1
	v_cvt_f32_i32_dpp v11, v11 row_shl:3 row_mask:0xf bank_mask:0xf bound_ctrl:1
	v_cvt_i32_f32_e32 v18, v18
	v_cvt_f32_i32_dpp v14, v14 row_shl:2 row_mask:0xf bank_mask:0xf bound_ctrl:1
	v_cvt_f32_i32_dpp v15, v15 row_shl:3 row_mask:0xf bank_mask:0xf bound_ctrl:1
	v_add_f32_e32 v8, v8, v9
	v_add_f32_e32 v8, v8, v10
	v_cvt_f32_i32_dpp v17, v17 row_shl:1 row_mask:0xf bank_mask:0xf bound_ctrl:1
	v_add_f32_e32 v12, v12, v13
	v_add_f32_e32 v8, v8, v11
	v_cvt_f32_i32_dpp v18, v18 row_shl:2 row_mask:0xf bank_mask:0xf bound_ctrl:1
	v_add_f32_e32 v12, v12, v14
	v_cvt_i32_f32_e32 v11, v8
	v_cvt_i32_f32_e32 v5, v5
	v_add_f32_e32 v12, v12, v15
	v_cvt_i32_f32_e32 v13, v12
	v_add_f32_e32 v16, v16, v17
	;; [unrolled: 2-line block ×3, first 2 shown]
	v_cvt_i32_f32_e32 v18, v6
	v_cvt_f32_i32_dpp v11, v11 row_shl:4 row_mask:0xf bank_mask:0xf bound_ctrl:1
	v_cvt_i32_f32_e32 v2, v2
	v_cvt_i32_f32_e32 v19, v19
	v_cvt_f32_i32_dpp v5, v5 row_shl:1 row_mask:0xf bank_mask:0xf bound_ctrl:1
	v_cvt_i32_f32_e32 v7, v7
	v_cvt_i32_f32_e32 v3, v3
	v_cvt_f32_i32_dpp v13, v13 row_shl:4 row_mask:0xf bank_mask:0xf bound_ctrl:1
	v_cvt_f32_i32_dpp v1, v1 row_shl:1 row_mask:0xf bank_mask:0xf bound_ctrl:1
	v_add_f32_e32 v8, v8, v11
	v_cvt_f32_i32_dpp v11, v18 row_shl:2 row_mask:0xf bank_mask:0xf bound_ctrl:1
	v_cvt_f32_i32_dpp v2, v2 row_shl:2 row_mask:0xf bank_mask:0xf bound_ctrl:1
	;; [unrolled: 1-line block ×3, first 2 shown]
	v_add_f32_e32 v4, v4, v5
	v_cvt_f32_i32_dpp v5, v7 row_shl:3 row_mask:0xf bank_mask:0xf bound_ctrl:1
	v_cvt_f32_i32_dpp v3, v3 row_shl:3 row_mask:0xf bank_mask:0xf bound_ctrl:1
	v_add_f32_e32 v10, v12, v13
	v_cvt_i32_f32_e32 v12, v10
	v_add_f32_e32 v0, v0, v1
	v_add_f32_e32 v4, v4, v11
	;; [unrolled: 1-line block ×6, first 2 shown]
	v_cvt_i32_f32_e32 v17, v16
	v_cvt_i32_f32_e32 v5, v4
	;; [unrolled: 1-line block ×3, first 2 shown]
	v_cvt_f32_i32_dpp v12, v12 row_shl:8 row_mask:0xf bank_mask:0xf bound_ctrl:1
	v_cvt_f32_i32_dpp v17, v17 row_shl:4 row_mask:0xf bank_mask:0xf bound_ctrl:1
	;; [unrolled: 1-line block ×4, first 2 shown]
	v_add_f32_e32 v10, v10, v12
	v_cvt_i32_f32_e32 v12, v8
	v_add_f32_e32 v6, v16, v17
	v_add_f32_e32 v3, v4, v3
	;; [unrolled: 1-line block ×3, first 2 shown]
	v_cvt_i32_f32_e32 v16, v6
	v_cvt_f32_i32_dpp v2, v12 row_shl:8 row_mask:0xf bank_mask:0xf bound_ctrl:1
	v_cvt_i32_f32_e32 v4, v3
	v_cvt_i32_f32_e32 v1, v0
	;; [unrolled: 1-line block ×3, first 2 shown]
	v_cvt_f32_i32_dpp v16, v16 row_shl:8 row_mask:0xf bank_mask:0xf bound_ctrl:1
	v_add_f32_e32 v2, v8, v2
	v_cvt_f32_i32_dpp v4, v4 row_shl:8 row_mask:0xf bank_mask:0xf bound_ctrl:1
	v_cvt_f32_i32_dpp v1, v1 row_shl:8 row_mask:0xf bank_mask:0xf bound_ctrl:1
	v_cvt_f32_i32_dpp v5, v10 row_shr:15 row_mask:0xf bank_mask:0xf bound_ctrl:1
	v_cvt_i32_f32_e32 v2, v2
	v_add_f32_e32 v6, v6, v16
	v_add_f32_e32 v3, v3, v4
	;; [unrolled: 1-line block ×3, first 2 shown]
	v_cvt_i32_f32_e32 v6, v6
	v_cvt_i32_f32_e32 v7, v5
	v_cvt_f32_i32_dpp v2, v2 row_shr:15 row_mask:0xf bank_mask:0xf bound_ctrl:1
	v_cvt_i32_f32_e32 v3, v3
	v_cvt_i32_f32_e32 v0, v0
	v_cvt_f32_i32_dpp v6, v6 row_shr:15 row_mask:0xf bank_mask:0xf bound_ctrl:1
	v_cvt_f32_i32_dpp v1, v7 row_bcast:15 row_mask:0xf bank_mask:0xf bound_ctrl:1
	v_cvt_f32_i32_dpp v3, v3 row_shr:15 row_mask:0xf bank_mask:0xf bound_ctrl:1
	v_cvt_i32_f32_e32 v4, v2
	v_cvt_f32_i32_dpp v0, v0 row_shr:15 row_mask:0xf bank_mask:0xf bound_ctrl:1
	v_cvt_i32_f32_e32 v9, v6
	v_add_f32_e32 v10, v5, v1
	v_cvt_i32_f32_e32 v1, v3
	v_cvt_f32_i32_dpp v4, v4 row_bcast:15 row_mask:0xf bank_mask:0xf bound_ctrl:1
	v_cvt_i32_f32_e32 v7, v0
	v_cvt_f32_i32_dpp v9, v9 row_bcast:15 row_mask:0xf bank_mask:0xf bound_ctrl:1
	v_cvt_f32_i32_dpp v1, v1 row_bcast:15 row_mask:0xf bank_mask:0xf bound_ctrl:1
	v_add_f32_e32 v5, v2, v4
	v_cvt_f32_i32_dpp v4, v7 row_bcast:15 row_mask:0xf bank_mask:0xf bound_ctrl:1
	v_add_f32_e32 v6, v6, v9
	v_add_f32_e32 v2, v3, v1
	v_cvt_i32_f32_e32 v9, v6
	v_add_f32_e32 v0, v0, v4
	v_cvt_i32_f32_e32 v8, v10
	v_cvt_i32_f32_e32 v7, v5
	;; [unrolled: 1-line block ×4, first 2 shown]
	v_mov_b32_dpp v9, v9 row_bcast:31 row_mask:0xf bank_mask:0xf bound_ctrl:1
	v_mov_b32_dpp v11, v8 row_bcast:31 row_mask:0xf bank_mask:0xf bound_ctrl:1
	;; [unrolled: 1-line block ×5, first 2 shown]
	s_and_saveexec_b64 s[6:7], s[0:1]
	s_cbranch_execz .LBB295_57
; %bb.33:                               ;   in Loop: Header=BB295_7 Depth=1
	s_andn2_b64 vcc, exec, s[26:27]
	v_mov_b32_e32 v14, 0
	v_mov_b32_e32 v13, 0
	v_mov_b32_e32 v12, 0
	v_mov_b32_e32 v8, 0
	v_mov_b32_e32 v4, 0
	s_cbranch_vccnz .LBB295_35
; %bb.34:                               ;   in Loop: Header=BB295_7 Depth=1
	scratch_load_dword v4, off, off offset:40 ; 4-byte Folded Reload
	v_mov_b32_e32 v13, v119
	s_waitcnt vmcnt(0)
	v_mul_hi_u32 v4, v26, v4
	v_mul_lo_u32 v4, v4, s12
	v_sub_u32_e32 v4, v26, v4
	v_subrev_u32_e32 v8, s12, v4
	v_cmp_le_u32_e32 vcc, s12, v4
	s_nop 1
	v_cndmask_b32_e32 v4, v4, v8, vcc
	v_subrev_u32_e32 v8, s12, v4
	v_cmp_le_u32_e32 vcc, s12, v4
	s_nop 1
	v_cndmask_b32_e32 v118, v4, v8, vcc
	v_add_u32_e32 v12, s43, v118
	v_lshl_add_u64 v[18:19], v[12:13], 1, s[18:19]
	v_add_u32_e32 v12, s44, v118
	v_lshl_add_u64 v[16:17], v[118:119], 1, s[18:19]
	v_lshl_add_u64 v[20:21], v[12:13], 1, s[18:19]
	v_add_u32_e32 v12, s45, v118
	v_add_u32_e32 v118, s46, v118
	v_lshl_add_u64 v[22:23], v[12:13], 1, s[18:19]
	v_lshl_add_u64 v[24:25], v[118:119], 1, s[18:19]
	global_load_ushort v14, v[16:17], off
	global_load_ushort v13, v[18:19], off
	;; [unrolled: 1-line block ×5, first 2 shown]
.LBB295_35:                             ;   in Loop: Header=BB295_7 Depth=1
	scratch_load_dword v15, off, off offset:36 ; 4-byte Folded Reload
	s_waitcnt vmcnt(0)
	v_cmp_ne_u32_e32 vcc, 0, v15
	s_and_b64 exec, exec, vcc
	s_cbranch_execz .LBB295_57
; %bb.36:                               ;   in Loop: Header=BB295_7 Depth=1
	v_cvt_f32_i32_e32 v9, v9
	v_add_f32_e32 v6, v6, v9
	v_lshlrev_b32_e32 v9, 16, v14
	v_add_f32_e32 v9, v6, v9
	v_and_b32_e32 v6, 0x7f800000, v9
	v_cmp_ne_u32_e32 vcc, s52, v6
                                        ; implicit-def: $vgpr6
	s_and_saveexec_b64 s[28:29], vcc
	s_xor_b64 s[28:29], exec, s[28:29]
; %bb.37:                               ;   in Loop: Header=BB295_7 Depth=1
	v_bfe_u32 v6, v9, 16, 1
	v_add3_u32 v6, v9, v6, s53
                                        ; implicit-def: $vgpr9
; %bb.38:                               ;   in Loop: Header=BB295_7 Depth=1
	s_andn2_saveexec_b64 s[28:29], s[28:29]
; %bb.39:                               ;   in Loop: Header=BB295_7 Depth=1
	v_or_b32_e32 v6, 0x10000, v9
	v_cmp_eq_u32_sdwa vcc, v9, v119 src0_sel:WORD_0 src1_sel:DWORD
	s_nop 1
	v_cndmask_b32_e32 v6, v6, v9, vcc
; %bb.40:                               ;   in Loop: Header=BB295_7 Depth=1
	s_or_b64 exec, exec, s[28:29]
	v_cvt_f32_i32_e32 v9, v11
	v_mov_b32_e32 v27, v119
	s_waitcnt lgkmcnt(0)
	v_lshl_add_u64 v[14:15], v[26:27], 1, s[10:11]
	global_store_short_d16_hi v[14:15], v6, off
	v_add_f32_e32 v6, v10, v9
	v_lshlrev_b32_e32 v9, 16, v13
	v_add_f32_e32 v9, v6, v9
	v_and_b32_e32 v6, 0x7f800000, v9
	v_cmp_ne_u32_e32 vcc, s52, v6
                                        ; implicit-def: $vgpr6
	s_and_saveexec_b64 s[28:29], vcc
	s_xor_b64 s[28:29], exec, s[28:29]
; %bb.41:                               ;   in Loop: Header=BB295_7 Depth=1
	v_bfe_u32 v6, v9, 16, 1
	v_add3_u32 v6, v9, v6, s53
                                        ; implicit-def: $vgpr9
; %bb.42:                               ;   in Loop: Header=BB295_7 Depth=1
	s_andn2_saveexec_b64 s[28:29], s[28:29]
; %bb.43:                               ;   in Loop: Header=BB295_7 Depth=1
	v_or_b32_e32 v6, 0x10000, v9
	v_cmp_eq_u32_sdwa vcc, v9, v119 src0_sel:WORD_0 src1_sel:DWORD
	s_nop 1
	v_cndmask_b32_e32 v6, v6, v9, vcc
; %bb.44:                               ;   in Loop: Header=BB295_7 Depth=1
	s_or_b64 exec, exec, s[28:29]
	v_cvt_f32_i32_e32 v7, v7
	v_add_u32_e32 v118, s23, v26
	v_lshl_add_u64 v[10:11], v[118:119], 1, s[10:11]
	global_store_short_d16_hi v[10:11], v6, off
	v_add_f32_e32 v5, v5, v7
	v_lshlrev_b32_e32 v6, 16, v12
	v_add_f32_e32 v6, v5, v6
	v_and_b32_e32 v5, 0x7f800000, v6
	v_cmp_ne_u32_e32 vcc, s52, v5
                                        ; implicit-def: $vgpr5
	s_and_saveexec_b64 s[28:29], vcc
	s_xor_b64 s[28:29], exec, s[28:29]
; %bb.45:                               ;   in Loop: Header=BB295_7 Depth=1
	v_bfe_u32 v5, v6, 16, 1
	v_add3_u32 v5, v6, v5, s53
                                        ; implicit-def: $vgpr6
; %bb.46:                               ;   in Loop: Header=BB295_7 Depth=1
	s_andn2_saveexec_b64 s[28:29], s[28:29]
; %bb.47:                               ;   in Loop: Header=BB295_7 Depth=1
	v_or_b32_e32 v5, 0x10000, v6
	v_cmp_eq_u32_sdwa vcc, v6, v119 src0_sel:WORD_0 src1_sel:DWORD
	s_nop 1
	v_cndmask_b32_e32 v5, v5, v6, vcc
; %bb.48:                               ;   in Loop: Header=BB295_7 Depth=1
	s_or_b64 exec, exec, s[28:29]
	v_cvt_f32_i32_e32 v3, v3
	v_add_u32_e32 v118, s23, v118
	v_lshl_add_u64 v[6:7], v[118:119], 1, s[10:11]
	global_store_short_d16_hi v[6:7], v5, off
	v_add_f32_e32 v2, v2, v3
	v_lshlrev_b32_e32 v3, 16, v8
	v_add_f32_e32 v3, v2, v3
	v_and_b32_e32 v2, 0x7f800000, v3
	v_cmp_ne_u32_e32 vcc, s52, v2
                                        ; implicit-def: $vgpr2
	s_and_saveexec_b64 s[28:29], vcc
	s_xor_b64 s[28:29], exec, s[28:29]
; %bb.49:                               ;   in Loop: Header=BB295_7 Depth=1
	v_bfe_u32 v2, v3, 16, 1
	v_add3_u32 v2, v3, v2, s53
                                        ; implicit-def: $vgpr3
; %bb.50:                               ;   in Loop: Header=BB295_7 Depth=1
	s_andn2_saveexec_b64 s[28:29], s[28:29]
; %bb.51:                               ;   in Loop: Header=BB295_7 Depth=1
	v_or_b32_e32 v2, 0x10000, v3
	v_cmp_eq_u32_sdwa vcc, v3, v119 src0_sel:WORD_0 src1_sel:DWORD
	s_nop 1
	v_cndmask_b32_e32 v2, v2, v3, vcc
; %bb.52:                               ;   in Loop: Header=BB295_7 Depth=1
	s_or_b64 exec, exec, s[28:29]
	v_cvt_f32_i32_e32 v1, v1
	v_add_u32_e32 v118, s23, v118
	v_lshl_add_u64 v[6:7], v[118:119], 1, s[10:11]
	global_store_short_d16_hi v[6:7], v2, off
	v_add_f32_e32 v0, v0, v1
	v_lshlrev_b32_e32 v1, 16, v4
	v_add_f32_e32 v1, v0, v1
	v_and_b32_e32 v0, 0x7f800000, v1
	v_cmp_ne_u32_e32 vcc, s52, v0
                                        ; implicit-def: $vgpr0
	s_and_saveexec_b64 s[28:29], vcc
	s_xor_b64 s[28:29], exec, s[28:29]
; %bb.53:                               ;   in Loop: Header=BB295_7 Depth=1
	v_bfe_u32 v0, v1, 16, 1
	v_add3_u32 v0, v1, v0, s53
                                        ; implicit-def: $vgpr1
; %bb.54:                               ;   in Loop: Header=BB295_7 Depth=1
	s_andn2_saveexec_b64 s[28:29], s[28:29]
; %bb.55:                               ;   in Loop: Header=BB295_7 Depth=1
	v_or_b32_e32 v0, 0x10000, v1
	v_cmp_eq_u32_sdwa vcc, v1, v119 src0_sel:WORD_0 src1_sel:DWORD
	s_nop 1
	v_cndmask_b32_e32 v0, v0, v1, vcc
; %bb.56:                               ;   in Loop: Header=BB295_7 Depth=1
	s_or_b64 exec, exec, s[28:29]
	v_add_u32_e32 v118, s23, v118
	v_lshl_add_u64 v[2:3], v[118:119], 1, s[10:11]
	global_store_short_d16_hi v[2:3], v0, off
.LBB295_57:                             ;   in Loop: Header=BB295_7 Depth=1
	s_or_b64 exec, exec, s[6:7]
	v_add_u32_e32 v20, s42, v26
	v_add_u32_e32 v0, 1, v20
	v_cmp_gt_u32_e32 vcc, s23, v20
	v_cmp_le_u32_e64 s[6:7], s23, v0
	s_and_b64 s[28:29], vcc, s[6:7]
	s_and_saveexec_b64 s[6:7], s[28:29]
	s_cbranch_execz .LBB295_5
; %bb.58:                               ;   in Loop: Header=BB295_7 Depth=1
	v_add_u32_e32 v0, s13, v26
	v_cmp_eq_u32_e32 vcc, 1, v0
	scratch_load_dword v0, off, off offset:36 ; 4-byte Folded Reload
	v_mov_b32_e32 v20, s41
	s_waitcnt vmcnt(0)
	v_cndmask_b32_e32 v0, 0, v0, vcc
	scratch_store_dword off, v0, off offset:36 ; 4-byte Folded Spill
	s_branch .LBB295_5
.LBB295_59:
	s_endpgm
	.section	.rodata,"a",@progbits
	.p2align	6, 0x0
	.amdhsa_kernel _Z16wvSplitK_hf_big_I14__hip_bfloat16Li64ELi1ELi16ELi8ELi4ELi5EEviiiiiiPKT_S3_S3_PS1_ii
		.amdhsa_group_segment_fixed_size 65536
		.amdhsa_private_segment_fixed_size 48
		.amdhsa_kernarg_size 64
		.amdhsa_user_sgpr_count 2
		.amdhsa_user_sgpr_dispatch_ptr 0
		.amdhsa_user_sgpr_queue_ptr 0
		.amdhsa_user_sgpr_kernarg_segment_ptr 1
		.amdhsa_user_sgpr_dispatch_id 0
		.amdhsa_user_sgpr_kernarg_preload_length 0
		.amdhsa_user_sgpr_kernarg_preload_offset 0
		.amdhsa_user_sgpr_private_segment_size 0
		.amdhsa_uses_dynamic_stack 0
		.amdhsa_enable_private_segment 1
		.amdhsa_system_sgpr_workgroup_id_x 1
		.amdhsa_system_sgpr_workgroup_id_y 0
		.amdhsa_system_sgpr_workgroup_id_z 0
		.amdhsa_system_sgpr_workgroup_info 0
		.amdhsa_system_vgpr_workitem_id 1
		.amdhsa_next_free_vgpr 128
		.amdhsa_next_free_sgpr 56
		.amdhsa_accum_offset 128
		.amdhsa_reserve_vcc 1
		.amdhsa_float_round_mode_32 0
		.amdhsa_float_round_mode_16_64 0
		.amdhsa_float_denorm_mode_32 3
		.amdhsa_float_denorm_mode_16_64 3
		.amdhsa_dx10_clamp 1
		.amdhsa_ieee_mode 1
		.amdhsa_fp16_overflow 0
		.amdhsa_tg_split 0
		.amdhsa_exception_fp_ieee_invalid_op 0
		.amdhsa_exception_fp_denorm_src 0
		.amdhsa_exception_fp_ieee_div_zero 0
		.amdhsa_exception_fp_ieee_overflow 0
		.amdhsa_exception_fp_ieee_underflow 0
		.amdhsa_exception_fp_ieee_inexact 0
		.amdhsa_exception_int_div_zero 0
	.end_amdhsa_kernel
	.section	.text._Z16wvSplitK_hf_big_I14__hip_bfloat16Li64ELi1ELi16ELi8ELi4ELi5EEviiiiiiPKT_S3_S3_PS1_ii,"axG",@progbits,_Z16wvSplitK_hf_big_I14__hip_bfloat16Li64ELi1ELi16ELi8ELi4ELi5EEviiiiiiPKT_S3_S3_PS1_ii,comdat
.Lfunc_end295:
	.size	_Z16wvSplitK_hf_big_I14__hip_bfloat16Li64ELi1ELi16ELi8ELi4ELi5EEviiiiiiPKT_S3_S3_PS1_ii, .Lfunc_end295-_Z16wvSplitK_hf_big_I14__hip_bfloat16Li64ELi1ELi16ELi8ELi4ELi5EEviiiiiiPKT_S3_S3_PS1_ii
                                        ; -- End function
	.section	.AMDGPU.csdata,"",@progbits
; Kernel info:
; codeLenInByte = 4468
; NumSgprs: 62
; NumVgprs: 128
; NumAgprs: 0
; TotalNumVgprs: 128
; ScratchSize: 48
; MemoryBound: 0
; FloatMode: 240
; IeeeMode: 1
; LDSByteSize: 65536 bytes/workgroup (compile time only)
; SGPRBlocks: 7
; VGPRBlocks: 15
; NumSGPRsForWavesPerEU: 62
; NumVGPRsForWavesPerEU: 128
; AccumOffset: 128
; Occupancy: 4
; WaveLimiterHint : 0
; COMPUTE_PGM_RSRC2:SCRATCH_EN: 1
; COMPUTE_PGM_RSRC2:USER_SGPR: 2
; COMPUTE_PGM_RSRC2:TRAP_HANDLER: 0
; COMPUTE_PGM_RSRC2:TGID_X_EN: 1
; COMPUTE_PGM_RSRC2:TGID_Y_EN: 0
; COMPUTE_PGM_RSRC2:TGID_Z_EN: 0
; COMPUTE_PGM_RSRC2:TIDIG_COMP_CNT: 1
; COMPUTE_PGM_RSRC3_GFX90A:ACCUM_OFFSET: 31
; COMPUTE_PGM_RSRC3_GFX90A:TG_SPLIT: 0
	.section	.text._Z16wvSplitK_hf_sml_I14__hip_bfloat16Li64ELi2ELi16ELi8ELi2ELi5EEviiiiiiPKT_S3_S3_PS1_ii,"axG",@progbits,_Z16wvSplitK_hf_sml_I14__hip_bfloat16Li64ELi2ELi16ELi8ELi2ELi5EEviiiiiiPKT_S3_S3_PS1_ii,comdat
	.protected	_Z16wvSplitK_hf_sml_I14__hip_bfloat16Li64ELi2ELi16ELi8ELi2ELi5EEviiiiiiPKT_S3_S3_PS1_ii ; -- Begin function _Z16wvSplitK_hf_sml_I14__hip_bfloat16Li64ELi2ELi16ELi8ELi2ELi5EEviiiiiiPKT_S3_S3_PS1_ii
	.globl	_Z16wvSplitK_hf_sml_I14__hip_bfloat16Li64ELi2ELi16ELi8ELi2ELi5EEviiiiiiPKT_S3_S3_PS1_ii
	.p2align	8
	.type	_Z16wvSplitK_hf_sml_I14__hip_bfloat16Li64ELi2ELi16ELi8ELi2ELi5EEviiiiiiPKT_S3_S3_PS1_ii,@function
_Z16wvSplitK_hf_sml_I14__hip_bfloat16Li64ELi2ELi16ELi8ELi2ELi5EEviiiiiiPKT_S3_S3_PS1_ii: ; @_Z16wvSplitK_hf_sml_I14__hip_bfloat16Li64ELi2ELi16ELi8ELi2ELi5EEviiiiiiPKT_S3_S3_PS1_ii
; %bb.0:
	s_load_dwordx4 s[4:7], s[0:1], 0x0
	s_load_dwordx2 s[8:9], s[0:1], 0x10
	s_load_dwordx2 s[10:11], s[0:1], 0x28
	v_and_b32_e32 v2, 0x3ff, v0
	v_bfe_u32 v3, v0, 10, 10
	v_lshlrev_b32_e32 v104, 3, v2
	s_waitcnt lgkmcnt(0)
	s_mul_i32 s3, s6, 5
	v_lshl_add_u32 v4, v3, 9, v104
	s_min_u32 s3, s3, 0x8000
	v_cmp_gt_u32_e32 vcc, s3, v4
	s_and_saveexec_b64 s[12:13], vcc
	s_cbranch_execz .LBB296_3
; %bb.1:
	s_load_dwordx2 s[14:15], s[0:1], 0x20
	v_mov_b32_e32 v7, 0
	v_lshlrev_b32_e32 v6, 10, v3
	v_lshlrev_b32_e32 v8, 4, v2
	v_mov_b32_e32 v9, v7
	v_lshl_add_u64 v[0:1], v[6:7], 0, v[8:9]
	s_waitcnt lgkmcnt(0)
	v_lshl_add_u64 v[0:1], s[14:15], 0, v[0:1]
	v_add_u32_e32 v5, v6, v8
	s_mov_b64 s[14:15], 0
	s_mov_b64 s[16:17], 0x4000
.LBB296_2:                              ; =>This Inner Loop Header: Depth=1
	global_load_dwordx4 v[6:9], v[0:1], off
	v_add_u32_e32 v4, 0x2000, v4
	v_cmp_le_u32_e32 vcc, s3, v4
	v_lshl_add_u64 v[0:1], v[0:1], 0, s[16:17]
	s_or_b64 s[14:15], vcc, s[14:15]
	s_waitcnt vmcnt(0)
	ds_write_b128 v5, v[6:9]
	v_add_u32_e32 v5, 0x4000, v5
	s_andn2_b64 exec, exec, s[14:15]
	s_cbranch_execnz .LBB296_2
.LBB296_3:
	s_or_b64 exec, exec, s[12:13]
	s_load_dwordx2 s[16:17], s[0:1], 0x38
	s_waitcnt lgkmcnt(0)
	s_barrier
	v_cmp_gt_u32_e32 vcc, s16, v3
	s_and_saveexec_b64 s[12:13], vcc
	s_cbranch_execz .LBB296_58
; %bb.4:
	s_mul_i32 s2, s2, s16
	v_add_lshl_u32 v88, s2, v3, 1
	v_cmp_gt_u32_e32 vcc, s7, v88
	s_and_b64 exec, exec, vcc
	s_cbranch_execz .LBB296_58
; %bb.5:
	s_cmp_lg_u32 s4, 0
	s_cselect_b64 s[2:3], -1, 0
	s_add_i32 s24, s4, -8
	s_add_i32 s25, s7, -1
	s_cmp_lg_u64 s[10:11], 0
	s_cselect_b64 s[18:19], -1, 0
	s_abs_i32 s21, s9
	v_cvt_f32_u32_e32 v0, s8
	v_cvt_f32_u32_e32 v1, s21
	s_mul_i32 s20, s16, s17
	s_lshl_b32 s9, s20, 1
	v_rcp_iflag_f32_e32 v0, v0
	v_rcp_iflag_f32_e32 v1, v1
	s_sub_i32 s20, 0, s8
	s_load_dwordx2 s[12:13], s[0:1], 0x18
	s_load_dwordx2 s[14:15], s[0:1], 0x30
	v_mul_f32_e32 v0, 0x4f7ffffe, v0
	v_mul_f32_e32 v1, 0x4f7ffffe, v1
	v_cvt_u32_f32_e32 v0, v0
	v_cvt_u32_f32_e32 v1, v1
	v_cmp_eq_u32_e64 s[0:1], 63, v2
	s_mov_b64 s[16:17], 0
	v_mul_lo_u32 v3, s20, v0
	s_sub_i32 s20, 0, s21
	v_readfirstlane_b32 s22, v1
	s_mul_i32 s20, s20, s22
	s_mul_hi_u32 s20, s22, s20
	s_add_i32 s22, s22, s20
	s_sub_i32 s20, 1, s21
	s_cmp_lt_u32 s21, 2
	s_cselect_b32 s20, s20, 1
	s_sub_i32 s23, s20, s21
	s_cmp_ge_u32 s20, s21
	s_cselect_b32 s26, s23, s20
	s_lshr_b32 s20, s22, 31
	s_mul_i32 s20, s20, s21
	s_sub_i32 s20, 2, s20
	s_sub_i32 s23, s20, s21
	s_cmp_ge_u32 s20, s21
	s_cselect_b32 s20, s23, s20
	s_sub_i32 s23, s20, s21
	s_cmp_ge_u32 s20, s21
	s_cselect_b32 s27, s23, s20
	s_mul_hi_u32 s20, s22, 3
	s_mul_i32 s20, s20, s21
	s_sub_i32 s20, 3, s20
	s_sub_i32 s23, s20, s21
	s_cmp_ge_u32 s20, s21
	s_cselect_b32 s20, s23, s20
	s_sub_i32 s23, s20, s21
	s_cmp_ge_u32 s20, s21
	s_cselect_b32 s28, s23, s20
	s_lshr_b32 s20, s22, 30
	s_mul_i32 s20, s20, s21
	s_sub_i32 s20, 4, s20
	s_sub_i32 s22, s20, s21
	s_cmp_ge_u32 s20, s21
	s_cselect_b32 s20, s22, s20
	s_sub_i32 s22, s20, s21
	v_mul_hi_u32 v3, v0, v3
	s_cmp_ge_u32 s20, s21
	v_add_u32_e32 v105, v0, v3
	s_cselect_b32 s29, s22, s20
	v_cndmask_b32_e64 v0, 0, 1, s[2:3]
	v_mov_b32_e32 v91, 0
	s_mul_i32 s26, s26, s8
	s_mul_i32 s27, s27, s8
	;; [unrolled: 1-line block ×4, first 2 shown]
	s_lshl_b32 s30, s6, 3
	v_lshlrev_b32_e32 v106, 4, v2
	s_mul_i32 s31, s6, 6
	s_lshl_b32 s33, s6, 2
	s_lshl_b32 s6, s6, 1
	v_cmp_ne_u32_e64 s[2:3], 1, v0
	s_mov_b32 s34, 0x7f800000
	s_movk_i32 s35, 0x7fff
	s_branch .LBB296_8
.LBB296_6:                              ;   in Loop: Header=BB296_8 Depth=1
	s_or_b64 exec, exec, s[22:23]
	global_store_short_d16_hi v[0:1], v3, off offset:2
.LBB296_7:                              ;   in Loop: Header=BB296_8 Depth=1
	s_or_b64 exec, exec, s[20:21]
	v_add_u32_e32 v88, s9, v88
	v_cmp_le_u32_e32 vcc, s7, v88
	s_or_b64 s[16:17], vcc, s[16:17]
	s_andn2_b64 exec, exec, s[16:17]
	s_cbranch_execz .LBB296_58
.LBB296_8:                              ; =>This Loop Header: Depth=1
                                        ;     Child Loop BB296_12 Depth 2
	s_and_b64 vcc, exec, s[2:3]
	v_mov_b32_e32 v7, v91
	v_mov_b32_e32 v6, v91
	;; [unrolled: 1-line block ×40, first 2 shown]
	s_cbranch_vccnz .LBB296_15
; %bb.9:                                ;   in Loop: Header=BB296_8 Depth=1
	v_min_u32_e32 v0, s25, v88
	v_mul_lo_u32 v90, v0, s5
	v_or_b32_e32 v0, 1, v88
	v_min_u32_e32 v0, s25, v0
	v_mul_lo_u32 v0, v0, s5
	v_mov_b32_e32 v1, v91
	v_mov_b32_e32 v16, 0
	s_mov_b32 s36, 0
	v_lshlrev_b64 v[92:93], 1, v[90:91]
	v_lshlrev_b64 v[94:95], 1, v[0:1]
	v_mov_b32_e32 v89, v106
	v_mov_b32_e32 v17, v16
	;; [unrolled: 1-line block ×40, first 2 shown]
	s_branch .LBB296_12
.LBB296_10:                             ;   in Loop: Header=BB296_12 Depth=2
	s_or_b64 exec, exec, s[22:23]
.LBB296_11:                             ;   in Loop: Header=BB296_12 Depth=2
	s_or_b64 exec, exec, s[20:21]
	s_waitcnt vmcnt(3) lgkmcnt(1)
	v_mfma_f32_4x4x4_16b_bf16 v[36:39], v[84:85], v[56:57], v[36:39]
	s_addk_i32 s36, 0x400
	s_waitcnt vmcnt(2)
	v_mfma_f32_4x4x4_16b_bf16 v[32:35], v[84:85], v[52:53], v[32:35]
	v_add_u32_e32 v89, 0x800, v89
	v_mfma_f32_4x4x4_16b_bf16 v[28:31], v[80:81], v[56:57], v[28:31]
	s_cmp_ge_u32 s36, s4
	v_mfma_f32_4x4x4_16b_bf16 v[24:27], v[80:81], v[52:53], v[24:27]
	v_mfma_f32_4x4x4_16b_bf16 v[20:23], v[102:103], v[56:57], v[20:23]
	v_mfma_f32_4x4x4_16b_bf16 v[16:19], v[102:103], v[52:53], v[16:19]
	v_mfma_f32_4x4x4_16b_bf16 v[12:15], v[68:69], v[56:57], v[12:15]
	v_mfma_f32_4x4x4_16b_bf16 v[8:11], v[68:69], v[52:53], v[8:11]
	s_waitcnt lgkmcnt(0)
	v_mfma_f32_4x4x4_16b_bf16 v[0:3], v[60:61], v[56:57], v[0:3]
	v_mfma_f32_4x4x4_16b_bf16 v[4:7], v[60:61], v[52:53], v[4:7]
	;; [unrolled: 1-line block ×12, first 2 shown]
	s_waitcnt vmcnt(1)
	v_mfma_f32_4x4x4_16b_bf16 v[36:39], v[76:77], v[44:45], v[36:39]
	s_waitcnt vmcnt(0)
	v_mfma_f32_4x4x4_16b_bf16 v[32:35], v[76:77], v[40:41], v[32:35]
	v_mfma_f32_4x4x4_16b_bf16 v[28:31], v[72:73], v[44:45], v[28:31]
	v_mfma_f32_4x4x4_16b_bf16 v[24:27], v[72:73], v[40:41], v[24:27]
	v_mfma_f32_4x4x4_16b_bf16 v[20:23], v[98:99], v[44:45], v[20:23]
	v_mfma_f32_4x4x4_16b_bf16 v[16:19], v[98:99], v[40:41], v[16:19]
	v_mfma_f32_4x4x4_16b_bf16 v[12:15], v[64:65], v[44:45], v[12:15]
	v_mfma_f32_4x4x4_16b_bf16 v[8:11], v[64:65], v[40:41], v[8:11]
	v_mfma_f32_4x4x4_16b_bf16 v[0:3], v[48:49], v[44:45], v[0:3]
	v_mfma_f32_4x4x4_16b_bf16 v[4:7], v[48:49], v[40:41], v[4:7]
	v_mfma_f32_4x4x4_16b_bf16 v[36:39], v[78:79], v[46:47], v[36:39]
	v_mfma_f32_4x4x4_16b_bf16 v[32:35], v[78:79], v[42:43], v[32:35]
	v_mfma_f32_4x4x4_16b_bf16 v[28:31], v[74:75], v[46:47], v[28:31]
	v_mfma_f32_4x4x4_16b_bf16 v[24:27], v[74:75], v[42:43], v[24:27]
	v_mfma_f32_4x4x4_16b_bf16 v[20:23], v[96:97], v[46:47], v[20:23]
	v_mfma_f32_4x4x4_16b_bf16 v[16:19], v[96:97], v[42:43], v[16:19]
	v_mfma_f32_4x4x4_16b_bf16 v[12:15], v[66:67], v[46:47], v[12:15]
	v_mfma_f32_4x4x4_16b_bf16 v[8:11], v[66:67], v[42:43], v[8:11]
	v_mfma_f32_4x4x4_16b_bf16 v[0:3], v[50:51], v[46:47], v[0:3]
	v_mfma_f32_4x4x4_16b_bf16 v[4:7], v[50:51], v[42:43], v[4:7]
	s_cbranch_scc1 .LBB296_15
.LBB296_12:                             ;   Parent Loop BB296_8 Depth=1
                                        ; =>  This Inner Loop Header: Depth=2
	v_add_u32_e32 v48, s36, v104
	v_min_u32_e32 v90, s24, v48
	s_waitcnt lgkmcnt(0)
	v_lshl_add_u64 v[40:41], v[90:91], 1, s[12:13]
	v_add_u32_e32 v107, 0x200, v48
	v_lshl_add_u64 v[42:43], v[40:41], 0, v[92:93]
	v_lshl_add_u64 v[40:41], v[40:41], 0, v[94:95]
	v_min_u32_e32 v90, s24, v107
	global_load_dwordx4 v[56:59], v[42:43], off nt
	global_load_dwordx4 v[52:55], v[40:41], off nt
	v_lshl_add_u64 v[40:41], v[90:91], 1, s[12:13]
	v_lshl_add_u64 v[42:43], v[40:41], 0, v[92:93]
	;; [unrolled: 1-line block ×3, first 2 shown]
	global_load_dwordx4 v[44:47], v[42:43], off nt
	s_nop 0
	global_load_dwordx4 v[40:43], v[40:41], off nt
	v_cmp_gt_u32_e32 vcc, s4, v48
	v_mov_b32_e32 v50, 0
	v_mov_b32_e32 v51, 0
	;; [unrolled: 1-line block ×40, first 2 shown]
	s_and_saveexec_b64 s[20:21], vcc
	s_cbranch_execz .LBB296_11
; %bb.13:                               ;   in Loop: Header=BB296_12 Depth=2
	v_add_u32_e32 v90, s6, v89
	v_add_u32_e32 v109, s33, v89
	ds_read_b128 v[80:83], v90
	ds_read2_b32 v[102:103], v109 offset1:1
	v_add_u32_e32 v110, s31, v89
	ds_read2_b32 v[100:101], v109 offset0:2 offset1:3
	ds_read_b128 v[68:71], v110
	v_add_u32_e32 v108, s30, v89
	ds_read_b128 v[84:87], v89
	ds_read2_b64 v[60:63], v108 offset1:1
	v_cmp_gt_u32_e32 vcc, s4, v107
	v_mov_b32_e32 v77, 0
	v_mov_b32_e32 v76, 0
	;; [unrolled: 1-line block ×20, first 2 shown]
	s_and_saveexec_b64 s[22:23], vcc
	s_cbranch_execz .LBB296_10
; %bb.14:                               ;   in Loop: Header=BB296_12 Depth=2
	v_add_u32_e32 v48, 0x400, v109
	v_add_u32_e32 v49, 0x408, v109
	ds_read_b128 v[76:79], v89 offset:1024
	ds_read2_b32 v[96:97], v49 offset1:1
	ds_read_b128 v[72:75], v90 offset:1024
	ds_read_b128 v[64:67], v110 offset:1024
	ds_read2_b32 v[98:99], v48 offset1:1
	ds_read2_b64 v[48:51], v108 offset0:128 offset1:129
	s_branch .LBB296_10
.LBB296_15:                             ;   in Loop: Header=BB296_8 Depth=1
	; sched_barrier mask(0x00000000)
	v_cvt_i32_f32_e32 v37, v37
	v_cvt_i32_f32_e32 v38, v38
	;; [unrolled: 1-line block ×4, first 2 shown]
	v_cvt_f32_i32_dpp v37, v37 row_shl:1 row_mask:0xf bank_mask:0xf bound_ctrl:1
	v_cvt_f32_i32_dpp v38, v38 row_shl:2 row_mask:0xf bank_mask:0xf bound_ctrl:1
	;; [unrolled: 1-line block ×3, first 2 shown]
	v_cvt_i32_f32_e32 v34, v34
	v_add_f32_e32 v36, v36, v37
	v_add_f32_e32 v36, v36, v38
	;; [unrolled: 1-line block ×3, first 2 shown]
	v_cvt_i32_f32_e32 v37, v36
	v_cvt_i32_f32_e32 v35, v35
	v_cvt_f32_i32_dpp v33, v33 row_shl:1 row_mask:0xf bank_mask:0xf bound_ctrl:1
	v_cvt_f32_i32_dpp v34, v34 row_shl:2 row_mask:0xf bank_mask:0xf bound_ctrl:1
	v_cvt_f32_i32_dpp v37, v37 row_shl:4 row_mask:0xf bank_mask:0xf bound_ctrl:1
	v_cvt_f32_i32_dpp v35, v35 row_shl:3 row_mask:0xf bank_mask:0xf bound_ctrl:1
	v_add_f32_e32 v32, v32, v33
	v_add_f32_e32 v32, v32, v34
	v_cvt_i32_f32_e32 v29, v29
	v_add_f32_e32 v33, v36, v37
	v_add_f32_e32 v32, v32, v35
	v_cvt_i32_f32_e32 v36, v33
	v_cvt_i32_f32_e32 v34, v32
	;; [unrolled: 1-line block ×4, first 2 shown]
	v_cvt_f32_i32_dpp v29, v29 row_shl:1 row_mask:0xf bank_mask:0xf bound_ctrl:1
	v_cvt_f32_i32_dpp v35, v36 row_shl:8 row_mask:0xf bank_mask:0xf bound_ctrl:1
	;; [unrolled: 1-line block ×5, first 2 shown]
	v_add_f32_e32 v28, v28, v29
	v_add_f32_e32 v33, v33, v35
	;; [unrolled: 1-line block ×4, first 2 shown]
	v_cvt_i32_f32_e32 v33, v33
	v_cvt_i32_f32_e32 v34, v32
	v_add_f32_e32 v28, v28, v31
	v_cvt_i32_f32_e32 v29, v28
	v_cvt_f32_i32_dpp v33, v33 row_shr:15 row_mask:0xf bank_mask:0xf bound_ctrl:1
	v_cvt_f32_i32_dpp v34, v34 row_shl:8 row_mask:0xf bank_mask:0xf bound_ctrl:1
	v_cvt_i32_f32_e32 v25, v25
	v_cvt_f32_i32_dpp v29, v29 row_shl:4 row_mask:0xf bank_mask:0xf bound_ctrl:1
	v_cvt_i32_f32_e32 v30, v33
	v_add_f32_e32 v31, v32, v34
	v_cvt_i32_f32_e32 v26, v26
	v_cvt_i32_f32_e32 v31, v31
	v_add_f32_e32 v32, v28, v29
	v_cvt_i32_f32_e32 v27, v27
	v_cvt_i32_f32_e32 v29, v32
	v_cvt_f32_i32_dpp v25, v25 row_shl:1 row_mask:0xf bank_mask:0xf bound_ctrl:1
	v_cvt_f32_i32_dpp v30, v30 row_bcast:15 row_mask:0xf bank_mask:0xf bound_ctrl:1
	v_cvt_f32_i32_dpp v26, v26 row_shl:2 row_mask:0xf bank_mask:0xf bound_ctrl:1
	v_cvt_f32_i32_dpp v31, v31 row_shr:15 row_mask:0xf bank_mask:0xf bound_ctrl:1
	v_cvt_f32_i32_dpp v27, v27 row_shl:3 row_mask:0xf bank_mask:0xf bound_ctrl:1
	v_cvt_f32_i32_dpp v34, v29 row_shl:8 row_mask:0xf bank_mask:0xf bound_ctrl:1
	v_add_f32_e32 v24, v24, v25
	v_cvt_i32_f32_e32 v21, v21
	v_add_f32_e32 v28, v33, v30
	v_add_f32_e32 v24, v24, v26
	v_cvt_i32_f32_e32 v22, v22
	v_cvt_i32_f32_e32 v30, v28
	;; [unrolled: 1-line block ×3, first 2 shown]
	v_add_f32_e32 v25, v24, v27
	v_cvt_i32_f32_e32 v23, v23
	v_add_f32_e32 v32, v32, v34
	v_cvt_i32_f32_e32 v26, v25
	v_cvt_i32_f32_e32 v32, v32
	v_cvt_f32_i32_dpp v21, v21 row_shl:1 row_mask:0xf bank_mask:0xf bound_ctrl:1
	v_cvt_f32_i32_dpp v22, v22 row_shl:2 row_mask:0xf bank_mask:0xf bound_ctrl:1
	v_mov_b32_dpp v29, v30 row_bcast:31 row_mask:0xf bank_mask:0xf bound_ctrl:1
	v_cvt_f32_i32_dpp v30, v33 row_bcast:15 row_mask:0xf bank_mask:0xf bound_ctrl:1
	v_cvt_f32_i32_dpp v23, v23 row_shl:3 row_mask:0xf bank_mask:0xf bound_ctrl:1
	v_cvt_f32_i32_dpp v26, v26 row_shl:4 row_mask:0xf bank_mask:0xf bound_ctrl:1
	v_cvt_f32_i32_dpp v32, v32 row_shr:15 row_mask:0xf bank_mask:0xf bound_ctrl:1
	v_add_f32_e32 v20, v20, v21
	v_add_f32_e32 v20, v20, v22
	;; [unrolled: 1-line block ×4, first 2 shown]
	v_cvt_i32_f32_e32 v27, v24
	v_add_f32_e32 v25, v25, v26
	v_cvt_i32_f32_e32 v20, v22
	v_cvt_i32_f32_e32 v30, v32
	;; [unrolled: 1-line block ×3, first 2 shown]
	v_mov_b32_dpp v21, v27 row_bcast:31 row_mask:0xf bank_mask:0xf bound_ctrl:1
	v_cvt_f32_i32_dpp v27, v20 row_shl:4 row_mask:0xf bank_mask:0xf bound_ctrl:1
	v_cvt_f32_i32_dpp v23, v30 row_bcast:15 row_mask:0xf bank_mask:0xf bound_ctrl:1
	v_cvt_f32_i32_dpp v26, v26 row_shl:8 row_mask:0xf bank_mask:0xf bound_ctrl:1
	v_cvt_i32_f32_e32 v17, v17
	v_add_f32_e32 v22, v22, v27
	v_cvt_i32_f32_e32 v18, v18
	v_add_f32_e32 v20, v32, v23
	v_add_f32_e32 v23, v25, v26
	v_cvt_i32_f32_e32 v19, v19
	v_cvt_i32_f32_e32 v25, v22
	v_cvt_f32_i32_dpp v17, v17 row_shl:1 row_mask:0xf bank_mask:0xf bound_ctrl:1
	v_cvt_f32_i32_dpp v18, v18 row_shl:2 row_mask:0xf bank_mask:0xf bound_ctrl:1
	;; [unrolled: 1-line block ×4, first 2 shown]
	v_add_f32_e32 v16, v16, v17
	v_add_f32_e32 v16, v16, v18
	v_add_f32_e32 v16, v16, v19
	v_add_f32_e32 v19, v22, v25
	v_cvt_i32_f32_e32 v17, v16
	v_cvt_i32_f32_e32 v19, v19
	;; [unrolled: 1-line block ×7, first 2 shown]
	v_cvt_f32_i32_dpp v17, v17 row_shl:4 row_mask:0xf bank_mask:0xf bound_ctrl:1
	v_cvt_i32_f32_e32 v22, v20
	v_cvt_f32_i32_dpp v19, v19 row_shr:15 row_mask:0xf bank_mask:0xf bound_ctrl:1
	v_cvt_f32_i32_dpp v1, v1 row_shl:1 row_mask:0xf bank_mask:0xf bound_ctrl:1
	v_cvt_f32_i32_dpp v13, v13 row_shl:1 row_mask:0xf bank_mask:0xf bound_ctrl:1
	v_cvt_i32_f32_e32 v9, v9
	v_cvt_f32_i32_dpp v2, v2 row_shl:2 row_mask:0xf bank_mask:0xf bound_ctrl:1
	v_cvt_i32_f32_e32 v3, v3
	;; [unrolled: 2-line block ×4, first 2 shown]
	v_add_f32_e32 v25, v16, v17
	v_mov_b32_dpp v17, v22 row_bcast:31 row_mask:0xf bank_mask:0xf bound_ctrl:1
	v_cvt_i32_f32_e32 v22, v19
	v_add_f32_e32 v0, v0, v1
	v_add_f32_e32 v12, v12, v13
	v_cvt_f32_i32_dpp v9, v9 row_shl:1 row_mask:0xf bank_mask:0xf bound_ctrl:1
	v_add_f32_e32 v0, v0, v2
	v_cvt_f32_i32_dpp v1, v3 row_shl:3 row_mask:0xf bank_mask:0xf bound_ctrl:1
	v_cvt_i32_f32_e32 v2, v5
	v_add_f32_e32 v12, v12, v14
	v_cvt_f32_i32_dpp v10, v10 row_shl:2 row_mask:0xf bank_mask:0xf bound_ctrl:1
	v_cvt_i32_f32_e32 v3, v6
	v_add_f32_e32 v14, v12, v15
	v_cvt_f32_i32_dpp v11, v11 row_shl:3 row_mask:0xf bank_mask:0xf bound_ctrl:1
	v_cvt_i32_f32_e32 v5, v7
	v_cvt_f32_i32_dpp v22, v22 row_bcast:15 row_mask:0xf bank_mask:0xf bound_ctrl:1
	v_cvt_i32_f32_e32 v12, v14
	v_add_f32_e32 v8, v8, v9
	v_add_f32_e32 v0, v0, v1
	v_cvt_f32_i32_dpp v1, v2 row_shl:1 row_mask:0xf bank_mask:0xf bound_ctrl:1
	v_add_f32_e32 v8, v8, v10
	v_cvt_f32_i32_dpp v2, v3 row_shl:2 row_mask:0xf bank_mask:0xf bound_ctrl:1
	;; [unrolled: 2-line block ×4, first 2 shown]
	v_cvt_i32_f32_e32 v10, v9
	v_add_f32_e32 v1, v4, v1
	v_add_f32_e32 v1, v1, v2
	;; [unrolled: 1-line block ×4, first 2 shown]
	v_cvt_f32_i32_dpp v10, v10 row_shl:4 row_mask:0xf bank_mask:0xf bound_ctrl:1
	v_cvt_i32_f32_e32 v5, v0
	v_cvt_i32_f32_e32 v2, v1
	;; [unrolled: 1-line block ×4, first 2 shown]
	v_add_f32_e32 v9, v9, v10
	v_cvt_f32_i32_dpp v4, v5 row_shl:4 row_mask:0xf bank_mask:0xf bound_ctrl:1
	v_cvt_f32_i32_dpp v2, v2 row_shl:4 row_mask:0xf bank_mask:0xf bound_ctrl:1
	v_cvt_f32_i32_dpp v18, v23 row_shr:15 row_mask:0xf bank_mask:0xf bound_ctrl:1
	v_cvt_f32_i32_dpp v19, v19 row_shl:8 row_mask:0xf bank_mask:0xf bound_ctrl:1
	v_cvt_i32_f32_e32 v10, v9
	v_add_f32_e32 v0, v0, v4
	v_add_f32_e32 v1, v1, v2
	v_cvt_i32_f32_e32 v23, v18
	v_cvt_i32_f32_e32 v16, v25
	v_add_f32_e32 v14, v14, v19
	v_cvt_f32_i32_dpp v3, v10 row_shl:8 row_mask:0xf bank_mask:0xf bound_ctrl:1
	v_cvt_i32_f32_e32 v4, v0
	v_cvt_i32_f32_e32 v2, v1
	;; [unrolled: 1-line block ×3, first 2 shown]
	v_cvt_f32_i32_dpp v23, v23 row_bcast:15 row_mask:0xf bank_mask:0xf bound_ctrl:1
	v_cvt_f32_i32_dpp v26, v16 row_shl:8 row_mask:0xf bank_mask:0xf bound_ctrl:1
	v_add_f32_e32 v3, v9, v3
	v_cvt_f32_i32_dpp v4, v4 row_shl:8 row_mask:0xf bank_mask:0xf bound_ctrl:1
	v_cvt_f32_i32_dpp v2, v2 row_shl:8 row_mask:0xf bank_mask:0xf bound_ctrl:1
	v_cvt_f32_i32_dpp v5, v14 row_shr:15 row_mask:0xf bank_mask:0xf bound_ctrl:1
	v_cvt_i32_f32_e32 v3, v3
	v_add_f32_e32 v16, v18, v23
	v_add_f32_e32 v23, v25, v26
	;; [unrolled: 1-line block ×4, first 2 shown]
	v_cvt_i32_f32_e32 v23, v23
	v_cvt_i32_f32_e32 v6, v5
	v_cvt_f32_i32_dpp v3, v3 row_shr:15 row_mask:0xf bank_mask:0xf bound_ctrl:1
	v_cvt_i32_f32_e32 v0, v0
	v_cvt_i32_f32_e32 v1, v1
	v_cvt_f32_i32_dpp v23, v23 row_shr:15 row_mask:0xf bank_mask:0xf bound_ctrl:1
	v_cvt_f32_i32_dpp v2, v6 row_bcast:15 row_mask:0xf bank_mask:0xf bound_ctrl:1
	v_cvt_f32_i32_dpp v0, v0 row_shr:15 row_mask:0xf bank_mask:0xf bound_ctrl:1
	v_cvt_i32_f32_e32 v4, v3
	v_cvt_f32_i32_dpp v1, v1 row_shr:15 row_mask:0xf bank_mask:0xf bound_ctrl:1
	v_cvt_i32_f32_e32 v18, v16
	v_cvt_i32_f32_e32 v25, v23
	v_add_f32_e32 v10, v5, v2
	v_cvt_i32_f32_e32 v2, v0
	v_cvt_f32_i32_dpp v4, v4 row_bcast:15 row_mask:0xf bank_mask:0xf bound_ctrl:1
	v_cvt_i32_f32_e32 v5, v1
	v_mov_b32_dpp v15, v18 row_bcast:31 row_mask:0xf bank_mask:0xf bound_ctrl:1
	v_cvt_f32_i32_dpp v18, v25 row_bcast:15 row_mask:0xf bank_mask:0xf bound_ctrl:1
	v_cvt_f32_i32_dpp v2, v2 row_bcast:15 row_mask:0xf bank_mask:0xf bound_ctrl:1
	v_add_f32_e32 v6, v3, v4
	v_cvt_f32_i32_dpp v3, v5 row_bcast:15 row_mask:0xf bank_mask:0xf bound_ctrl:1
	v_add_f32_e32 v12, v23, v18
	v_add_f32_e32 v4, v0, v2
	v_cvt_i32_f32_e32 v22, v13
	v_add_f32_e32 v2, v1, v3
	v_cvt_i32_f32_e32 v18, v12
	v_cvt_i32_f32_e32 v7, v10
	;; [unrolled: 1-line block ×5, first 2 shown]
	v_mov_b32_dpp v11, v22 row_bcast:31 row_mask:0xf bank_mask:0xf bound_ctrl:1
	v_mov_b32_dpp v8, v18 row_bcast:31 row_mask:0xf bank_mask:0xf bound_ctrl:1
	v_mov_b32_dpp v14, v7 row_bcast:31 row_mask:0xf bank_mask:0xf bound_ctrl:1
	v_mov_b32_dpp v7, v5 row_bcast:31 row_mask:0xf bank_mask:0xf bound_ctrl:1
	v_mov_b32_dpp v5, v0 row_bcast:31 row_mask:0xf bank_mask:0xf bound_ctrl:1
	v_mov_b32_dpp v3, v1 row_bcast:31 row_mask:0xf bank_mask:0xf bound_ctrl:1
	s_and_saveexec_b64 s[20:21], s[0:1]
	s_cbranch_execz .LBB296_7
; %bb.16:                               ;   in Loop: Header=BB296_8 Depth=1
	s_andn2_b64 vcc, exec, s[18:19]
	v_mov_b32_e32 v0, 0
	v_mov_b32_e32 v30, 0
	;; [unrolled: 1-line block ×10, first 2 shown]
	s_cbranch_vccnz .LBB296_18
; %bb.17:                               ;   in Loop: Header=BB296_8 Depth=1
	v_mul_hi_u32 v0, v88, v105
	v_mul_lo_u32 v0, v0, s8
	v_sub_u32_e32 v0, v88, v0
	v_subrev_u32_e32 v1, s8, v0
	v_cmp_le_u32_e32 vcc, s8, v0
	v_mov_b32_e32 v19, v91
	s_nop 0
	v_cndmask_b32_e32 v0, v0, v1, vcc
	v_subrev_u32_e32 v1, s8, v0
	v_cmp_le_u32_e32 vcc, s8, v0
	s_nop 1
	v_cndmask_b32_e32 v90, v0, v1, vcc
	v_or_b32_e32 v0, 1, v88
	v_mul_hi_u32 v1, v0, v105
	v_mul_lo_u32 v1, v1, s8
	v_sub_u32_e32 v0, v0, v1
	v_subrev_u32_e32 v1, s8, v0
	v_cmp_le_u32_e32 vcc, s8, v0
	v_lshl_add_u64 v[32:33], v[90:91], 1, s[10:11]
	s_nop 0
	v_cndmask_b32_e32 v0, v0, v1, vcc
	v_subrev_u32_e32 v1, s8, v0
	v_cmp_le_u32_e32 vcc, s8, v0
	s_nop 1
	v_cndmask_b32_e32 v18, v0, v1, vcc
	v_add_u32_e32 v0, s26, v90
	v_mov_b32_e32 v1, v91
	v_lshl_add_u64 v[36:37], v[0:1], 1, s[10:11]
	v_add_u32_e32 v0, s26, v18
	v_lshl_add_u64 v[38:39], v[0:1], 1, s[10:11]
	v_add_u32_e32 v0, s27, v90
	v_lshl_add_u64 v[40:41], v[0:1], 1, s[10:11]
	v_add_u32_e32 v0, s27, v18
	v_lshl_add_u64 v[42:43], v[0:1], 1, s[10:11]
	v_add_u32_e32 v0, s28, v90
	v_lshl_add_u64 v[44:45], v[0:1], 1, s[10:11]
	v_add_u32_e32 v0, s28, v18
	v_lshl_add_u64 v[34:35], v[18:19], 1, s[10:11]
	v_lshl_add_u64 v[46:47], v[0:1], 1, s[10:11]
	global_load_ushort v0, v[32:33], off
	global_load_ushort v30, v[34:35], off
	;; [unrolled: 1-line block ×8, first 2 shown]
	v_add_u32_e32 v90, s29, v90
	v_lshl_add_u64 v[32:33], v[90:91], 1, s[10:11]
	v_add_u32_e32 v90, s29, v18
	v_lshl_add_u64 v[34:35], v[90:91], 1, s[10:11]
	global_load_ushort v18, v[32:33], off
	global_load_ushort v9, v[34:35], off
.LBB296_18:                             ;   in Loop: Header=BB296_8 Depth=1
	v_cvt_f32_i32_e32 v1, v29
	s_waitcnt vmcnt(9)
	v_lshlrev_b32_e32 v0, 16, v0
	v_add_f32_e32 v1, v28, v1
	v_add_f32_e32 v0, v1, v0
	v_and_b32_e32 v1, 0x7f800000, v0
	v_cmp_ne_u32_e32 vcc, s34, v1
                                        ; implicit-def: $vgpr28
	s_and_saveexec_b64 s[22:23], vcc
	s_xor_b64 s[22:23], exec, s[22:23]
; %bb.19:                               ;   in Loop: Header=BB296_8 Depth=1
	v_bfe_u32 v1, v0, 16, 1
	v_add3_u32 v28, v0, v1, s35
                                        ; implicit-def: $vgpr0
; %bb.20:                               ;   in Loop: Header=BB296_8 Depth=1
	s_andn2_saveexec_b64 s[22:23], s[22:23]
; %bb.21:                               ;   in Loop: Header=BB296_8 Depth=1
	v_or_b32_e32 v1, 0x10000, v0
	v_cmp_eq_u32_sdwa vcc, v0, v91 src0_sel:WORD_0 src1_sel:DWORD
	s_nop 1
	v_cndmask_b32_e32 v28, v1, v0, vcc
; %bb.22:                               ;   in Loop: Header=BB296_8 Depth=1
	s_or_b64 exec, exec, s[22:23]
	v_cvt_f32_i32_e32 v21, v21
	v_mov_b32_e32 v89, v91
	s_waitcnt lgkmcnt(0)
	v_lshl_add_u64 v[0:1], v[88:89], 1, s[14:15]
	global_store_short_d16_hi v[0:1], v28, off
	v_add_f32_e32 v21, v24, v21
	s_waitcnt vmcnt(9)
	v_lshlrev_b32_e32 v24, 16, v30
	v_add_f32_e32 v21, v21, v24
	v_and_b32_e32 v24, 0x7f800000, v21
	v_cmp_ne_u32_e32 vcc, s34, v24
                                        ; implicit-def: $vgpr24
	s_and_saveexec_b64 s[22:23], vcc
	s_xor_b64 s[22:23], exec, s[22:23]
; %bb.23:                               ;   in Loop: Header=BB296_8 Depth=1
	v_bfe_u32 v24, v21, 16, 1
	v_add3_u32 v24, v21, v24, s35
                                        ; implicit-def: $vgpr21
; %bb.24:                               ;   in Loop: Header=BB296_8 Depth=1
	s_andn2_saveexec_b64 s[22:23], s[22:23]
; %bb.25:                               ;   in Loop: Header=BB296_8 Depth=1
	v_or_b32_e32 v24, 0x10000, v21
	v_cmp_eq_u32_sdwa vcc, v21, v91 src0_sel:WORD_0 src1_sel:DWORD
	s_nop 1
	v_cndmask_b32_e32 v24, v24, v21, vcc
; %bb.26:                               ;   in Loop: Header=BB296_8 Depth=1
	s_or_b64 exec, exec, s[22:23]
	v_cvt_f32_i32_e32 v17, v17
	global_store_short_d16_hi v[0:1], v24, off offset:2
	s_waitcnt vmcnt(9)
	v_lshlrev_b32_e32 v1, 16, v27
	v_add_f32_e32 v0, v20, v17
	v_add_f32_e32 v1, v0, v1
	v_and_b32_e32 v0, 0x7f800000, v1
	v_cmp_ne_u32_e32 vcc, s34, v0
                                        ; implicit-def: $vgpr0
	s_and_saveexec_b64 s[22:23], vcc
	s_xor_b64 s[22:23], exec, s[22:23]
; %bb.27:                               ;   in Loop: Header=BB296_8 Depth=1
	v_bfe_u32 v0, v1, 16, 1
	v_add3_u32 v0, v1, v0, s35
                                        ; implicit-def: $vgpr1
; %bb.28:                               ;   in Loop: Header=BB296_8 Depth=1
	s_andn2_saveexec_b64 s[22:23], s[22:23]
; %bb.29:                               ;   in Loop: Header=BB296_8 Depth=1
	v_or_b32_e32 v0, 0x10000, v1
	v_cmp_eq_u32_sdwa vcc, v1, v91 src0_sel:WORD_0 src1_sel:DWORD
	s_nop 1
	v_cndmask_b32_e32 v0, v0, v1, vcc
; %bb.30:                               ;   in Loop: Header=BB296_8 Depth=1
	s_or_b64 exec, exec, s[22:23]
	v_cvt_f32_i32_e32 v1, v15
	v_add_u32_e32 v90, s7, v88
	v_lshl_add_u64 v[20:21], v[90:91], 1, s[14:15]
	global_store_short_d16_hi v[20:21], v0, off
	v_add_f32_e32 v0, v16, v1
	s_waitcnt vmcnt(9)
	v_lshlrev_b32_e32 v1, 16, v26
	v_add_f32_e32 v1, v0, v1
	v_and_b32_e32 v0, 0x7f800000, v1
	v_cmp_ne_u32_e32 vcc, s34, v0
                                        ; implicit-def: $vgpr0
	s_and_saveexec_b64 s[22:23], vcc
	s_xor_b64 s[22:23], exec, s[22:23]
; %bb.31:                               ;   in Loop: Header=BB296_8 Depth=1
	v_bfe_u32 v0, v1, 16, 1
	v_add3_u32 v0, v1, v0, s35
                                        ; implicit-def: $vgpr1
; %bb.32:                               ;   in Loop: Header=BB296_8 Depth=1
	s_andn2_saveexec_b64 s[22:23], s[22:23]
; %bb.33:                               ;   in Loop: Header=BB296_8 Depth=1
	v_or_b32_e32 v0, 0x10000, v1
	v_cmp_eq_u32_sdwa vcc, v1, v91 src0_sel:WORD_0 src1_sel:DWORD
	s_nop 1
	v_cndmask_b32_e32 v0, v0, v1, vcc
; %bb.34:                               ;   in Loop: Header=BB296_8 Depth=1
	s_or_b64 exec, exec, s[22:23]
	v_cvt_f32_i32_e32 v1, v11
	v_add_u32_e32 v16, 1, v90
	v_mov_b32_e32 v17, v91
	v_lshl_add_u64 v[16:17], v[16:17], 1, s[14:15]
	v_add_f32_e32 v1, v13, v1
	global_store_short_d16_hi v[16:17], v0, off
	s_waitcnt vmcnt(9)
	v_lshlrev_b32_e32 v0, 16, v25
	v_add_f32_e32 v0, v1, v0
	v_and_b32_e32 v1, 0x7f800000, v0
	v_cmp_ne_u32_e32 vcc, s34, v1
                                        ; implicit-def: $vgpr11
	s_and_saveexec_b64 s[22:23], vcc
	s_xor_b64 s[22:23], exec, s[22:23]
; %bb.35:                               ;   in Loop: Header=BB296_8 Depth=1
	v_bfe_u32 v1, v0, 16, 1
	v_add3_u32 v11, v0, v1, s35
                                        ; implicit-def: $vgpr0
; %bb.36:                               ;   in Loop: Header=BB296_8 Depth=1
	s_andn2_saveexec_b64 s[22:23], s[22:23]
; %bb.37:                               ;   in Loop: Header=BB296_8 Depth=1
	v_or_b32_e32 v1, 0x10000, v0
	v_cmp_eq_u32_sdwa vcc, v0, v91 src0_sel:WORD_0 src1_sel:DWORD
	s_nop 1
	v_cndmask_b32_e32 v11, v1, v0, vcc
; %bb.38:                               ;   in Loop: Header=BB296_8 Depth=1
	s_or_b64 exec, exec, s[22:23]
	v_cvt_f32_i32_e32 v8, v8
	v_add_u32_e32 v90, s7, v90
	v_lshl_add_u64 v[0:1], v[90:91], 1, s[14:15]
	global_store_short_d16_hi v[0:1], v11, off
	v_add_f32_e32 v8, v12, v8
	s_waitcnt vmcnt(9)
	v_lshlrev_b32_e32 v11, 16, v23
	v_add_f32_e32 v8, v8, v11
	v_and_b32_e32 v11, 0x7f800000, v8
	v_cmp_ne_u32_e32 vcc, s34, v11
                                        ; implicit-def: $vgpr11
	s_and_saveexec_b64 s[22:23], vcc
	s_xor_b64 s[22:23], exec, s[22:23]
; %bb.39:                               ;   in Loop: Header=BB296_8 Depth=1
	v_bfe_u32 v11, v8, 16, 1
	v_add3_u32 v11, v8, v11, s35
                                        ; implicit-def: $vgpr8
; %bb.40:                               ;   in Loop: Header=BB296_8 Depth=1
	s_andn2_saveexec_b64 s[22:23], s[22:23]
; %bb.41:                               ;   in Loop: Header=BB296_8 Depth=1
	v_or_b32_e32 v11, 0x10000, v8
	v_cmp_eq_u32_sdwa vcc, v8, v91 src0_sel:WORD_0 src1_sel:DWORD
	s_nop 1
	v_cndmask_b32_e32 v11, v11, v8, vcc
; %bb.42:                               ;   in Loop: Header=BB296_8 Depth=1
	s_or_b64 exec, exec, s[22:23]
	v_cvt_f32_i32_e32 v8, v14
	global_store_short_d16_hi v[0:1], v11, off offset:2
	s_waitcnt vmcnt(9)
	v_lshlrev_b32_e32 v1, 16, v22
	v_add_f32_e32 v0, v10, v8
	v_add_f32_e32 v1, v0, v1
	v_and_b32_e32 v0, 0x7f800000, v1
	v_cmp_ne_u32_e32 vcc, s34, v0
                                        ; implicit-def: $vgpr0
	s_and_saveexec_b64 s[22:23], vcc
	s_xor_b64 s[22:23], exec, s[22:23]
; %bb.43:                               ;   in Loop: Header=BB296_8 Depth=1
	v_bfe_u32 v0, v1, 16, 1
	v_add3_u32 v0, v1, v0, s35
                                        ; implicit-def: $vgpr1
; %bb.44:                               ;   in Loop: Header=BB296_8 Depth=1
	s_andn2_saveexec_b64 s[22:23], s[22:23]
; %bb.45:                               ;   in Loop: Header=BB296_8 Depth=1
	v_or_b32_e32 v0, 0x10000, v1
	v_cmp_eq_u32_sdwa vcc, v1, v91 src0_sel:WORD_0 src1_sel:DWORD
	s_nop 1
	v_cndmask_b32_e32 v0, v0, v1, vcc
; %bb.46:                               ;   in Loop: Header=BB296_8 Depth=1
	s_or_b64 exec, exec, s[22:23]
	v_cvt_f32_i32_e32 v1, v7
	v_add_u32_e32 v90, s7, v90
	v_lshl_add_u64 v[10:11], v[90:91], 1, s[14:15]
	global_store_short_d16_hi v[10:11], v0, off
	v_add_f32_e32 v0, v6, v1
	s_waitcnt vmcnt(9)
	v_lshlrev_b32_e32 v1, 16, v19
	v_add_f32_e32 v1, v0, v1
	v_and_b32_e32 v0, 0x7f800000, v1
	v_cmp_ne_u32_e32 vcc, s34, v0
                                        ; implicit-def: $vgpr0
	s_and_saveexec_b64 s[22:23], vcc
	s_xor_b64 s[22:23], exec, s[22:23]
; %bb.47:                               ;   in Loop: Header=BB296_8 Depth=1
	v_bfe_u32 v0, v1, 16, 1
	v_add3_u32 v0, v1, v0, s35
                                        ; implicit-def: $vgpr1
; %bb.48:                               ;   in Loop: Header=BB296_8 Depth=1
	s_andn2_saveexec_b64 s[22:23], s[22:23]
; %bb.49:                               ;   in Loop: Header=BB296_8 Depth=1
	v_or_b32_e32 v0, 0x10000, v1
	v_cmp_eq_u32_sdwa vcc, v1, v91 src0_sel:WORD_0 src1_sel:DWORD
	s_nop 1
	v_cndmask_b32_e32 v0, v0, v1, vcc
; %bb.50:                               ;   in Loop: Header=BB296_8 Depth=1
	s_or_b64 exec, exec, s[22:23]
	v_cvt_f32_i32_e32 v1, v5
	v_add_u32_e32 v6, 1, v90
	v_mov_b32_e32 v7, v91
	v_lshl_add_u64 v[6:7], v[6:7], 1, s[14:15]
	v_add_f32_e32 v1, v4, v1
	global_store_short_d16_hi v[6:7], v0, off
	s_waitcnt vmcnt(9)
	v_lshlrev_b32_e32 v0, 16, v18
	v_add_f32_e32 v0, v1, v0
	v_and_b32_e32 v1, 0x7f800000, v0
	v_cmp_ne_u32_e32 vcc, s34, v1
                                        ; implicit-def: $vgpr4
	s_and_saveexec_b64 s[22:23], vcc
	s_xor_b64 s[22:23], exec, s[22:23]
; %bb.51:                               ;   in Loop: Header=BB296_8 Depth=1
	v_bfe_u32 v1, v0, 16, 1
	v_add3_u32 v4, v0, v1, s35
                                        ; implicit-def: $vgpr0
; %bb.52:                               ;   in Loop: Header=BB296_8 Depth=1
	s_andn2_saveexec_b64 s[22:23], s[22:23]
; %bb.53:                               ;   in Loop: Header=BB296_8 Depth=1
	v_or_b32_e32 v1, 0x10000, v0
	v_cmp_eq_u32_sdwa vcc, v0, v91 src0_sel:WORD_0 src1_sel:DWORD
	s_nop 1
	v_cndmask_b32_e32 v4, v1, v0, vcc
; %bb.54:                               ;   in Loop: Header=BB296_8 Depth=1
	s_or_b64 exec, exec, s[22:23]
	v_cvt_f32_i32_e32 v3, v3
	v_add_u32_e32 v90, s7, v90
	v_lshl_add_u64 v[0:1], v[90:91], 1, s[14:15]
	global_store_short_d16_hi v[0:1], v4, off
	v_add_f32_e32 v2, v2, v3
	s_waitcnt vmcnt(9)
	v_lshlrev_b32_e32 v3, 16, v9
	v_add_f32_e32 v2, v2, v3
	v_and_b32_e32 v3, 0x7f800000, v2
	v_cmp_ne_u32_e32 vcc, s34, v3
                                        ; implicit-def: $vgpr3
	s_and_saveexec_b64 s[22:23], vcc
	s_xor_b64 s[22:23], exec, s[22:23]
; %bb.55:                               ;   in Loop: Header=BB296_8 Depth=1
	v_bfe_u32 v3, v2, 16, 1
	v_add3_u32 v3, v2, v3, s35
                                        ; implicit-def: $vgpr2
; %bb.56:                               ;   in Loop: Header=BB296_8 Depth=1
	s_andn2_saveexec_b64 s[22:23], s[22:23]
	s_cbranch_execz .LBB296_6
; %bb.57:                               ;   in Loop: Header=BB296_8 Depth=1
	v_or_b32_e32 v3, 0x10000, v2
	v_cmp_eq_u32_sdwa vcc, v2, v91 src0_sel:WORD_0 src1_sel:DWORD
	s_nop 1
	v_cndmask_b32_e32 v3, v3, v2, vcc
	s_branch .LBB296_6
.LBB296_58:
	s_endpgm
	.section	.rodata,"a",@progbits
	.p2align	6, 0x0
	.amdhsa_kernel _Z16wvSplitK_hf_sml_I14__hip_bfloat16Li64ELi2ELi16ELi8ELi2ELi5EEviiiiiiPKT_S3_S3_PS1_ii
		.amdhsa_group_segment_fixed_size 65536
		.amdhsa_private_segment_fixed_size 0
		.amdhsa_kernarg_size 64
		.amdhsa_user_sgpr_count 2
		.amdhsa_user_sgpr_dispatch_ptr 0
		.amdhsa_user_sgpr_queue_ptr 0
		.amdhsa_user_sgpr_kernarg_segment_ptr 1
		.amdhsa_user_sgpr_dispatch_id 0
		.amdhsa_user_sgpr_kernarg_preload_length 0
		.amdhsa_user_sgpr_kernarg_preload_offset 0
		.amdhsa_user_sgpr_private_segment_size 0
		.amdhsa_uses_dynamic_stack 0
		.amdhsa_enable_private_segment 0
		.amdhsa_system_sgpr_workgroup_id_x 1
		.amdhsa_system_sgpr_workgroup_id_y 0
		.amdhsa_system_sgpr_workgroup_id_z 0
		.amdhsa_system_sgpr_workgroup_info 0
		.amdhsa_system_vgpr_workitem_id 1
		.amdhsa_next_free_vgpr 111
		.amdhsa_next_free_sgpr 37
		.amdhsa_accum_offset 112
		.amdhsa_reserve_vcc 1
		.amdhsa_float_round_mode_32 0
		.amdhsa_float_round_mode_16_64 0
		.amdhsa_float_denorm_mode_32 3
		.amdhsa_float_denorm_mode_16_64 3
		.amdhsa_dx10_clamp 1
		.amdhsa_ieee_mode 1
		.amdhsa_fp16_overflow 0
		.amdhsa_tg_split 0
		.amdhsa_exception_fp_ieee_invalid_op 0
		.amdhsa_exception_fp_denorm_src 0
		.amdhsa_exception_fp_ieee_div_zero 0
		.amdhsa_exception_fp_ieee_overflow 0
		.amdhsa_exception_fp_ieee_underflow 0
		.amdhsa_exception_fp_ieee_inexact 0
		.amdhsa_exception_int_div_zero 0
	.end_amdhsa_kernel
	.section	.text._Z16wvSplitK_hf_sml_I14__hip_bfloat16Li64ELi2ELi16ELi8ELi2ELi5EEviiiiiiPKT_S3_S3_PS1_ii,"axG",@progbits,_Z16wvSplitK_hf_sml_I14__hip_bfloat16Li64ELi2ELi16ELi8ELi2ELi5EEviiiiiiPKT_S3_S3_PS1_ii,comdat
.Lfunc_end296:
	.size	_Z16wvSplitK_hf_sml_I14__hip_bfloat16Li64ELi2ELi16ELi8ELi2ELi5EEviiiiiiPKT_S3_S3_PS1_ii, .Lfunc_end296-_Z16wvSplitK_hf_sml_I14__hip_bfloat16Li64ELi2ELi16ELi8ELi2ELi5EEviiiiiiPKT_S3_S3_PS1_ii
                                        ; -- End function
	.section	.AMDGPU.csdata,"",@progbits
; Kernel info:
; codeLenInByte = 4524
; NumSgprs: 43
; NumVgprs: 111
; NumAgprs: 0
; TotalNumVgprs: 111
; ScratchSize: 0
; MemoryBound: 0
; FloatMode: 240
; IeeeMode: 1
; LDSByteSize: 65536 bytes/workgroup (compile time only)
; SGPRBlocks: 5
; VGPRBlocks: 13
; NumSGPRsForWavesPerEU: 43
; NumVGPRsForWavesPerEU: 111
; AccumOffset: 112
; Occupancy: 4
; WaveLimiterHint : 0
; COMPUTE_PGM_RSRC2:SCRATCH_EN: 0
; COMPUTE_PGM_RSRC2:USER_SGPR: 2
; COMPUTE_PGM_RSRC2:TRAP_HANDLER: 0
; COMPUTE_PGM_RSRC2:TGID_X_EN: 1
; COMPUTE_PGM_RSRC2:TGID_Y_EN: 0
; COMPUTE_PGM_RSRC2:TGID_Z_EN: 0
; COMPUTE_PGM_RSRC2:TIDIG_COMP_CNT: 1
; COMPUTE_PGM_RSRC3_GFX90A:ACCUM_OFFSET: 27
; COMPUTE_PGM_RSRC3_GFX90A:TG_SPLIT: 0
	.section	.text._Z12wvSplitK_hf_I14__hip_bfloat16Li64ELi2ELi16ELi8ELi2ELi5EEviiiiiiPKT_S3_S3_PS1_ii,"axG",@progbits,_Z12wvSplitK_hf_I14__hip_bfloat16Li64ELi2ELi16ELi8ELi2ELi5EEviiiiiiPKT_S3_S3_PS1_ii,comdat
	.protected	_Z12wvSplitK_hf_I14__hip_bfloat16Li64ELi2ELi16ELi8ELi2ELi5EEviiiiiiPKT_S3_S3_PS1_ii ; -- Begin function _Z12wvSplitK_hf_I14__hip_bfloat16Li64ELi2ELi16ELi8ELi2ELi5EEviiiiiiPKT_S3_S3_PS1_ii
	.globl	_Z12wvSplitK_hf_I14__hip_bfloat16Li64ELi2ELi16ELi8ELi2ELi5EEviiiiiiPKT_S3_S3_PS1_ii
	.p2align	8
	.type	_Z12wvSplitK_hf_I14__hip_bfloat16Li64ELi2ELi16ELi8ELi2ELi5EEviiiiiiPKT_S3_S3_PS1_ii,@function
_Z12wvSplitK_hf_I14__hip_bfloat16Li64ELi2ELi16ELi8ELi2ELi5EEviiiiiiPKT_S3_S3_PS1_ii: ; @_Z12wvSplitK_hf_I14__hip_bfloat16Li64ELi2ELi16ELi8ELi2ELi5EEviiiiiiPKT_S3_S3_PS1_ii
; %bb.0:
	s_load_dwordx2 s[4:5], s[0:1], 0x38
	s_load_dwordx4 s[8:11], s[0:1], 0x0
	s_load_dwordx2 s[16:17], s[0:1], 0x10
	v_bfe_u32 v3, v0, 10, 10
	s_mov_b32 s6, 1
	s_waitcnt lgkmcnt(0)
	s_mul_i32 s2, s2, s4
	v_add_lshl_u32 v98, s2, v3, 1
	v_add_u32_e32 v1, 2, v98
	v_cmp_gt_u32_e32 vcc, s11, v98
	v_cmp_le_u32_e64 s[2:3], s11, v1
	s_mov_b32 s7, s6
	s_and_b64 s[12:13], vcc, s[2:3]
	v_mov_b64_e32 v[96:97], s[6:7]
	s_and_saveexec_b64 s[2:3], s[12:13]
	s_cbranch_execz .LBB297_6
; %bb.1:
	s_add_i32 s20, s11, -2
	v_cmp_ne_u32_e32 vcc, s20, v98
	v_mov_b64_e32 v[96:97], s[6:7]
	s_and_saveexec_b64 s[6:7], vcc
	s_cbranch_execz .LBB297_5
; %bb.2:
	v_subrev_u32_e32 v1, s20, v98
	s_mov_b32 s12, 1
	v_cmp_lt_u32_e32 vcc, 1, v1
	s_mov_b64 s[14:15], 0
	s_mov_b64 s[18:19], 0
	v_cndmask_b32_e32 v2, 1, v1, vcc
	s_mov_b32 s13, s12
.LBB297_3:                              ; =>This Inner Loop Header: Depth=1
	s_cmp_lg_u32 s18, 1
	s_cselect_b32 s13, s13, 0
	s_cmp_lg_u32 s18, 0
	s_cselect_b32 s12, s12, 0
	s_add_u32 s18, s18, 1
	s_addc_u32 s19, s19, 0
	v_cmp_eq_u32_e32 vcc, s18, v2
	s_or_b64 s[14:15], vcc, s[14:15]
	v_mov_b64_e32 v[96:97], s[12:13]
	s_andn2_b64 exec, exec, s[14:15]
	s_cbranch_execnz .LBB297_3
; %bb.4:
	s_or_b64 exec, exec, s[14:15]
	v_mov_b32_e32 v98, s20
.LBB297_5:
	s_or_b64 exec, exec, s[6:7]
.LBB297_6:
	s_or_b64 exec, exec, s[2:3]
	s_load_dwordx4 s[12:15], s[0:1], 0x20
	v_and_b32_e32 v2, 0x3ff, v0
	v_lshlrev_b32_e32 v100, 3, v2
	s_mul_i32 s2, s10, 5
	v_lshl_add_u32 v4, v3, 9, v100
	s_min_u32 s20, s2, 0x8000
	v_cmp_gt_u32_e32 vcc, s20, v4
	s_and_saveexec_b64 s[2:3], vcc
	s_cbranch_execz .LBB297_9
; %bb.7:
	v_mov_b32_e32 v7, 0
	v_lshlrev_b32_e32 v6, 10, v3
	v_lshlrev_b32_e32 v8, 4, v2
	v_mov_b32_e32 v9, v7
	v_lshl_add_u64 v[0:1], v[6:7], 0, v[8:9]
	s_waitcnt lgkmcnt(0)
	v_lshl_add_u64 v[0:1], s[12:13], 0, v[0:1]
	v_add_u32_e32 v5, v6, v8
	s_mov_b64 s[6:7], 0
	s_mov_b64 s[18:19], 0x4000
.LBB297_8:                              ; =>This Inner Loop Header: Depth=1
	global_load_dwordx4 v[6:9], v[0:1], off
	v_add_u32_e32 v4, 0x2000, v4
	v_cmp_le_u32_e32 vcc, s20, v4
	v_lshl_add_u64 v[0:1], v[0:1], 0, s[18:19]
	s_or_b64 s[6:7], vcc, s[6:7]
	s_waitcnt vmcnt(0)
	ds_write_b128 v5, v[6:9]
	v_add_u32_e32 v5, 0x4000, v5
	s_andn2_b64 exec, exec, s[6:7]
	s_cbranch_execnz .LBB297_8
.LBB297_9:
	s_or_b64 exec, exec, s[2:3]
	v_cmp_gt_u32_e32 vcc, s4, v3
	v_cmp_gt_u32_e64 s[2:3], s11, v98
	s_and_b64 s[2:3], vcc, s[2:3]
	s_waitcnt lgkmcnt(0)
	s_barrier
	s_and_saveexec_b64 s[6:7], s[2:3]
	s_cbranch_execz .LBB297_128
; %bb.10:
	s_cmp_lg_u32 s8, 0
	s_cselect_b64 s[2:3], -1, 0
	s_add_i32 s33, s8, -8
	s_add_i32 s36, s11, -1
	s_mul_i32 s4, s4, s5
	s_cmp_lg_u64 s[14:15], 0
	s_cselect_b64 s[24:25], -1, 0
	s_lshl_b32 s37, s4, 1
	s_abs_i32 s4, s17
	v_cvt_f32_u32_e32 v0, s16
	v_cvt_f32_u32_e32 v1, s4
	s_sub_i32 s5, 0, s16
	s_add_i32 s38, s11, -2
	v_rcp_iflag_f32_e32 v0, v0
	v_rcp_iflag_f32_e32 v1, v1
	s_lshl_b32 s17, s10, 1
	s_load_dwordx2 s[18:19], s[0:1], 0x18
	s_load_dwordx2 s[20:21], s[0:1], 0x30
	v_mul_f32_e32 v0, 0x4f7ffffe, v0
	v_mul_f32_e32 v1, 0x4f7ffffe, v1
	v_cvt_u32_f32_e32 v0, v0
	v_cvt_u32_f32_e32 v1, v1
	v_cmp_eq_u32_e64 s[0:1], 63, v2
	s_mov_b64 s[22:23], 0
	v_mul_lo_u32 v3, s5, v0
	s_sub_i32 s5, 0, s4
	v_readfirstlane_b32 s6, v1
	s_mul_i32 s5, s5, s6
	s_mul_hi_u32 s5, s6, s5
	s_add_i32 s6, s6, s5
	s_sub_i32 s5, 1, s4
	s_cmp_lt_u32 s4, 2
	s_cselect_b32 s5, s5, 1
	s_sub_i32 s7, s5, s4
	s_cmp_ge_u32 s5, s4
	s_cselect_b32 s39, s7, s5
	s_lshr_b32 s5, s6, 31
	s_mul_i32 s5, s5, s4
	s_sub_i32 s5, 2, s5
	s_sub_i32 s7, s5, s4
	s_cmp_ge_u32 s5, s4
	s_cselect_b32 s5, s7, s5
	s_sub_i32 s7, s5, s4
	s_cmp_ge_u32 s5, s4
	s_cselect_b32 s40, s7, s5
	s_mul_hi_u32 s5, s6, 3
	s_mul_i32 s5, s5, s4
	s_sub_i32 s5, 3, s5
	s_sub_i32 s7, s5, s4
	s_cmp_ge_u32 s5, s4
	s_cselect_b32 s5, s7, s5
	s_sub_i32 s7, s5, s4
	s_cmp_ge_u32 s5, s4
	s_cselect_b32 s41, s7, s5
	s_lshr_b32 s5, s6, 30
	s_mul_i32 s5, s5, s4
	s_sub_i32 s5, 4, s5
	s_sub_i32 s6, s5, s4
	s_cmp_ge_u32 s5, s4
	s_cselect_b32 s5, s6, s5
	v_mul_hi_u32 v3, v0, v3
	s_sub_i32 s6, s5, s4
	v_add_u32_e32 v101, v0, v3
	s_cmp_ge_u32 s5, s4
	s_cselect_b32 s42, s6, s5
	s_lshl_b32 s43, s10, 2
	v_mad_u64_u32 v[104:105], s[4:5], s10, 3, v[100:101]
	v_cndmask_b32_e64 v0, 0, 1, s[2:3]
	v_mov_b32_e32 v103, 0
	s_mul_i32 s39, s39, s16
	s_mul_i32 s40, s40, s16
	;; [unrolled: 1-line block ×4, first 2 shown]
	v_lshlrev_b32_e32 v120, 4, v2
	v_add_u32_e32 v121, s17, v100
	s_mul_i32 s44, s10, 6
	s_lshl_b32 s45, s10, 3
	v_add_u32_e32 v105, s43, v100
	v_add_u32_e32 v122, s10, v100
	v_cmp_ne_u32_e64 s[2:3], 1, v0
	s_movk_i32 s10, 0x7fff
	s_mov_b32 s46, 0x7f800000
	s_mov_b32 s26, 0
	s_branch .LBB297_13
.LBB297_11:                             ;   in Loop: Header=BB297_13 Depth=1
	s_or_b64 exec, exec, s[28:29]
	v_mov_b32_e32 v98, s38
.LBB297_12:                             ;   in Loop: Header=BB297_13 Depth=1
	s_or_b64 exec, exec, s[6:7]
	v_cmp_le_u32_e32 vcc, s11, v98
	s_or_b64 s[22:23], vcc, s[22:23]
	s_andn2_b64 exec, exec, s[22:23]
	s_cbranch_execz .LBB297_128
.LBB297_13:                             ; =>This Loop Header: Depth=1
                                        ;     Child Loop BB297_18 Depth 2
                                        ;     Child Loop BB297_126 Depth 2
	s_and_b64 vcc, exec, s[2:3]
	v_add_u32_e32 v106, 1, v98
	v_mov_b32_e32 v7, v103
	v_mov_b32_e32 v6, v103
	s_waitcnt vmcnt(0)
	v_mov_b32_e32 v5, v103
	v_mov_b32_e32 v4, v103
	;; [unrolled: 1-line block ×38, first 2 shown]
	s_cbranch_vccnz .LBB297_60
; %bb.14:                               ;   in Loop: Header=BB297_13 Depth=1
	v_min_u32_e32 v0, s36, v98
	v_mul_lo_u32 v102, v0, s9
	v_min_u32_e32 v0, s36, v106
	v_mul_lo_u32 v0, v0, s9
	v_mov_b32_e32 v1, v103
	v_mov_b32_e32 v16, 0
	s_mov_b32 s4, 0
	v_lshlrev_b64 v[108:109], 1, v[102:103]
	v_lshlrev_b64 v[110:111], 1, v[0:1]
	v_mov_b32_e32 v99, v120
	s_mov_b32 s34, 0
	v_mov_b32_e32 v17, v16
	v_mov_b32_e32 v18, v16
	v_mov_b32_e32 v19, v16
	v_mov_b32_e32 v20, v16
	v_mov_b32_e32 v21, v16
	v_mov_b32_e32 v22, v16
	v_mov_b32_e32 v23, v16
	v_mov_b32_e32 v24, v16
	v_mov_b32_e32 v25, v16
	v_mov_b32_e32 v26, v16
	v_mov_b32_e32 v27, v16
	v_mov_b32_e32 v28, v16
	v_mov_b32_e32 v29, v16
	v_mov_b32_e32 v30, v16
	v_mov_b32_e32 v31, v16
	v_mov_b32_e32 v32, v16
	v_mov_b32_e32 v33, v16
	v_mov_b32_e32 v34, v16
	v_mov_b32_e32 v35, v16
	v_mov_b32_e32 v36, v16
	v_mov_b32_e32 v37, v16
	v_mov_b32_e32 v38, v16
	v_mov_b32_e32 v39, v16
	v_mov_b32_e32 v12, v16
	v_mov_b32_e32 v13, v16
	v_mov_b32_e32 v14, v16
	v_mov_b32_e32 v15, v16
	v_mov_b32_e32 v8, v16
	v_mov_b32_e32 v9, v16
	v_mov_b32_e32 v10, v16
	v_mov_b32_e32 v11, v16
	v_mov_b32_e32 v0, v16
	v_mov_b32_e32 v1, v16
	v_mov_b32_e32 v2, v16
	v_mov_b32_e32 v3, v16
	v_mov_b32_e32 v4, v16
	v_mov_b32_e32 v5, v16
	v_mov_b32_e32 v6, v16
	v_mov_b32_e32 v7, v16
	s_branch .LBB297_18
.LBB297_15:                             ;   in Loop: Header=BB297_18 Depth=2
	s_or_b64 exec, exec, s[30:31]
.LBB297_16:                             ;   in Loop: Header=BB297_18 Depth=2
	s_or_b64 exec, exec, s[28:29]
.LBB297_17:                             ;   in Loop: Header=BB297_18 Depth=2
	s_or_b64 exec, exec, s[6:7]
	s_waitcnt vmcnt(0) lgkmcnt(0)
	v_mfma_f32_4x4x4_16b_bf16 v[36:39], v[56:57], v[48:49], v[36:39]
	s_addk_i32 s34, 0x400
	v_mfma_f32_4x4x4_16b_bf16 v[32:35], v[56:57], v[44:45], v[32:35]
	v_add_u32_e32 v99, 0x800, v99
	v_mfma_f32_4x4x4_16b_bf16 v[28:31], v[60:61], v[48:49], v[28:31]
	s_cmp_ge_u32 s34, s8
	v_mfma_f32_4x4x4_16b_bf16 v[24:27], v[60:61], v[44:45], v[24:27]
	v_mfma_f32_4x4x4_16b_bf16 v[20:23], v[64:65], v[48:49], v[20:23]
	;; [unrolled: 1-line block ×37, first 2 shown]
	s_cbranch_scc1 .LBB297_60
.LBB297_18:                             ;   Parent Loop BB297_13 Depth=1
                                        ; =>  This Inner Loop Header: Depth=2
	v_add_u32_e32 v114, s34, v100
	v_min_u32_e32 v102, s33, v114
	s_waitcnt lgkmcnt(0)
	v_lshl_add_u64 v[40:41], v[102:103], 1, s[18:19]
	v_add_u32_e32 v112, 0x200, v114
	v_lshl_add_u64 v[42:43], v[40:41], 0, v[108:109]
	v_lshl_add_u64 v[40:41], v[40:41], 0, v[110:111]
	v_min_u32_e32 v102, s33, v112
	global_load_dwordx4 v[48:51], v[42:43], off nt
	global_load_dwordx4 v[44:47], v[40:41], off nt
	v_lshl_add_u64 v[40:41], v[102:103], 1, s[18:19]
	v_lshl_add_u64 v[42:43], v[40:41], 0, v[108:109]
	;; [unrolled: 1-line block ×3, first 2 shown]
	global_load_dwordx4 v[52:55], v[42:43], off nt
	s_nop 0
	global_load_dwordx4 v[40:43], v[40:41], off nt
	s_mov_b32 s5, s4
	v_cmp_gt_u32_e32 vcc, s8, v114
	v_mov_b64_e32 v[56:57], s[4:5]
	v_mov_b32_e32 v89, 0
	v_mov_b32_e32 v88, 0
	v_mov_b32_e32 v91, 0
	v_mov_b32_e32 v90, 0
	v_mov_b64_e32 v[58:59], s[4:5]
	v_mov_b64_e32 v[76:77], s[4:5]
	;; [unrolled: 1-line block ×17, first 2 shown]
	s_and_saveexec_b64 s[6:7], vcc
	s_cbranch_execz .LBB297_17
; %bb.19:                               ;   in Loop: Header=BB297_18 Depth=2
	v_cmp_lt_u32_e32 vcc, s10, v114
                                        ; implicit-def: $vgpr56_vgpr57
	s_and_saveexec_b64 s[28:29], vcc
	s_xor_b64 s[28:29], exec, s[28:29]
	s_cbranch_execz .LBB297_21
; %bb.20:                               ;   in Loop: Header=BB297_18 Depth=2
	v_mov_b32_e32 v115, v103
	v_lshl_add_u64 v[56:57], v[114:115], 1, s[12:13]
	global_load_dwordx4 v[56:59], v[56:57], off
.LBB297_21:                             ;   in Loop: Header=BB297_18 Depth=2
	s_andn2_saveexec_b64 s[28:29], s[28:29]
	s_cbranch_execz .LBB297_23
; %bb.22:                               ;   in Loop: Header=BB297_18 Depth=2
	s_waitcnt vmcnt(0)
	ds_read_b128 v[56:59], v99
.LBB297_23:                             ;   in Loop: Header=BB297_18 Depth=2
	s_or_b64 exec, exec, s[28:29]
	v_add_u32_e32 v102, s34, v122
	v_cmp_lt_u32_e32 vcc, s10, v102
                                        ; implicit-def: $vgpr60_vgpr61
	s_and_saveexec_b64 s[28:29], vcc
	s_xor_b64 s[28:29], exec, s[28:29]
	s_cbranch_execz .LBB297_25
; %bb.24:                               ;   in Loop: Header=BB297_18 Depth=2
	v_lshl_add_u64 v[60:61], v[102:103], 1, s[12:13]
	global_load_dwordx4 v[60:63], v[60:61], off
.LBB297_25:                             ;   in Loop: Header=BB297_18 Depth=2
	s_andn2_saveexec_b64 s[28:29], s[28:29]
	s_cbranch_execz .LBB297_27
; %bb.26:                               ;   in Loop: Header=BB297_18 Depth=2
	s_waitcnt vmcnt(0)
	v_add_u32_e32 v60, s17, v99
	ds_read_b128 v[60:63], v60
.LBB297_27:                             ;   in Loop: Header=BB297_18 Depth=2
	s_or_b64 exec, exec, s[28:29]
	v_add_u32_e32 v118, s34, v121
	v_cmp_lt_u32_e32 vcc, s10, v118
                                        ; implicit-def: $vgpr64_vgpr65
	s_and_saveexec_b64 s[28:29], vcc
	s_xor_b64 s[28:29], exec, s[28:29]
	s_cbranch_execz .LBB297_29
; %bb.28:                               ;   in Loop: Header=BB297_18 Depth=2
	v_mov_b32_e32 v119, v103
	v_lshl_add_u64 v[64:65], v[118:119], 1, s[12:13]
	global_load_dwordx4 v[64:67], v[64:65], off
.LBB297_29:                             ;   in Loop: Header=BB297_18 Depth=2
	s_andn2_saveexec_b64 s[28:29], s[28:29]
	s_cbranch_execz .LBB297_31
; %bb.30:                               ;   in Loop: Header=BB297_18 Depth=2
	s_waitcnt vmcnt(0)
	v_add_u32_e32 v66, s43, v99
	ds_read2_b32 v[64:65], v66 offset1:1
	ds_read2_b32 v[66:67], v66 offset0:2 offset1:3
.LBB297_31:                             ;   in Loop: Header=BB297_18 Depth=2
	s_or_b64 exec, exec, s[28:29]
	v_add_u32_e32 v116, s34, v104
	v_cmp_lt_u32_e32 vcc, s10, v116
                                        ; implicit-def: $vgpr68_vgpr69
	s_and_saveexec_b64 s[28:29], vcc
	s_xor_b64 s[28:29], exec, s[28:29]
	s_cbranch_execz .LBB297_33
; %bb.32:                               ;   in Loop: Header=BB297_18 Depth=2
	v_mov_b32_e32 v117, v103
	v_lshl_add_u64 v[68:69], v[116:117], 1, s[12:13]
	global_load_dwordx4 v[68:71], v[68:69], off
.LBB297_33:                             ;   in Loop: Header=BB297_18 Depth=2
	s_andn2_saveexec_b64 s[28:29], s[28:29]
	s_cbranch_execz .LBB297_35
; %bb.34:                               ;   in Loop: Header=BB297_18 Depth=2
	s_waitcnt vmcnt(0)
	v_add_u32_e32 v68, s44, v99
	ds_read_b128 v[68:71], v68
.LBB297_35:                             ;   in Loop: Header=BB297_18 Depth=2
	s_or_b64 exec, exec, s[28:29]
	v_add_u32_e32 v114, s34, v105
	v_cmp_lt_u32_e32 vcc, s10, v114
                                        ; implicit-def: $vgpr72_vgpr73
	s_and_saveexec_b64 s[28:29], vcc
	s_xor_b64 s[28:29], exec, s[28:29]
	s_cbranch_execz .LBB297_37
; %bb.36:                               ;   in Loop: Header=BB297_18 Depth=2
	v_mov_b32_e32 v115, v103
	v_lshl_add_u64 v[72:73], v[114:115], 1, s[12:13]
	global_load_dwordx4 v[72:75], v[72:73], off
.LBB297_37:                             ;   in Loop: Header=BB297_18 Depth=2
	s_andn2_saveexec_b64 s[28:29], s[28:29]
	s_cbranch_execz .LBB297_39
; %bb.38:                               ;   in Loop: Header=BB297_18 Depth=2
	s_waitcnt vmcnt(0)
	v_add_u32_e32 v72, s45, v99
	ds_read2_b64 v[72:75], v72 offset1:1
.LBB297_39:                             ;   in Loop: Header=BB297_18 Depth=2
	s_or_b64 exec, exec, s[28:29]
	s_mov_b32 s27, s26
	v_cmp_gt_u32_e32 vcc, s8, v112
	v_mov_b32_e32 v89, 0
	v_mov_b64_e32 v[76:77], s[26:27]
	v_mov_b32_e32 v88, 0
	v_mov_b32_e32 v91, 0
	v_mov_b32_e32 v90, 0
	v_mov_b64_e32 v[78:79], s[26:27]
	v_mov_b64_e32 v[80:81], s[26:27]
	;; [unrolled: 1-line block ×7, first 2 shown]
	s_and_saveexec_b64 s[28:29], vcc
	s_cbranch_execz .LBB297_16
; %bb.40:                               ;   in Loop: Header=BB297_18 Depth=2
	v_cmp_lt_u32_e32 vcc, s10, v112
                                        ; implicit-def: $vgpr76_vgpr77
	s_and_saveexec_b64 s[30:31], vcc
	s_xor_b64 s[30:31], exec, s[30:31]
	s_cbranch_execz .LBB297_42
; %bb.41:                               ;   in Loop: Header=BB297_18 Depth=2
	v_mov_b32_e32 v113, v103
	v_lshl_add_u64 v[76:77], v[112:113], 1, s[12:13]
	global_load_dwordx4 v[76:79], v[76:77], off
.LBB297_42:                             ;   in Loop: Header=BB297_18 Depth=2
	s_andn2_saveexec_b64 s[30:31], s[30:31]
	s_cbranch_execz .LBB297_44
; %bb.43:                               ;   in Loop: Header=BB297_18 Depth=2
	s_waitcnt vmcnt(0)
	ds_read_b128 v[76:79], v99 offset:1024
.LBB297_44:                             ;   in Loop: Header=BB297_18 Depth=2
	s_or_b64 exec, exec, s[30:31]
	v_add_u32_e32 v102, 0x200, v102
	v_cmp_lt_u32_e32 vcc, s10, v102
                                        ; implicit-def: $vgpr80_vgpr81
	s_and_saveexec_b64 s[30:31], vcc
	s_xor_b64 s[30:31], exec, s[30:31]
	s_cbranch_execz .LBB297_46
; %bb.45:                               ;   in Loop: Header=BB297_18 Depth=2
	v_lshl_add_u64 v[80:81], v[102:103], 1, s[12:13]
	global_load_dwordx4 v[80:83], v[80:81], off
.LBB297_46:                             ;   in Loop: Header=BB297_18 Depth=2
	s_andn2_saveexec_b64 s[30:31], s[30:31]
	s_cbranch_execz .LBB297_48
; %bb.47:                               ;   in Loop: Header=BB297_18 Depth=2
	s_waitcnt vmcnt(0)
	v_add_u32_e32 v80, s17, v99
	ds_read_b128 v[80:83], v80 offset:1024
.LBB297_48:                             ;   in Loop: Header=BB297_18 Depth=2
	s_or_b64 exec, exec, s[30:31]
	v_add_u32_e32 v102, 0x200, v118
	v_cmp_lt_u32_e32 vcc, s10, v102
                                        ; implicit-def: $vgpr84_vgpr85
	s_and_saveexec_b64 s[30:31], vcc
	s_xor_b64 s[30:31], exec, s[30:31]
	s_cbranch_execz .LBB297_50
; %bb.49:                               ;   in Loop: Header=BB297_18 Depth=2
	v_lshl_add_u64 v[84:85], v[102:103], 1, s[12:13]
	global_load_dwordx4 v[84:87], v[84:85], off
.LBB297_50:                             ;   in Loop: Header=BB297_18 Depth=2
	s_andn2_saveexec_b64 s[30:31], s[30:31]
	s_cbranch_execz .LBB297_52
; %bb.51:                               ;   in Loop: Header=BB297_18 Depth=2
	s_waitcnt vmcnt(0)
	v_add_u32_e32 v84, s43, v99
	v_add_u32_e32 v85, 0x400, v84
	v_add_u32_e32 v86, 0x408, v84
	ds_read2_b32 v[84:85], v85 offset1:1
	ds_read2_b32 v[86:87], v86 offset1:1
.LBB297_52:                             ;   in Loop: Header=BB297_18 Depth=2
	s_or_b64 exec, exec, s[30:31]
	v_add_u32_e32 v102, 0x200, v116
	v_cmp_lt_u32_e32 vcc, s10, v102
                                        ; implicit-def: $vgpr92_vgpr93
	s_and_saveexec_b64 s[30:31], vcc
	s_xor_b64 s[30:31], exec, s[30:31]
	s_cbranch_execz .LBB297_54
; %bb.53:                               ;   in Loop: Header=BB297_18 Depth=2
	v_lshl_add_u64 v[88:89], v[102:103], 1, s[12:13]
	global_load_dwordx4 v[92:95], v[88:89], off
.LBB297_54:                             ;   in Loop: Header=BB297_18 Depth=2
	s_andn2_saveexec_b64 s[30:31], s[30:31]
	s_cbranch_execz .LBB297_56
; %bb.55:                               ;   in Loop: Header=BB297_18 Depth=2
	v_add_u32_e32 v88, s44, v99
	s_waitcnt vmcnt(0)
	ds_read_b128 v[92:95], v88 offset:1024
.LBB297_56:                             ;   in Loop: Header=BB297_18 Depth=2
	s_or_b64 exec, exec, s[30:31]
	v_add_u32_e32 v102, 0x200, v114
	v_cmp_lt_u32_e32 vcc, s10, v102
                                        ; implicit-def: $vgpr89
	s_and_saveexec_b64 s[30:31], vcc
	s_xor_b64 s[30:31], exec, s[30:31]
	s_cbranch_execz .LBB297_58
; %bb.57:                               ;   in Loop: Header=BB297_18 Depth=2
	v_lshl_add_u64 v[88:89], v[102:103], 1, s[12:13]
	global_load_dwordx4 v[88:91], v[88:89], off
.LBB297_58:                             ;   in Loop: Header=BB297_18 Depth=2
	s_andn2_saveexec_b64 s[30:31], s[30:31]
	s_cbranch_execz .LBB297_15
; %bb.59:                               ;   in Loop: Header=BB297_18 Depth=2
	s_waitcnt vmcnt(0)
	v_add_u32_e32 v88, s45, v99
	ds_read2_b64 v[88:91], v88 offset0:128 offset1:129
	s_branch .LBB297_15
.LBB297_60:                             ;   in Loop: Header=BB297_13 Depth=1
	v_cvt_i32_f32_e32 v37, v37
	v_cvt_i32_f32_e32 v38, v38
	v_cvt_i32_f32_e32 v39, v39
	v_cvt_i32_f32_e32 v33, v33
	v_cvt_f32_i32_dpp v37, v37 row_shl:1 row_mask:0xf bank_mask:0xf bound_ctrl:1
	v_cvt_f32_i32_dpp v38, v38 row_shl:2 row_mask:0xf bank_mask:0xf bound_ctrl:1
	;; [unrolled: 1-line block ×3, first 2 shown]
	v_cvt_i32_f32_e32 v34, v34
	v_add_f32_e32 v36, v36, v37
	v_add_f32_e32 v36, v36, v38
	;; [unrolled: 1-line block ×3, first 2 shown]
	v_cvt_i32_f32_e32 v37, v36
	v_cvt_i32_f32_e32 v35, v35
	v_cvt_f32_i32_dpp v33, v33 row_shl:1 row_mask:0xf bank_mask:0xf bound_ctrl:1
	v_cvt_f32_i32_dpp v34, v34 row_shl:2 row_mask:0xf bank_mask:0xf bound_ctrl:1
	;; [unrolled: 1-line block ×4, first 2 shown]
	v_add_f32_e32 v32, v32, v33
	v_add_f32_e32 v32, v32, v34
	v_cvt_i32_f32_e32 v29, v29
	v_add_f32_e32 v33, v36, v37
	v_add_f32_e32 v32, v32, v35
	v_cvt_i32_f32_e32 v36, v33
	v_cvt_i32_f32_e32 v34, v32
	;; [unrolled: 1-line block ×4, first 2 shown]
	v_cvt_f32_i32_dpp v29, v29 row_shl:1 row_mask:0xf bank_mask:0xf bound_ctrl:1
	v_cvt_f32_i32_dpp v35, v36 row_shl:8 row_mask:0xf bank_mask:0xf bound_ctrl:1
	;; [unrolled: 1-line block ×5, first 2 shown]
	v_add_f32_e32 v28, v28, v29
	v_add_f32_e32 v33, v33, v35
	;; [unrolled: 1-line block ×4, first 2 shown]
	v_cvt_i32_f32_e32 v33, v33
	v_cvt_i32_f32_e32 v34, v32
	v_add_f32_e32 v28, v28, v31
	v_cvt_i32_f32_e32 v29, v28
	v_cvt_f32_i32_dpp v33, v33 row_shr:15 row_mask:0xf bank_mask:0xf bound_ctrl:1
	v_cvt_f32_i32_dpp v34, v34 row_shl:8 row_mask:0xf bank_mask:0xf bound_ctrl:1
	v_cvt_i32_f32_e32 v25, v25
	v_cvt_f32_i32_dpp v29, v29 row_shl:4 row_mask:0xf bank_mask:0xf bound_ctrl:1
	v_cvt_i32_f32_e32 v30, v33
	v_add_f32_e32 v31, v32, v34
	v_cvt_i32_f32_e32 v26, v26
	v_cvt_i32_f32_e32 v31, v31
	v_add_f32_e32 v32, v28, v29
	v_cvt_i32_f32_e32 v27, v27
	v_cvt_i32_f32_e32 v29, v32
	v_cvt_f32_i32_dpp v25, v25 row_shl:1 row_mask:0xf bank_mask:0xf bound_ctrl:1
	v_cvt_f32_i32_dpp v30, v30 row_bcast:15 row_mask:0xf bank_mask:0xf bound_ctrl:1
	v_cvt_f32_i32_dpp v26, v26 row_shl:2 row_mask:0xf bank_mask:0xf bound_ctrl:1
	v_cvt_f32_i32_dpp v31, v31 row_shr:15 row_mask:0xf bank_mask:0xf bound_ctrl:1
	v_cvt_f32_i32_dpp v27, v27 row_shl:3 row_mask:0xf bank_mask:0xf bound_ctrl:1
	v_cvt_f32_i32_dpp v34, v29 row_shl:8 row_mask:0xf bank_mask:0xf bound_ctrl:1
	v_add_f32_e32 v24, v24, v25
	v_cvt_i32_f32_e32 v21, v21
	v_add_f32_e32 v28, v33, v30
	v_add_f32_e32 v24, v24, v26
	v_cvt_i32_f32_e32 v22, v22
	v_cvt_i32_f32_e32 v30, v28
	;; [unrolled: 1-line block ×3, first 2 shown]
	v_add_f32_e32 v25, v24, v27
	v_cvt_i32_f32_e32 v23, v23
	v_add_f32_e32 v32, v32, v34
	v_cvt_i32_f32_e32 v26, v25
	v_cvt_i32_f32_e32 v32, v32
	v_cvt_f32_i32_dpp v21, v21 row_shl:1 row_mask:0xf bank_mask:0xf bound_ctrl:1
	v_cvt_f32_i32_dpp v22, v22 row_shl:2 row_mask:0xf bank_mask:0xf bound_ctrl:1
	v_mov_b32_dpp v29, v30 row_bcast:31 row_mask:0xf bank_mask:0xf bound_ctrl:1
	v_cvt_f32_i32_dpp v30, v33 row_bcast:15 row_mask:0xf bank_mask:0xf bound_ctrl:1
	v_cvt_f32_i32_dpp v23, v23 row_shl:3 row_mask:0xf bank_mask:0xf bound_ctrl:1
	v_cvt_f32_i32_dpp v26, v26 row_shl:4 row_mask:0xf bank_mask:0xf bound_ctrl:1
	v_cvt_f32_i32_dpp v32, v32 row_shr:15 row_mask:0xf bank_mask:0xf bound_ctrl:1
	v_add_f32_e32 v20, v20, v21
	v_add_f32_e32 v20, v20, v22
	;; [unrolled: 1-line block ×4, first 2 shown]
	v_cvt_i32_f32_e32 v27, v24
	v_add_f32_e32 v25, v25, v26
	v_cvt_i32_f32_e32 v20, v22
	v_cvt_i32_f32_e32 v30, v32
	;; [unrolled: 1-line block ×3, first 2 shown]
	v_mov_b32_dpp v21, v27 row_bcast:31 row_mask:0xf bank_mask:0xf bound_ctrl:1
	v_cvt_f32_i32_dpp v27, v20 row_shl:4 row_mask:0xf bank_mask:0xf bound_ctrl:1
	v_cvt_f32_i32_dpp v23, v30 row_bcast:15 row_mask:0xf bank_mask:0xf bound_ctrl:1
	v_cvt_f32_i32_dpp v26, v26 row_shl:8 row_mask:0xf bank_mask:0xf bound_ctrl:1
	v_cvt_i32_f32_e32 v17, v17
	v_add_f32_e32 v22, v22, v27
	v_cvt_i32_f32_e32 v18, v18
	v_add_f32_e32 v20, v32, v23
	v_add_f32_e32 v23, v25, v26
	v_cvt_i32_f32_e32 v19, v19
	v_cvt_i32_f32_e32 v25, v22
	v_cvt_f32_i32_dpp v17, v17 row_shl:1 row_mask:0xf bank_mask:0xf bound_ctrl:1
	v_cvt_f32_i32_dpp v18, v18 row_shl:2 row_mask:0xf bank_mask:0xf bound_ctrl:1
	;; [unrolled: 1-line block ×4, first 2 shown]
	v_add_f32_e32 v16, v16, v17
	v_add_f32_e32 v16, v16, v18
	;; [unrolled: 1-line block ×4, first 2 shown]
	v_cvt_i32_f32_e32 v17, v16
	v_cvt_i32_f32_e32 v19, v19
	;; [unrolled: 1-line block ×7, first 2 shown]
	v_cvt_f32_i32_dpp v17, v17 row_shl:4 row_mask:0xf bank_mask:0xf bound_ctrl:1
	v_cvt_i32_f32_e32 v22, v20
	v_cvt_f32_i32_dpp v19, v19 row_shr:15 row_mask:0xf bank_mask:0xf bound_ctrl:1
	v_cvt_f32_i32_dpp v1, v1 row_shl:1 row_mask:0xf bank_mask:0xf bound_ctrl:1
	v_cvt_f32_i32_dpp v13, v13 row_shl:1 row_mask:0xf bank_mask:0xf bound_ctrl:1
	v_cvt_i32_f32_e32 v9, v9
	v_cvt_f32_i32_dpp v2, v2 row_shl:2 row_mask:0xf bank_mask:0xf bound_ctrl:1
	v_cvt_i32_f32_e32 v3, v3
	;; [unrolled: 2-line block ×4, first 2 shown]
	v_add_f32_e32 v25, v16, v17
	v_mov_b32_dpp v17, v22 row_bcast:31 row_mask:0xf bank_mask:0xf bound_ctrl:1
	v_cvt_i32_f32_e32 v22, v19
	v_add_f32_e32 v0, v0, v1
	v_add_f32_e32 v12, v12, v13
	v_cvt_f32_i32_dpp v9, v9 row_shl:1 row_mask:0xf bank_mask:0xf bound_ctrl:1
	v_add_f32_e32 v0, v0, v2
	v_cvt_f32_i32_dpp v1, v3 row_shl:3 row_mask:0xf bank_mask:0xf bound_ctrl:1
	v_cvt_i32_f32_e32 v2, v5
	v_add_f32_e32 v12, v12, v14
	v_cvt_f32_i32_dpp v10, v10 row_shl:2 row_mask:0xf bank_mask:0xf bound_ctrl:1
	v_cvt_i32_f32_e32 v3, v6
	;; [unrolled: 3-line block ×3, first 2 shown]
	v_cvt_f32_i32_dpp v22, v22 row_bcast:15 row_mask:0xf bank_mask:0xf bound_ctrl:1
	v_cvt_i32_f32_e32 v12, v14
	v_add_f32_e32 v8, v8, v9
	v_add_f32_e32 v0, v0, v1
	v_cvt_f32_i32_dpp v1, v2 row_shl:1 row_mask:0xf bank_mask:0xf bound_ctrl:1
	v_add_f32_e32 v8, v8, v10
	v_cvt_f32_i32_dpp v2, v3 row_shl:2 row_mask:0xf bank_mask:0xf bound_ctrl:1
	;; [unrolled: 2-line block ×4, first 2 shown]
	v_cvt_i32_f32_e32 v10, v9
	v_add_f32_e32 v1, v4, v1
	v_add_f32_e32 v1, v1, v2
	;; [unrolled: 1-line block ×4, first 2 shown]
	v_cvt_f32_i32_dpp v10, v10 row_shl:4 row_mask:0xf bank_mask:0xf bound_ctrl:1
	v_cvt_i32_f32_e32 v5, v0
	v_cvt_i32_f32_e32 v2, v1
	;; [unrolled: 1-line block ×4, first 2 shown]
	v_add_f32_e32 v9, v9, v10
	v_cvt_f32_i32_dpp v4, v5 row_shl:4 row_mask:0xf bank_mask:0xf bound_ctrl:1
	v_cvt_f32_i32_dpp v2, v2 row_shl:4 row_mask:0xf bank_mask:0xf bound_ctrl:1
	v_cvt_f32_i32_dpp v18, v23 row_shr:15 row_mask:0xf bank_mask:0xf bound_ctrl:1
	v_cvt_f32_i32_dpp v19, v19 row_shl:8 row_mask:0xf bank_mask:0xf bound_ctrl:1
	v_cvt_i32_f32_e32 v10, v9
	v_add_f32_e32 v0, v0, v4
	v_add_f32_e32 v1, v1, v2
	v_cvt_i32_f32_e32 v23, v18
	v_cvt_i32_f32_e32 v16, v25
	v_add_f32_e32 v14, v14, v19
	v_cvt_f32_i32_dpp v3, v10 row_shl:8 row_mask:0xf bank_mask:0xf bound_ctrl:1
	v_cvt_i32_f32_e32 v4, v0
	v_cvt_i32_f32_e32 v2, v1
	;; [unrolled: 1-line block ×3, first 2 shown]
	v_cvt_f32_i32_dpp v23, v23 row_bcast:15 row_mask:0xf bank_mask:0xf bound_ctrl:1
	v_cvt_f32_i32_dpp v26, v16 row_shl:8 row_mask:0xf bank_mask:0xf bound_ctrl:1
	v_add_f32_e32 v3, v9, v3
	v_cvt_f32_i32_dpp v4, v4 row_shl:8 row_mask:0xf bank_mask:0xf bound_ctrl:1
	v_cvt_f32_i32_dpp v2, v2 row_shl:8 row_mask:0xf bank_mask:0xf bound_ctrl:1
	v_cvt_f32_i32_dpp v5, v14 row_shr:15 row_mask:0xf bank_mask:0xf bound_ctrl:1
	v_cvt_i32_f32_e32 v3, v3
	v_add_f32_e32 v16, v18, v23
	v_add_f32_e32 v23, v25, v26
	;; [unrolled: 1-line block ×4, first 2 shown]
	v_cvt_i32_f32_e32 v23, v23
	v_cvt_i32_f32_e32 v6, v5
	v_cvt_f32_i32_dpp v3, v3 row_shr:15 row_mask:0xf bank_mask:0xf bound_ctrl:1
	v_cvt_i32_f32_e32 v0, v0
	v_cvt_i32_f32_e32 v1, v1
	v_cvt_f32_i32_dpp v23, v23 row_shr:15 row_mask:0xf bank_mask:0xf bound_ctrl:1
	v_cvt_f32_i32_dpp v2, v6 row_bcast:15 row_mask:0xf bank_mask:0xf bound_ctrl:1
	v_cvt_f32_i32_dpp v0, v0 row_shr:15 row_mask:0xf bank_mask:0xf bound_ctrl:1
	v_cvt_i32_f32_e32 v4, v3
	v_cvt_f32_i32_dpp v1, v1 row_shr:15 row_mask:0xf bank_mask:0xf bound_ctrl:1
	v_cvt_i32_f32_e32 v18, v16
	v_cvt_i32_f32_e32 v25, v23
	v_add_f32_e32 v7, v5, v2
	v_cvt_i32_f32_e32 v2, v0
	v_cvt_f32_i32_dpp v4, v4 row_bcast:15 row_mask:0xf bank_mask:0xf bound_ctrl:1
	v_cvt_i32_f32_e32 v5, v1
	v_mov_b32_dpp v15, v18 row_bcast:31 row_mask:0xf bank_mask:0xf bound_ctrl:1
	v_cvt_f32_i32_dpp v18, v25 row_bcast:15 row_mask:0xf bank_mask:0xf bound_ctrl:1
	v_cvt_f32_i32_dpp v2, v2 row_bcast:15 row_mask:0xf bank_mask:0xf bound_ctrl:1
	v_add_f32_e32 v4, v3, v4
	v_cvt_f32_i32_dpp v3, v5 row_bcast:15 row_mask:0xf bank_mask:0xf bound_ctrl:1
	v_add_f32_e32 v12, v23, v18
	v_add_f32_e32 v2, v0, v2
	v_cvt_i32_f32_e32 v22, v13
	v_add_f32_e32 v0, v1, v3
	v_cvt_i32_f32_e32 v18, v12
	v_cvt_i32_f32_e32 v6, v7
	v_cvt_i32_f32_e32 v5, v4
	v_cvt_i32_f32_e32 v9, v2
	v_cvt_i32_f32_e32 v1, v0
	v_mov_b32_dpp v11, v22 row_bcast:31 row_mask:0xf bank_mask:0xf bound_ctrl:1
	v_mov_b32_dpp v8, v18 row_bcast:31 row_mask:0xf bank_mask:0xf bound_ctrl:1
	;; [unrolled: 1-line block ×6, first 2 shown]
	s_and_saveexec_b64 s[28:29], s[0:1]
	s_cbranch_execz .LBB297_123
; %bb.61:                               ;   in Loop: Header=BB297_13 Depth=1
	s_andn2_b64 vcc, exec, s[24:25]
	v_mov_b32_e32 v27, 0
	v_mov_b32_e32 v26, 0
	;; [unrolled: 1-line block ×10, first 2 shown]
	s_cbranch_vccnz .LBB297_63
; %bb.62:                               ;   in Loop: Header=BB297_13 Depth=1
	v_mul_hi_u32 v5, v98, v101
	v_mul_lo_u32 v5, v5, s16
	v_sub_u32_e32 v5, v98, v5
	v_subrev_u32_e32 v9, s16, v5
	v_cmp_le_u32_e32 vcc, s16, v5
	v_mov_b32_e32 v19, v103
	v_mov_b32_e32 v33, v103
	v_cndmask_b32_e32 v5, v5, v9, vcc
	v_subrev_u32_e32 v9, s16, v5
	v_cmp_le_u32_e32 vcc, s16, v5
	s_nop 1
	v_cndmask_b32_e32 v102, v5, v9, vcc
	v_mul_hi_u32 v5, v106, v101
	v_mul_lo_u32 v5, v5, s16
	v_sub_u32_e32 v5, v106, v5
	v_subrev_u32_e32 v9, s16, v5
	v_cmp_le_u32_e32 vcc, s16, v5
	v_add_u32_e32 v18, s39, v102
	v_lshl_add_u64 v[36:37], v[18:19], 1, s[14:15]
	v_cndmask_b32_e32 v5, v5, v9, vcc
	v_subrev_u32_e32 v9, s16, v5
	v_cmp_le_u32_e32 vcc, s16, v5
	v_lshl_add_u64 v[30:31], v[102:103], 1, s[14:15]
	s_nop 0
	v_cndmask_b32_e32 v32, v5, v9, vcc
	v_add_u32_e32 v18, s39, v32
	v_lshl_add_u64 v[38:39], v[18:19], 1, s[14:15]
	v_add_u32_e32 v18, s40, v102
	v_lshl_add_u64 v[40:41], v[18:19], 1, s[14:15]
	;; [unrolled: 2-line block ×5, first 2 shown]
	v_lshl_add_u64 v[46:47], v[18:19], 1, s[14:15]
	global_load_ushort v27, v[30:31], off
	global_load_ushort v26, v[34:35], off
	;; [unrolled: 1-line block ×8, first 2 shown]
	v_add_u32_e32 v102, s42, v102
	v_lshl_add_u64 v[30:31], v[102:103], 1, s[14:15]
	v_add_u32_e32 v102, s42, v32
	v_lshl_add_u64 v[32:33], v[102:103], 1, s[14:15]
	global_load_ushort v9, v[30:31], off
	global_load_ushort v5, v[32:33], off
.LBB297_63:                             ;   in Loop: Header=BB297_13 Depth=1
	v_cmp_ne_u32_e32 vcc, 0, v96
	s_and_saveexec_b64 s[6:7], vcc
	s_cbranch_execnz .LBB297_73
; %bb.64:                               ;   in Loop: Header=BB297_13 Depth=1
	s_or_b64 exec, exec, s[6:7]
	v_cmp_ne_u32_e64 s[4:5], 0, v97
	s_and_saveexec_b64 s[30:31], s[4:5]
	s_cbranch_execnz .LBB297_78
.LBB297_65:                             ;   in Loop: Header=BB297_13 Depth=1
	s_or_b64 exec, exec, s[30:31]
	v_add_u32_e32 v102, s11, v98
	s_and_saveexec_b64 s[30:31], vcc
	s_cbranch_execnz .LBB297_83
.LBB297_66:                             ;   in Loop: Header=BB297_13 Depth=1
	s_or_b64 exec, exec, s[30:31]
	s_and_saveexec_b64 s[30:31], s[4:5]
	s_cbranch_execnz .LBB297_88
.LBB297_67:                             ;   in Loop: Header=BB297_13 Depth=1
	s_or_b64 exec, exec, s[30:31]
	v_add_u32_e32 v102, s11, v102
	s_and_saveexec_b64 s[30:31], vcc
	s_cbranch_execnz .LBB297_93
.LBB297_68:                             ;   in Loop: Header=BB297_13 Depth=1
	s_or_b64 exec, exec, s[30:31]
	s_and_saveexec_b64 s[30:31], s[4:5]
	s_cbranch_execnz .LBB297_98
.LBB297_69:                             ;   in Loop: Header=BB297_13 Depth=1
	s_or_b64 exec, exec, s[30:31]
	v_add_u32_e32 v102, s11, v102
	s_and_saveexec_b64 s[30:31], vcc
	s_cbranch_execnz .LBB297_103
.LBB297_70:                             ;   in Loop: Header=BB297_13 Depth=1
	s_or_b64 exec, exec, s[30:31]
	s_and_saveexec_b64 s[30:31], s[4:5]
	s_cbranch_execnz .LBB297_108
.LBB297_71:                             ;   in Loop: Header=BB297_13 Depth=1
	s_or_b64 exec, exec, s[30:31]
	v_add_u32_e32 v102, s11, v102
	s_and_saveexec_b64 s[6:7], vcc
	s_cbranch_execnz .LBB297_113
.LBB297_72:                             ;   in Loop: Header=BB297_13 Depth=1
	s_or_b64 exec, exec, s[6:7]
	s_and_b64 exec, exec, s[4:5]
	s_cbranch_execnz .LBB297_118
	s_branch .LBB297_123
.LBB297_73:                             ;   in Loop: Header=BB297_13 Depth=1
	v_cvt_f32_i32_e32 v29, v29
	s_waitcnt vmcnt(9)
	v_lshlrev_b32_e32 v27, 16, v27
	v_add_f32_e32 v28, v28, v29
	v_add_f32_e32 v28, v28, v27
	v_and_b32_e32 v27, 0x7f800000, v28
	v_cmp_ne_u32_e64 s[4:5], s46, v27
                                        ; implicit-def: $vgpr27
	s_and_saveexec_b64 s[30:31], s[4:5]
	s_xor_b64 s[4:5], exec, s[30:31]
; %bb.74:                               ;   in Loop: Header=BB297_13 Depth=1
	v_bfe_u32 v27, v28, 16, 1
	v_add3_u32 v27, v28, v27, s10
                                        ; implicit-def: $vgpr28
; %bb.75:                               ;   in Loop: Header=BB297_13 Depth=1
	s_andn2_saveexec_b64 s[30:31], s[4:5]
; %bb.76:                               ;   in Loop: Header=BB297_13 Depth=1
	v_or_b32_e32 v27, 0x10000, v28
	v_cmp_eq_u32_sdwa s[4:5], v28, v103 src0_sel:WORD_0 src1_sel:DWORD
	s_nop 1
	v_cndmask_b32_e64 v27, v27, v28, s[4:5]
; %bb.77:                               ;   in Loop: Header=BB297_13 Depth=1
	s_or_b64 exec, exec, s[30:31]
	v_mov_b32_e32 v99, v103
	s_waitcnt lgkmcnt(0)
	v_lshl_add_u64 v[28:29], v[98:99], 1, s[20:21]
	global_store_short_d16_hi v[28:29], v27, off
	s_or_b64 exec, exec, s[6:7]
	v_cmp_ne_u32_e64 s[4:5], 0, v97
	s_and_saveexec_b64 s[30:31], s[4:5]
	s_cbranch_execz .LBB297_65
.LBB297_78:                             ;   in Loop: Header=BB297_13 Depth=1
	v_cvt_f32_i32_e32 v21, v21
	v_add_f32_e32 v21, v24, v21
	s_waitcnt vmcnt(8)
	v_lshlrev_b32_e32 v24, 16, v26
	v_add_f32_e32 v24, v21, v24
	v_and_b32_e32 v21, 0x7f800000, v24
	v_cmp_ne_u32_e64 s[6:7], s46, v21
                                        ; implicit-def: $vgpr21
	s_and_saveexec_b64 s[34:35], s[6:7]
	s_xor_b64 s[6:7], exec, s[34:35]
; %bb.79:                               ;   in Loop: Header=BB297_13 Depth=1
	v_bfe_u32 v21, v24, 16, 1
	v_add3_u32 v21, v24, v21, s10
                                        ; implicit-def: $vgpr24
; %bb.80:                               ;   in Loop: Header=BB297_13 Depth=1
	s_andn2_saveexec_b64 s[34:35], s[6:7]
; %bb.81:                               ;   in Loop: Header=BB297_13 Depth=1
	v_or_b32_e32 v21, 0x10000, v24
	v_cmp_eq_u32_sdwa s[6:7], v24, v103 src0_sel:WORD_0 src1_sel:DWORD
	s_nop 1
	v_cndmask_b32_e64 v21, v21, v24, s[6:7]
; %bb.82:                               ;   in Loop: Header=BB297_13 Depth=1
	s_or_b64 exec, exec, s[34:35]
	v_mov_b32_e32 v107, v103
	s_waitcnt lgkmcnt(0)
	v_lshl_add_u64 v[26:27], v[106:107], 1, s[20:21]
	global_store_short_d16_hi v[26:27], v21, off
	s_or_b64 exec, exec, s[30:31]
	v_add_u32_e32 v102, s11, v98
	s_and_saveexec_b64 s[30:31], vcc
	s_cbranch_execz .LBB297_66
.LBB297_83:                             ;   in Loop: Header=BB297_13 Depth=1
	v_cvt_f32_i32_e32 v17, v17
	v_add_f32_e32 v17, v20, v17
	s_waitcnt vmcnt(7)
	v_lshlrev_b32_e32 v20, 16, v25
	v_add_f32_e32 v20, v17, v20
	v_and_b32_e32 v17, 0x7f800000, v20
	v_cmp_ne_u32_e64 s[6:7], s46, v17
                                        ; implicit-def: $vgpr17
	s_and_saveexec_b64 s[34:35], s[6:7]
	s_xor_b64 s[6:7], exec, s[34:35]
; %bb.84:                               ;   in Loop: Header=BB297_13 Depth=1
	v_bfe_u32 v17, v20, 16, 1
	v_add3_u32 v17, v20, v17, s10
                                        ; implicit-def: $vgpr20
; %bb.85:                               ;   in Loop: Header=BB297_13 Depth=1
	s_andn2_saveexec_b64 s[34:35], s[6:7]
; %bb.86:                               ;   in Loop: Header=BB297_13 Depth=1
	v_or_b32_e32 v17, 0x10000, v20
	v_cmp_eq_u32_sdwa s[6:7], v20, v103 src0_sel:WORD_0 src1_sel:DWORD
	s_nop 1
	v_cndmask_b32_e64 v17, v17, v20, s[6:7]
; %bb.87:                               ;   in Loop: Header=BB297_13 Depth=1
	s_or_b64 exec, exec, s[34:35]
	s_waitcnt lgkmcnt(0)
	v_lshl_add_u64 v[20:21], v[102:103], 1, s[20:21]
	global_store_short_d16_hi v[20:21], v17, off
	s_or_b64 exec, exec, s[30:31]
	s_and_saveexec_b64 s[30:31], s[4:5]
	s_cbranch_execz .LBB297_67
.LBB297_88:                             ;   in Loop: Header=BB297_13 Depth=1
	v_cvt_f32_i32_e32 v15, v15
	v_add_f32_e32 v15, v16, v15
	s_waitcnt vmcnt(6)
	v_lshlrev_b32_e32 v16, 16, v23
	v_add_f32_e32 v16, v15, v16
	v_and_b32_e32 v15, 0x7f800000, v16
	v_cmp_ne_u32_e64 s[6:7], s46, v15
                                        ; implicit-def: $vgpr15
	s_and_saveexec_b64 s[34:35], s[6:7]
	s_xor_b64 s[6:7], exec, s[34:35]
; %bb.89:                               ;   in Loop: Header=BB297_13 Depth=1
	v_bfe_u32 v15, v16, 16, 1
	v_add3_u32 v15, v16, v15, s10
                                        ; implicit-def: $vgpr16
; %bb.90:                               ;   in Loop: Header=BB297_13 Depth=1
	s_andn2_saveexec_b64 s[34:35], s[6:7]
; %bb.91:                               ;   in Loop: Header=BB297_13 Depth=1
	v_or_b32_e32 v15, 0x10000, v16
	v_cmp_eq_u32_sdwa s[6:7], v16, v103 src0_sel:WORD_0 src1_sel:DWORD
	s_nop 1
	v_cndmask_b32_e64 v15, v15, v16, s[6:7]
; %bb.92:                               ;   in Loop: Header=BB297_13 Depth=1
	s_or_b64 exec, exec, s[34:35]
	v_add_u32_e32 v16, 1, v102
	v_mov_b32_e32 v17, v103
	s_waitcnt lgkmcnt(0)
	v_lshl_add_u64 v[16:17], v[16:17], 1, s[20:21]
	global_store_short_d16_hi v[16:17], v15, off
	s_or_b64 exec, exec, s[30:31]
	v_add_u32_e32 v102, s11, v102
	s_and_saveexec_b64 s[30:31], vcc
	s_cbranch_execz .LBB297_68
.LBB297_93:                             ;   in Loop: Header=BB297_13 Depth=1
	v_cvt_f32_i32_e32 v11, v11
	v_add_f32_e32 v11, v13, v11
	s_waitcnt vmcnt(5)
	v_lshlrev_b32_e32 v13, 16, v22
	v_add_f32_e32 v13, v11, v13
	v_and_b32_e32 v11, 0x7f800000, v13
	v_cmp_ne_u32_e64 s[6:7], s46, v11
                                        ; implicit-def: $vgpr11
	s_and_saveexec_b64 s[34:35], s[6:7]
	s_xor_b64 s[6:7], exec, s[34:35]
; %bb.94:                               ;   in Loop: Header=BB297_13 Depth=1
	v_bfe_u32 v11, v13, 16, 1
	v_add3_u32 v11, v13, v11, s10
                                        ; implicit-def: $vgpr13
; %bb.95:                               ;   in Loop: Header=BB297_13 Depth=1
	s_andn2_saveexec_b64 s[34:35], s[6:7]
; %bb.96:                               ;   in Loop: Header=BB297_13 Depth=1
	v_or_b32_e32 v11, 0x10000, v13
	v_cmp_eq_u32_sdwa s[6:7], v13, v103 src0_sel:WORD_0 src1_sel:DWORD
	s_nop 1
	v_cndmask_b32_e64 v11, v11, v13, s[6:7]
; %bb.97:                               ;   in Loop: Header=BB297_13 Depth=1
	s_or_b64 exec, exec, s[34:35]
	s_waitcnt lgkmcnt(0)
	v_lshl_add_u64 v[16:17], v[102:103], 1, s[20:21]
	global_store_short_d16_hi v[16:17], v11, off
	s_or_b64 exec, exec, s[30:31]
	s_and_saveexec_b64 s[30:31], s[4:5]
	s_cbranch_execz .LBB297_69
.LBB297_98:                             ;   in Loop: Header=BB297_13 Depth=1
	v_cvt_f32_i32_e32 v8, v8
	s_waitcnt vmcnt(4)
	v_lshlrev_b32_e32 v11, 16, v19
	v_add_f32_e32 v8, v12, v8
	v_add_f32_e32 v11, v8, v11
	v_and_b32_e32 v8, 0x7f800000, v11
	v_cmp_ne_u32_e64 s[6:7], s46, v8
                                        ; implicit-def: $vgpr8
	s_and_saveexec_b64 s[34:35], s[6:7]
	s_xor_b64 s[6:7], exec, s[34:35]
; %bb.99:                               ;   in Loop: Header=BB297_13 Depth=1
	v_bfe_u32 v8, v11, 16, 1
	v_add3_u32 v8, v11, v8, s10
                                        ; implicit-def: $vgpr11
; %bb.100:                              ;   in Loop: Header=BB297_13 Depth=1
	s_andn2_saveexec_b64 s[34:35], s[6:7]
; %bb.101:                              ;   in Loop: Header=BB297_13 Depth=1
	v_or_b32_e32 v8, 0x10000, v11
	v_cmp_eq_u32_sdwa s[6:7], v11, v103 src0_sel:WORD_0 src1_sel:DWORD
	s_nop 1
	v_cndmask_b32_e64 v8, v8, v11, s[6:7]
; %bb.102:                              ;   in Loop: Header=BB297_13 Depth=1
	s_or_b64 exec, exec, s[34:35]
	v_add_u32_e32 v12, 1, v102
	v_mov_b32_e32 v13, v103
	s_waitcnt lgkmcnt(0)
	v_lshl_add_u64 v[12:13], v[12:13], 1, s[20:21]
	global_store_short_d16_hi v[12:13], v8, off
	s_or_b64 exec, exec, s[30:31]
	v_add_u32_e32 v102, s11, v102
	s_and_saveexec_b64 s[30:31], vcc
	s_cbranch_execz .LBB297_70
.LBB297_103:                            ;   in Loop: Header=BB297_13 Depth=1
	v_cvt_f32_i32_e32 v8, v10
	v_add_f32_e32 v7, v7, v8
	s_waitcnt vmcnt(3)
	v_lshlrev_b32_e32 v8, 16, v18
	v_add_f32_e32 v8, v7, v8
	v_and_b32_e32 v7, 0x7f800000, v8
	v_cmp_ne_u32_e64 s[6:7], s46, v7
                                        ; implicit-def: $vgpr7
	s_and_saveexec_b64 s[34:35], s[6:7]
	s_xor_b64 s[6:7], exec, s[34:35]
; %bb.104:                              ;   in Loop: Header=BB297_13 Depth=1
	v_bfe_u32 v7, v8, 16, 1
	v_add3_u32 v7, v8, v7, s10
                                        ; implicit-def: $vgpr8
; %bb.105:                              ;   in Loop: Header=BB297_13 Depth=1
	s_andn2_saveexec_b64 s[34:35], s[6:7]
; %bb.106:                              ;   in Loop: Header=BB297_13 Depth=1
	v_or_b32_e32 v7, 0x10000, v8
	v_cmp_eq_u32_sdwa s[6:7], v8, v103 src0_sel:WORD_0 src1_sel:DWORD
	s_nop 1
	v_cndmask_b32_e64 v7, v7, v8, s[6:7]
; %bb.107:                              ;   in Loop: Header=BB297_13 Depth=1
	s_or_b64 exec, exec, s[34:35]
	s_waitcnt lgkmcnt(0)
	v_lshl_add_u64 v[10:11], v[102:103], 1, s[20:21]
	global_store_short_d16_hi v[10:11], v7, off
	s_or_b64 exec, exec, s[30:31]
	s_and_saveexec_b64 s[30:31], s[4:5]
	s_cbranch_execz .LBB297_71
.LBB297_108:                            ;   in Loop: Header=BB297_13 Depth=1
	v_cvt_f32_i32_e32 v6, v6
	v_add_f32_e32 v4, v4, v6
	s_waitcnt vmcnt(2)
	v_lshlrev_b32_e32 v6, 16, v14
	v_add_f32_e32 v6, v4, v6
	v_and_b32_e32 v4, 0x7f800000, v6
	v_cmp_ne_u32_e64 s[6:7], s46, v4
                                        ; implicit-def: $vgpr4
	s_and_saveexec_b64 s[34:35], s[6:7]
	s_xor_b64 s[6:7], exec, s[34:35]
; %bb.109:                              ;   in Loop: Header=BB297_13 Depth=1
	v_bfe_u32 v4, v6, 16, 1
	v_add3_u32 v4, v6, v4, s10
                                        ; implicit-def: $vgpr6
; %bb.110:                              ;   in Loop: Header=BB297_13 Depth=1
	s_andn2_saveexec_b64 s[34:35], s[6:7]
; %bb.111:                              ;   in Loop: Header=BB297_13 Depth=1
	v_or_b32_e32 v4, 0x10000, v6
	v_cmp_eq_u32_sdwa s[6:7], v6, v103 src0_sel:WORD_0 src1_sel:DWORD
	s_nop 1
	v_cndmask_b32_e64 v4, v4, v6, s[6:7]
; %bb.112:                              ;   in Loop: Header=BB297_13 Depth=1
	s_or_b64 exec, exec, s[34:35]
	v_add_u32_e32 v6, 1, v102
	v_mov_b32_e32 v7, v103
	s_waitcnt lgkmcnt(0)
	v_lshl_add_u64 v[6:7], v[6:7], 1, s[20:21]
	global_store_short_d16_hi v[6:7], v4, off
	s_or_b64 exec, exec, s[30:31]
	v_add_u32_e32 v102, s11, v102
	s_and_saveexec_b64 s[6:7], vcc
	s_cbranch_execz .LBB297_72
.LBB297_113:                            ;   in Loop: Header=BB297_13 Depth=1
	v_cvt_f32_i32_e32 v3, v3
	v_add_f32_e32 v2, v2, v3
	s_waitcnt vmcnt(1)
	v_lshlrev_b32_e32 v3, 16, v9
	v_add_f32_e32 v3, v2, v3
	v_and_b32_e32 v2, 0x7f800000, v3
	v_cmp_ne_u32_e32 vcc, s46, v2
                                        ; implicit-def: $vgpr2
	s_and_saveexec_b64 s[30:31], vcc
	s_xor_b64 s[30:31], exec, s[30:31]
; %bb.114:                              ;   in Loop: Header=BB297_13 Depth=1
	v_bfe_u32 v2, v3, 16, 1
	v_add3_u32 v2, v3, v2, s10
                                        ; implicit-def: $vgpr3
; %bb.115:                              ;   in Loop: Header=BB297_13 Depth=1
	s_andn2_saveexec_b64 s[30:31], s[30:31]
; %bb.116:                              ;   in Loop: Header=BB297_13 Depth=1
	v_or_b32_e32 v2, 0x10000, v3
	v_cmp_eq_u32_sdwa vcc, v3, v103 src0_sel:WORD_0 src1_sel:DWORD
	s_nop 1
	v_cndmask_b32_e32 v2, v2, v3, vcc
; %bb.117:                              ;   in Loop: Header=BB297_13 Depth=1
	s_or_b64 exec, exec, s[30:31]
	s_waitcnt lgkmcnt(0)
	v_lshl_add_u64 v[6:7], v[102:103], 1, s[20:21]
	global_store_short_d16_hi v[6:7], v2, off
	s_or_b64 exec, exec, s[6:7]
	s_and_b64 exec, exec, s[4:5]
	s_cbranch_execz .LBB297_123
.LBB297_118:                            ;   in Loop: Header=BB297_13 Depth=1
	v_cvt_f32_i32_e32 v1, v1
	v_add_f32_e32 v0, v0, v1
	s_waitcnt vmcnt(0)
	v_lshlrev_b32_e32 v1, 16, v5
	v_add_f32_e32 v1, v0, v1
	v_and_b32_e32 v0, 0x7f800000, v1
	v_cmp_ne_u32_e32 vcc, s46, v0
                                        ; implicit-def: $vgpr0
	s_and_saveexec_b64 s[4:5], vcc
	s_xor_b64 s[4:5], exec, s[4:5]
; %bb.119:                              ;   in Loop: Header=BB297_13 Depth=1
	v_bfe_u32 v0, v1, 16, 1
	v_add3_u32 v0, v1, v0, s10
                                        ; implicit-def: $vgpr1
; %bb.120:                              ;   in Loop: Header=BB297_13 Depth=1
	s_andn2_saveexec_b64 s[4:5], s[4:5]
; %bb.121:                              ;   in Loop: Header=BB297_13 Depth=1
	v_or_b32_e32 v0, 0x10000, v1
	v_cmp_eq_u32_sdwa vcc, v1, v103 src0_sel:WORD_0 src1_sel:DWORD
	s_nop 1
	v_cndmask_b32_e32 v0, v0, v1, vcc
; %bb.122:                              ;   in Loop: Header=BB297_13 Depth=1
	s_or_b64 exec, exec, s[4:5]
	v_add_u32_e32 v102, 1, v102
	s_waitcnt lgkmcnt(0)
	v_lshl_add_u64 v[2:3], v[102:103], 1, s[20:21]
	global_store_short_d16_hi v[2:3], v0, off
.LBB297_123:                            ;   in Loop: Header=BB297_13 Depth=1
	s_or_b64 exec, exec, s[28:29]
	v_add_u32_e32 v98, s37, v98
	v_add_u32_e32 v0, 2, v98
	v_cmp_gt_u32_e32 vcc, s11, v98
	v_cmp_le_u32_e64 s[4:5], s11, v0
	s_and_b64 s[4:5], vcc, s[4:5]
	s_and_saveexec_b64 s[6:7], s[4:5]
	s_cbranch_execz .LBB297_12
; %bb.124:                              ;   in Loop: Header=BB297_13 Depth=1
	v_cmp_ne_u32_e32 vcc, s38, v98
	s_and_saveexec_b64 s[28:29], vcc
	s_cbranch_execz .LBB297_11
; %bb.125:                              ;   in Loop: Header=BB297_13 Depth=1
	v_subrev_u32_e32 v0, s38, v98
	v_cmp_lt_u32_e32 vcc, 1, v0
	s_mov_b64 s[30:31], 0
	s_mov_b64 s[34:35], 0
	v_cndmask_b32_e32 v0, 1, v0, vcc
.LBB297_126:                            ;   Parent Loop BB297_13 Depth=1
                                        ; =>  This Inner Loop Header: Depth=2
	s_cmp_lg_u32 s34, 1
	s_cselect_b64 vcc, -1, 0
	s_cmp_lg_u32 s34, 0
	v_cndmask_b32_e32 v97, 0, v97, vcc
	s_cselect_b64 vcc, -1, 0
	s_add_u32 s34, s34, 1
	s_addc_u32 s35, s35, 0
	v_cmp_eq_u32_e64 s[4:5], s34, v0
	s_or_b64 s[30:31], s[4:5], s[30:31]
	v_cndmask_b32_e32 v96, 0, v96, vcc
	s_andn2_b64 exec, exec, s[30:31]
	s_cbranch_execnz .LBB297_126
; %bb.127:                              ;   in Loop: Header=BB297_13 Depth=1
	s_or_b64 exec, exec, s[30:31]
	s_branch .LBB297_11
.LBB297_128:
	s_endpgm
	.section	.rodata,"a",@progbits
	.p2align	6, 0x0
	.amdhsa_kernel _Z12wvSplitK_hf_I14__hip_bfloat16Li64ELi2ELi16ELi8ELi2ELi5EEviiiiiiPKT_S3_S3_PS1_ii
		.amdhsa_group_segment_fixed_size 65536
		.amdhsa_private_segment_fixed_size 0
		.amdhsa_kernarg_size 64
		.amdhsa_user_sgpr_count 2
		.amdhsa_user_sgpr_dispatch_ptr 0
		.amdhsa_user_sgpr_queue_ptr 0
		.amdhsa_user_sgpr_kernarg_segment_ptr 1
		.amdhsa_user_sgpr_dispatch_id 0
		.amdhsa_user_sgpr_kernarg_preload_length 0
		.amdhsa_user_sgpr_kernarg_preload_offset 0
		.amdhsa_user_sgpr_private_segment_size 0
		.amdhsa_uses_dynamic_stack 0
		.amdhsa_enable_private_segment 0
		.amdhsa_system_sgpr_workgroup_id_x 1
		.amdhsa_system_sgpr_workgroup_id_y 0
		.amdhsa_system_sgpr_workgroup_id_z 0
		.amdhsa_system_sgpr_workgroup_info 0
		.amdhsa_system_vgpr_workitem_id 1
		.amdhsa_next_free_vgpr 123
		.amdhsa_next_free_sgpr 47
		.amdhsa_accum_offset 124
		.amdhsa_reserve_vcc 1
		.amdhsa_float_round_mode_32 0
		.amdhsa_float_round_mode_16_64 0
		.amdhsa_float_denorm_mode_32 3
		.amdhsa_float_denorm_mode_16_64 3
		.amdhsa_dx10_clamp 1
		.amdhsa_ieee_mode 1
		.amdhsa_fp16_overflow 0
		.amdhsa_tg_split 0
		.amdhsa_exception_fp_ieee_invalid_op 0
		.amdhsa_exception_fp_denorm_src 0
		.amdhsa_exception_fp_ieee_div_zero 0
		.amdhsa_exception_fp_ieee_overflow 0
		.amdhsa_exception_fp_ieee_underflow 0
		.amdhsa_exception_fp_ieee_inexact 0
		.amdhsa_exception_int_div_zero 0
	.end_amdhsa_kernel
	.section	.text._Z12wvSplitK_hf_I14__hip_bfloat16Li64ELi2ELi16ELi8ELi2ELi5EEviiiiiiPKT_S3_S3_PS1_ii,"axG",@progbits,_Z12wvSplitK_hf_I14__hip_bfloat16Li64ELi2ELi16ELi8ELi2ELi5EEviiiiiiPKT_S3_S3_PS1_ii,comdat
.Lfunc_end297:
	.size	_Z12wvSplitK_hf_I14__hip_bfloat16Li64ELi2ELi16ELi8ELi2ELi5EEviiiiiiPKT_S3_S3_PS1_ii, .Lfunc_end297-_Z12wvSplitK_hf_I14__hip_bfloat16Li64ELi2ELi16ELi8ELi2ELi5EEviiiiiiPKT_S3_S3_PS1_ii
                                        ; -- End function
	.section	.AMDGPU.csdata,"",@progbits
; Kernel info:
; codeLenInByte = 5668
; NumSgprs: 53
; NumVgprs: 123
; NumAgprs: 0
; TotalNumVgprs: 123
; ScratchSize: 0
; MemoryBound: 1
; FloatMode: 240
; IeeeMode: 1
; LDSByteSize: 65536 bytes/workgroup (compile time only)
; SGPRBlocks: 6
; VGPRBlocks: 15
; NumSGPRsForWavesPerEU: 53
; NumVGPRsForWavesPerEU: 123
; AccumOffset: 124
; Occupancy: 4
; WaveLimiterHint : 0
; COMPUTE_PGM_RSRC2:SCRATCH_EN: 0
; COMPUTE_PGM_RSRC2:USER_SGPR: 2
; COMPUTE_PGM_RSRC2:TRAP_HANDLER: 0
; COMPUTE_PGM_RSRC2:TGID_X_EN: 1
; COMPUTE_PGM_RSRC2:TGID_Y_EN: 0
; COMPUTE_PGM_RSRC2:TGID_Z_EN: 0
; COMPUTE_PGM_RSRC2:TIDIG_COMP_CNT: 1
; COMPUTE_PGM_RSRC3_GFX90A:ACCUM_OFFSET: 30
; COMPUTE_PGM_RSRC3_GFX90A:TG_SPLIT: 0
	.section	.text._Z16wvSplitK_hf_big_I14__hip_bfloat16Li64ELi2ELi16ELi8ELi2ELi5EEviiiiiiPKT_S3_S3_PS1_ii,"axG",@progbits,_Z16wvSplitK_hf_big_I14__hip_bfloat16Li64ELi2ELi16ELi8ELi2ELi5EEviiiiiiPKT_S3_S3_PS1_ii,comdat
	.protected	_Z16wvSplitK_hf_big_I14__hip_bfloat16Li64ELi2ELi16ELi8ELi2ELi5EEviiiiiiPKT_S3_S3_PS1_ii ; -- Begin function _Z16wvSplitK_hf_big_I14__hip_bfloat16Li64ELi2ELi16ELi8ELi2ELi5EEviiiiiiPKT_S3_S3_PS1_ii
	.globl	_Z16wvSplitK_hf_big_I14__hip_bfloat16Li64ELi2ELi16ELi8ELi2ELi5EEviiiiiiPKT_S3_S3_PS1_ii
	.p2align	8
	.type	_Z16wvSplitK_hf_big_I14__hip_bfloat16Li64ELi2ELi16ELi8ELi2ELi5EEviiiiiiPKT_S3_S3_PS1_ii,@function
_Z16wvSplitK_hf_big_I14__hip_bfloat16Li64ELi2ELi16ELi8ELi2ELi5EEviiiiiiPKT_S3_S3_PS1_ii: ; @_Z16wvSplitK_hf_big_I14__hip_bfloat16Li64ELi2ELi16ELi8ELi2ELi5EEviiiiiiPKT_S3_S3_PS1_ii
; %bb.0:
	s_load_dwordx2 s[4:5], s[0:1], 0x38
	v_bfe_u32 v1, v0, 10, 10
	s_waitcnt lgkmcnt(0)
	v_cmp_gt_u32_e32 vcc, s4, v1
	s_and_saveexec_b64 s[6:7], vcc
	s_cbranch_execz .LBB298_100
; %bb.1:
	s_load_dwordx4 s[20:23], s[0:1], 0x0
	s_mul_i32 s2, s2, s4
	v_add_lshl_u32 v98, s2, v1, 1
	s_mov_b32 s6, 1
	v_add_u32_e32 v2, 2, v98
	s_waitcnt lgkmcnt(0)
	v_cmp_gt_u32_e32 vcc, s23, v98
	v_cmp_le_u32_e64 s[2:3], s23, v2
	s_mov_b32 s7, s6
	s_and_b64 s[8:9], vcc, s[2:3]
	v_mov_b64_e32 v[96:97], s[6:7]
	s_and_saveexec_b64 s[2:3], s[8:9]
	s_cbranch_execz .LBB298_7
; %bb.2:
	s_add_i32 s14, s23, -2
	v_cmp_ne_u32_e32 vcc, s14, v98
	v_mov_b64_e32 v[96:97], s[6:7]
	s_and_saveexec_b64 s[6:7], vcc
	s_cbranch_execz .LBB298_6
; %bb.3:
	v_subrev_u32_e32 v2, s14, v98
	s_mov_b32 s8, 1
	v_cmp_lt_u32_e32 vcc, 1, v2
	s_mov_b64 s[10:11], 0
	s_mov_b64 s[12:13], 0
	v_cndmask_b32_e32 v2, 1, v2, vcc
	s_mov_b32 s9, s8
.LBB298_4:                              ; =>This Inner Loop Header: Depth=1
	s_cmp_lg_u32 s12, 1
	s_cselect_b32 s9, s9, 0
	s_cmp_lg_u32 s12, 0
	s_cselect_b32 s8, s8, 0
	s_add_u32 s12, s12, 1
	s_addc_u32 s13, s13, 0
	v_cmp_eq_u32_e32 vcc, s12, v2
	s_or_b64 s[10:11], vcc, s[10:11]
	v_mov_b64_e32 v[96:97], s[8:9]
	s_andn2_b64 exec, exec, s[10:11]
	s_cbranch_execnz .LBB298_4
; %bb.5:
	s_or_b64 exec, exec, s[10:11]
	v_mov_b32_e32 v98, s14
.LBB298_6:
	s_or_b64 exec, exec, s[6:7]
.LBB298_7:
	s_or_b64 exec, exec, s[2:3]
	s_lshl_b32 s2, s4, 1
	s_abs_i32 s3, s2
	v_cvt_f32_u32_e32 v2, s3
	s_sub_i32 s8, 0, s3
	s_abs_i32 s7, s23
	s_ashr_i32 s6, s23, 31
	v_rcp_iflag_f32_e32 v2, v2
	s_nop 0
	v_mul_f32_e32 v2, 0x4f7ffffe, v2
	v_cvt_u32_f32_e32 v2, v2
	s_nop 0
	v_readfirstlane_b32 s9, v2
	s_mul_i32 s8, s8, s9
	s_mul_hi_u32 s8, s9, s8
	s_add_i32 s9, s9, s8
	s_mul_hi_u32 s8, s7, s9
	s_mul_i32 s8, s8, s3
	s_sub_i32 s7, s7, s8
	s_sub_i32 s8, s7, s3
	s_cmp_ge_u32 s7, s3
	s_cselect_b32 s7, s8, s7
	s_sub_i32 s8, s7, s3
	s_cmp_ge_u32 s7, s3
	s_cselect_b32 s3, s8, s7
	s_xor_b32 s3, s3, s6
	s_sub_i32 s3, s3, s6
	s_add_i32 s2, s2, s23
	s_sub_i32 s2, s2, s3
	s_cmp_eq_u32 s3, 0
	s_cselect_b32 s33, s23, s2
	v_cmp_gt_u32_e32 vcc, s33, v98
	s_and_b64 exec, exec, vcc
	s_cbranch_execz .LBB298_100
; %bb.8:
	s_load_dwordx8 s[12:19], s[0:1], 0x10
	s_min_u32 s40, s22, 0x1800
	s_cmp_lg_u32 s20, 0
	s_load_dwordx2 s[10:11], s[0:1], 0x30
	s_cselect_b64 s[2:3], -1, 0
	s_cmp_lg_u32 s22, 0
	s_mul_i32 s0, s5, s4
	s_cselect_b64 s[6:7], -1, 0
	s_lshl_b32 s41, s4, 9
	s_add_i32 s42, s20, -8
	s_add_i32 s43, s23, -1
	s_lshl_b32 s44, s0, 1
	s_waitcnt lgkmcnt(0)
	s_cmp_lg_u64 s[18:19], 0
	s_cselect_b64 s[26:27], -1, 0
	s_abs_i32 s5, s13
	v_cvt_f32_u32_e32 v2, s12
	v_cvt_f32_u32_e32 v3, s5
	s_sub_i32 s8, 0, s12
	s_add_i32 s13, s23, -2
	v_rcp_iflag_f32_e32 v2, v2
	v_rcp_iflag_f32_e32 v3, v3
	v_and_b32_e32 v0, 0x3ff, v0
	v_lshlrev_b32_e32 v103, 3, v0
	v_mul_f32_e32 v2, 0x4f7ffffe, v2
	v_mul_f32_e32 v3, 0x4f7ffffe, v3
	v_cvt_u32_f32_e32 v2, v2
	v_cvt_u32_f32_e32 v3, v3
	v_cmp_eq_u32_e64 s[0:1], 63, v0
	v_lshlrev_b32_e32 v0, 4, v0
	v_mul_lo_u32 v4, s8, v2
	s_sub_i32 s8, 0, s5
	v_readfirstlane_b32 s9, v3
	s_mul_i32 s8, s8, s9
	s_mul_hi_u32 s8, s9, s8
	s_add_i32 s9, s9, s8
	s_sub_i32 s8, 1, s5
	s_cmp_lt_u32 s5, 2
	s_cselect_b32 s8, s8, 1
	s_sub_i32 s28, s8, s5
	s_cmp_ge_u32 s8, s5
	s_cselect_b32 s45, s28, s8
	s_lshr_b32 s8, s9, 31
	s_mul_i32 s8, s8, s5
	s_sub_i32 s8, 2, s8
	s_sub_i32 s28, s8, s5
	s_cmp_ge_u32 s8, s5
	s_cselect_b32 s8, s28, s8
	s_sub_i32 s28, s8, s5
	s_cmp_ge_u32 s8, s5
	s_cselect_b32 s46, s28, s8
	s_mul_hi_u32 s8, s9, 3
	s_mul_i32 s8, s8, s5
	s_sub_i32 s8, 3, s8
	s_sub_i32 s28, s8, s5
	s_cmp_ge_u32 s8, s5
	s_cselect_b32 s8, s28, s8
	s_sub_i32 s28, s8, s5
	s_cmp_ge_u32 s8, s5
	s_cselect_b32 s47, s28, s8
	s_lshr_b32 s8, s9, 30
	s_mul_i32 s8, s8, s5
	s_sub_i32 s8, 4, s8
	s_sub_i32 s9, s8, s5
	s_cmp_ge_u32 s8, s5
	s_cselect_b32 s8, s9, s8
	s_sub_i32 s9, s8, s5
	s_cmp_ge_u32 s8, s5
	s_cselect_b32 s48, s9, s8
	s_add_u32 s28, s10, 2
	v_lshl_add_u32 v111, v1, 10, v0
	v_lshl_add_u32 v102, v1, 9, v103
	v_cndmask_b32_e64 v0, 0, 1, s[2:3]
	v_mul_hi_u32 v4, v2, v4
	s_addc_u32 s29, s11, 0
	s_lshl_b32 s50, s4, 10
	v_mad_u64_u32 v[104:105], s[4:5], s22, 3, v[102:103]
	v_cmp_ne_u32_e64 s[2:3], 1, v0
	v_cndmask_b32_e64 v0, 0, 1, s[6:7]
	s_mov_b64 s[24:25], 0
	v_add_u32_e32 v110, v2, v4
	v_mov_b32_e32 v101, 0
	s_mul_i32 s45, s45, s12
	s_mul_i32 s46, s46, s12
	;; [unrolled: 1-line block ×4, first 2 shown]
	s_lshl_b32 s49, s40, 3
	s_mul_i32 s51, s40, 6
	s_lshl_b32 s52, s40, 2
	s_lshl_b32 s53, s40, 1
	v_lshl_add_u32 v112, s22, 1, v102
	v_lshl_add_u32 v105, s22, 2, v102
	v_add_u32_e32 v113, s22, v102
	s_mov_b32 s54, 0x7f800000
	s_movk_i32 s55, 0x7fff
	v_cmp_ne_u32_e64 s[4:5], 1, v0
	s_branch .LBB298_12
.LBB298_9:                              ;   in Loop: Header=BB298_12 Depth=1
	s_or_b64 exec, exec, s[34:35]
	v_mov_b32_e32 v98, s13
.LBB298_10:                             ;   in Loop: Header=BB298_12 Depth=1
	s_or_b64 exec, exec, s[8:9]
.LBB298_11:                             ;   in Loop: Header=BB298_12 Depth=1
	s_or_b64 exec, exec, s[30:31]
	v_cmp_le_u32_e32 vcc, s33, v98
	s_or_b64 s[24:25], vcc, s[24:25]
	s_andn2_b64 exec, exec, s[24:25]
	s_cbranch_execz .LBB298_100
.LBB298_12:                             ; =>This Loop Header: Depth=1
                                        ;     Child Loop BB298_17 Depth 2
                                        ;       Child Loop BB298_22 Depth 3
                                        ;     Child Loop BB298_98 Depth 2
	s_and_b64 vcc, exec, s[2:3]
	v_mov_b32_e32 v3, v101
	v_mov_b32_e32 v2, v101
	;; [unrolled: 1-line block ×6, first 2 shown]
	s_waitcnt vmcnt(0)
	v_mov_b32_e32 v5, v101
	v_mov_b32_e32 v4, v101
	;; [unrolled: 1-line block ×34, first 2 shown]
	s_cbranch_vccnz .LBB298_29
; %bb.13:                               ;   in Loop: Header=BB298_12 Depth=1
	v_min_u32_e32 v0, s43, v98
	v_mul_lo_u32 v100, v0, s21
	v_add_u32_e32 v0, 1, v98
	v_min_u32_e32 v0, s43, v0
	v_mul_lo_u32 v0, v0, s21
	v_mov_b32_e32 v1, v101
	v_mov_b32_e32 v16, 0
	v_cmp_gt_u32_e64 s[6:7], s23, v98
	s_mov_b32 s36, 0
	v_lshlrev_b64 v[106:107], 1, v[100:101]
	v_lshlrev_b64 v[108:109], 1, v[0:1]
	s_mov_b32 s37, 0
	v_mov_b32_e32 v17, v16
	v_mov_b32_e32 v18, v16
	;; [unrolled: 1-line block ×39, first 2 shown]
	s_branch .LBB298_17
.LBB298_14:                             ;   in Loop: Header=BB298_17 Depth=2
	s_or_b64 exec, exec, s[34:35]
.LBB298_15:                             ;   in Loop: Header=BB298_17 Depth=2
	s_or_b64 exec, exec, s[30:31]
	s_waitcnt vmcnt(3) lgkmcnt(4)
	v_mfma_f32_4x4x4_16b_bf16 v[36:39], v[92:93], v[52:53], v[36:39]
	s_waitcnt vmcnt(2)
	v_mfma_f32_4x4x4_16b_bf16 v[32:35], v[92:93], v[48:49], v[32:35]
	s_waitcnt lgkmcnt(3)
	v_mfma_f32_4x4x4_16b_bf16 v[28:31], v[88:89], v[52:53], v[28:31]
	v_mfma_f32_4x4x4_16b_bf16 v[24:27], v[88:89], v[48:49], v[24:27]
	s_waitcnt lgkmcnt(2)
	v_mfma_f32_4x4x4_16b_bf16 v[20:23], v[84:85], v[52:53], v[20:23]
	;; [unrolled: 3-line block ×4, first 2 shown]
	v_mfma_f32_4x4x4_16b_bf16 v[0:3], v[60:61], v[48:49], v[0:3]
	v_mfma_f32_4x4x4_16b_bf16 v[36:39], v[94:95], v[54:55], v[36:39]
	;; [unrolled: 1-line block ×11, first 2 shown]
	s_waitcnt vmcnt(1)
	v_mfma_f32_4x4x4_16b_bf16 v[36:39], v[80:81], v[44:45], v[36:39]
	s_waitcnt vmcnt(0)
	v_mfma_f32_4x4x4_16b_bf16 v[32:35], v[80:81], v[40:41], v[32:35]
	v_mfma_f32_4x4x4_16b_bf16 v[28:31], v[72:73], v[44:45], v[28:31]
	;; [unrolled: 1-line block ×19, first 2 shown]
.LBB298_16:                             ;   in Loop: Header=BB298_17 Depth=2
	s_or_b64 exec, exec, s[8:9]
	s_addk_i32 s37, 0x400
	s_cmp_ge_u32 s37, s20
	s_cbranch_scc1 .LBB298_29
.LBB298_17:                             ;   Parent Loop BB298_12 Depth=1
                                        ; =>  This Loop Header: Depth=2
                                        ;       Child Loop BB298_22 Depth 3
	s_cmp_eq_u32 s37, 0
	s_cselect_b64 s[8:9], -1, 0
	s_add_i32 s30, s36, s40
	s_cmp_eq_u32 s37, s30
	s_cselect_b64 s[34:35], -1, 0
	s_or_b64 s[34:35], s[8:9], s[34:35]
	s_andn2_b64 vcc, exec, s[34:35]
	s_cbranch_vccz .LBB298_19
; %bb.18:                               ;   in Loop: Header=BB298_17 Depth=2
	s_and_saveexec_b64 s[8:9], s[6:7]
	s_cbranch_execz .LBB298_16
	s_branch .LBB298_26
.LBB298_19:                             ;   in Loop: Header=BB298_17 Depth=2
	s_and_b64 s[8:9], s[8:9], exec
	s_cselect_b32 s36, s36, s30
	s_and_b64 vcc, exec, s[4:5]
	s_barrier
	s_cbranch_vccnz .LBB298_25
; %bb.20:                               ;   in Loop: Header=BB298_17 Depth=2
	v_add_u32_e32 v40, s36, v112
	v_add_u32_e32 v41, s36, v104
	;; [unrolled: 1-line block ×5, first 2 shown]
	s_mov_b32 s38, 0
	s_mov_b64 s[30:31], 0
	v_mov_b32_e32 v45, v111
                                        ; implicit-def: $sgpr34_sgpr35
	s_branch .LBB298_22
.LBB298_21:                             ;   in Loop: Header=BB298_22 Depth=3
	s_or_b64 exec, exec, s[8:9]
	s_and_b64 s[8:9], exec, s[34:35]
	s_or_b64 s[30:31], s[8:9], s[30:31]
	s_andn2_b64 exec, exec, s[30:31]
	s_cbranch_execz .LBB298_24
.LBB298_22:                             ;   Parent Loop BB298_12 Depth=1
                                        ;     Parent Loop BB298_17 Depth=2
                                        ; =>    This Inner Loop Header: Depth=3
	v_add_u32_e32 v46, s38, v102
	v_add_u32_e32 v100, s38, v44
	v_cmp_gt_u32_e32 vcc, s22, v100
	v_cmp_gt_u32_e64 s[8:9], s40, v46
	s_and_b64 s[56:57], s[8:9], vcc
	s_or_b64 s[34:35], s[34:35], exec
	s_and_saveexec_b64 s[8:9], s[56:57]
	s_cbranch_execz .LBB298_21
; %bb.23:                               ;   in Loop: Header=BB298_22 Depth=3
	v_lshl_add_u64 v[46:47], v[100:101], 1, s[16:17]
	v_add_u32_e32 v100, s38, v43
	v_lshl_add_u64 v[50:51], v[100:101], 1, s[16:17]
	v_add_u32_e32 v100, s38, v40
	;; [unrolled: 2-line block ×3, first 2 shown]
	v_lshl_add_u64 v[58:59], v[100:101], 1, s[16:17]
	global_load_dwordx4 v[46:49], v[46:47], off
	s_nop 0
	global_load_dwordx4 v[50:53], v[50:51], off
	s_nop 0
	global_load_dwordx4 v[54:57], v[54:55], off
	s_nop 0
	global_load_dwordx4 v[58:61], v[58:59], off
	v_add_u32_e32 v100, s38, v42
	v_lshl_add_u64 v[62:63], v[100:101], 1, s[16:17]
	global_load_dwordx4 v[62:65], v[62:63], off
	s_add_i32 s38, s38, s41
	s_cmp_ge_u32 s38, s40
	s_cselect_b64 s[56:57], -1, 0
	s_andn2_b64 s[34:35], s[34:35], exec
	s_and_b64 s[56:57], s[56:57], exec
	v_add_u32_e32 v66, s53, v45
	v_add_u32_e32 v67, s52, v45
	;; [unrolled: 1-line block ×4, first 2 shown]
	s_or_b64 s[34:35], s[34:35], s[56:57]
	s_waitcnt vmcnt(4)
	ds_write_b128 v45, v[46:49]
	v_add_u32_e32 v45, s50, v45
	s_waitcnt vmcnt(3)
	ds_write2_b64 v66, v[50:51], v[52:53] offset1:1
	s_waitcnt vmcnt(2)
	ds_write2_b32 v67, v54, v55 offset1:1
	ds_write2_b32 v67, v56, v57 offset0:2 offset1:3
	s_waitcnt vmcnt(1)
	ds_write2_b64 v68, v[58:59], v[60:61] offset1:1
	s_waitcnt vmcnt(0)
	ds_write2_b64 v69, v[62:63], v[64:65] offset1:1
	s_branch .LBB298_21
.LBB298_24:                             ;   in Loop: Header=BB298_17 Depth=2
	s_or_b64 exec, exec, s[30:31]
.LBB298_25:                             ;   in Loop: Header=BB298_17 Depth=2
	s_waitcnt lgkmcnt(0)
	s_barrier
	s_and_saveexec_b64 s[8:9], s[6:7]
	s_cbranch_execz .LBB298_16
.LBB298_26:                             ;   in Loop: Header=BB298_17 Depth=2
	v_add_u32_e32 v114, s37, v103
	v_min_u32_e32 v100, s42, v114
	v_lshl_add_u64 v[40:41], v[100:101], 1, s[14:15]
	v_add_u32_e32 v99, 0x200, v114
	v_lshl_add_u64 v[42:43], v[40:41], 0, v[106:107]
	v_lshl_add_u64 v[40:41], v[40:41], 0, v[108:109]
	v_min_u32_e32 v100, s42, v99
	global_load_dwordx4 v[52:55], v[42:43], off nt
	global_load_dwordx4 v[48:51], v[40:41], off nt
	v_lshl_add_u64 v[40:41], v[100:101], 1, s[14:15]
	v_lshl_add_u64 v[42:43], v[40:41], 0, v[106:107]
	v_lshl_add_u64 v[40:41], v[40:41], 0, v[108:109]
	global_load_dwordx4 v[44:47], v[42:43], off nt
	s_nop 0
	global_load_dwordx4 v[40:43], v[40:41], off nt
	v_cmp_gt_u32_e32 vcc, s20, v114
	v_mov_b32_e32 v58, 0
	v_mov_b32_e32 v59, 0
	;; [unrolled: 1-line block ×40, first 2 shown]
	s_and_saveexec_b64 s[30:31], vcc
	s_cbranch_execz .LBB298_15
; %bb.27:                               ;   in Loop: Header=BB298_17 Depth=2
	v_subrev_u32_e32 v56, s36, v114
	v_lshlrev_b32_e32 v117, 1, v56
	v_add_u32_e32 v116, s53, v117
	v_add_u32_e32 v115, s53, v116
	;; [unrolled: 1-line block ×4, first 2 shown]
	ds_read_b128 v[92:95], v117
	ds_read_b128 v[88:91], v116
	;; [unrolled: 1-line block ×5, first 2 shown]
	v_cmp_gt_u32_e32 vcc, s20, v99
	v_mov_b32_e32 v81, 0
	v_mov_b32_e32 v80, 0
	;; [unrolled: 1-line block ×20, first 2 shown]
	s_and_saveexec_b64 s[34:35], vcc
	s_cbranch_execz .LBB298_14
; %bb.28:                               ;   in Loop: Header=BB298_17 Depth=2
	ds_read_b128 v[80:83], v117 offset:1024
	ds_read_b128 v[72:75], v116 offset:1024
	;; [unrolled: 1-line block ×4, first 2 shown]
	ds_read2_b64 v[56:59], v100 offset0:128 offset1:129
	s_branch .LBB298_14
.LBB298_29:                             ;   in Loop: Header=BB298_12 Depth=1
	v_cmp_le_u32_e32 vcc, s23, v98
	s_and_saveexec_b64 s[6:7], vcc
	s_xor_b64 s[6:7], exec, s[6:7]
; %bb.30:                               ;   in Loop: Header=BB298_12 Depth=1
	v_add_u32_e32 v98, s44, v98
                                        ; implicit-def: $vgpr3
                                        ; implicit-def: $vgpr7
                                        ; implicit-def: $vgpr11
                                        ; implicit-def: $vgpr15
                                        ; implicit-def: $vgpr39
                                        ; implicit-def: $vgpr35
                                        ; implicit-def: $vgpr31
                                        ; implicit-def: $vgpr27
                                        ; implicit-def: $vgpr23
                                        ; implicit-def: $vgpr19
; %bb.31:                               ;   in Loop: Header=BB298_12 Depth=1
	s_andn2_saveexec_b64 s[30:31], s[6:7]
	s_cbranch_execz .LBB298_11
; %bb.32:                               ;   in Loop: Header=BB298_12 Depth=1
	v_cvt_i32_f32_e32 v37, v37
	v_cvt_i32_f32_e32 v38, v38
	;; [unrolled: 1-line block ×4, first 2 shown]
	v_cvt_f32_i32_dpp v37, v37 row_shl:1 row_mask:0xf bank_mask:0xf bound_ctrl:1
	v_cvt_f32_i32_dpp v38, v38 row_shl:2 row_mask:0xf bank_mask:0xf bound_ctrl:1
	;; [unrolled: 1-line block ×3, first 2 shown]
	v_cvt_i32_f32_e32 v34, v34
	v_add_f32_e32 v36, v36, v37
	v_add_f32_e32 v36, v36, v38
	v_add_f32_e32 v36, v36, v39
	v_cvt_i32_f32_e32 v37, v36
	v_cvt_i32_f32_e32 v35, v35
	v_cvt_f32_i32_dpp v33, v33 row_shl:1 row_mask:0xf bank_mask:0xf bound_ctrl:1
	v_cvt_f32_i32_dpp v34, v34 row_shl:2 row_mask:0xf bank_mask:0xf bound_ctrl:1
	;; [unrolled: 1-line block ×4, first 2 shown]
	v_add_f32_e32 v32, v32, v33
	v_add_f32_e32 v32, v32, v34
	v_cvt_i32_f32_e32 v29, v29
	v_add_f32_e32 v33, v36, v37
	v_add_f32_e32 v32, v32, v35
	v_cvt_i32_f32_e32 v36, v33
	v_cvt_i32_f32_e32 v34, v32
	;; [unrolled: 1-line block ×4, first 2 shown]
	v_cvt_f32_i32_dpp v29, v29 row_shl:1 row_mask:0xf bank_mask:0xf bound_ctrl:1
	v_cvt_f32_i32_dpp v35, v36 row_shl:8 row_mask:0xf bank_mask:0xf bound_ctrl:1
	;; [unrolled: 1-line block ×5, first 2 shown]
	v_add_f32_e32 v28, v28, v29
	v_add_f32_e32 v33, v33, v35
	;; [unrolled: 1-line block ×4, first 2 shown]
	v_cvt_i32_f32_e32 v33, v33
	v_cvt_i32_f32_e32 v34, v32
	v_add_f32_e32 v28, v28, v31
	v_cvt_i32_f32_e32 v29, v28
	v_cvt_f32_i32_dpp v33, v33 row_shr:15 row_mask:0xf bank_mask:0xf bound_ctrl:1
	v_cvt_f32_i32_dpp v34, v34 row_shl:8 row_mask:0xf bank_mask:0xf bound_ctrl:1
	v_cvt_i32_f32_e32 v25, v25
	v_cvt_f32_i32_dpp v29, v29 row_shl:4 row_mask:0xf bank_mask:0xf bound_ctrl:1
	v_cvt_i32_f32_e32 v30, v33
	v_add_f32_e32 v31, v32, v34
	v_cvt_i32_f32_e32 v26, v26
	v_cvt_i32_f32_e32 v31, v31
	v_add_f32_e32 v32, v28, v29
	v_cvt_i32_f32_e32 v27, v27
	v_cvt_i32_f32_e32 v29, v32
	v_cvt_f32_i32_dpp v25, v25 row_shl:1 row_mask:0xf bank_mask:0xf bound_ctrl:1
	v_cvt_f32_i32_dpp v30, v30 row_bcast:15 row_mask:0xf bank_mask:0xf bound_ctrl:1
	v_cvt_f32_i32_dpp v26, v26 row_shl:2 row_mask:0xf bank_mask:0xf bound_ctrl:1
	v_cvt_f32_i32_dpp v31, v31 row_shr:15 row_mask:0xf bank_mask:0xf bound_ctrl:1
	v_cvt_f32_i32_dpp v27, v27 row_shl:3 row_mask:0xf bank_mask:0xf bound_ctrl:1
	v_cvt_f32_i32_dpp v34, v29 row_shl:8 row_mask:0xf bank_mask:0xf bound_ctrl:1
	v_add_f32_e32 v24, v24, v25
	v_cvt_i32_f32_e32 v21, v21
	v_add_f32_e32 v28, v33, v30
	v_add_f32_e32 v24, v24, v26
	v_cvt_i32_f32_e32 v22, v22
	v_cvt_i32_f32_e32 v30, v28
	;; [unrolled: 1-line block ×3, first 2 shown]
	v_add_f32_e32 v25, v24, v27
	v_cvt_i32_f32_e32 v23, v23
	v_add_f32_e32 v32, v32, v34
	v_cvt_i32_f32_e32 v26, v25
	v_cvt_i32_f32_e32 v32, v32
	v_cvt_f32_i32_dpp v21, v21 row_shl:1 row_mask:0xf bank_mask:0xf bound_ctrl:1
	v_cvt_f32_i32_dpp v22, v22 row_shl:2 row_mask:0xf bank_mask:0xf bound_ctrl:1
	v_mov_b32_dpp v29, v30 row_bcast:31 row_mask:0xf bank_mask:0xf bound_ctrl:1
	v_cvt_f32_i32_dpp v30, v33 row_bcast:15 row_mask:0xf bank_mask:0xf bound_ctrl:1
	v_cvt_f32_i32_dpp v23, v23 row_shl:3 row_mask:0xf bank_mask:0xf bound_ctrl:1
	v_cvt_f32_i32_dpp v26, v26 row_shl:4 row_mask:0xf bank_mask:0xf bound_ctrl:1
	v_cvt_f32_i32_dpp v32, v32 row_shr:15 row_mask:0xf bank_mask:0xf bound_ctrl:1
	v_add_f32_e32 v20, v20, v21
	v_add_f32_e32 v20, v20, v22
	;; [unrolled: 1-line block ×4, first 2 shown]
	v_cvt_i32_f32_e32 v27, v24
	v_add_f32_e32 v25, v25, v26
	v_cvt_i32_f32_e32 v20, v22
	v_cvt_i32_f32_e32 v30, v32
	;; [unrolled: 1-line block ×3, first 2 shown]
	v_mov_b32_dpp v21, v27 row_bcast:31 row_mask:0xf bank_mask:0xf bound_ctrl:1
	v_cvt_f32_i32_dpp v27, v20 row_shl:4 row_mask:0xf bank_mask:0xf bound_ctrl:1
	v_cvt_f32_i32_dpp v23, v30 row_bcast:15 row_mask:0xf bank_mask:0xf bound_ctrl:1
	v_cvt_f32_i32_dpp v26, v26 row_shl:8 row_mask:0xf bank_mask:0xf bound_ctrl:1
	v_cvt_i32_f32_e32 v17, v17
	v_add_f32_e32 v22, v22, v27
	v_cvt_i32_f32_e32 v18, v18
	v_add_f32_e32 v20, v32, v23
	v_add_f32_e32 v23, v25, v26
	v_cvt_i32_f32_e32 v19, v19
	v_cvt_i32_f32_e32 v25, v22
	v_cvt_f32_i32_dpp v17, v17 row_shl:1 row_mask:0xf bank_mask:0xf bound_ctrl:1
	v_cvt_f32_i32_dpp v18, v18 row_shl:2 row_mask:0xf bank_mask:0xf bound_ctrl:1
	;; [unrolled: 1-line block ×4, first 2 shown]
	v_add_f32_e32 v16, v16, v17
	v_add_f32_e32 v16, v16, v18
	;; [unrolled: 1-line block ×4, first 2 shown]
	v_cvt_i32_f32_e32 v17, v16
	v_cvt_i32_f32_e32 v19, v19
	;; [unrolled: 1-line block ×5, first 2 shown]
	v_cvt_f32_i32_dpp v17, v17 row_shl:4 row_mask:0xf bank_mask:0xf bound_ctrl:1
	v_cvt_i32_f32_e32 v22, v20
	v_cvt_f32_i32_dpp v19, v19 row_shr:15 row_mask:0xf bank_mask:0xf bound_ctrl:1
	v_cvt_f32_i32_dpp v13, v13 row_shl:1 row_mask:0xf bank_mask:0xf bound_ctrl:1
	v_cvt_f32_i32_dpp v14, v14 row_shl:2 row_mask:0xf bank_mask:0xf bound_ctrl:1
	;; [unrolled: 1-line block ×3, first 2 shown]
	v_cvt_i32_f32_e32 v5, v5
	v_add_f32_e32 v25, v16, v17
	v_mov_b32_dpp v17, v22 row_bcast:31 row_mask:0xf bank_mask:0xf bound_ctrl:1
	v_cvt_i32_f32_e32 v22, v19
	v_add_f32_e32 v12, v12, v13
	v_cvt_i32_f32_e32 v9, v9
	v_cvt_i32_f32_e32 v1, v1
	v_add_f32_e32 v12, v12, v14
	v_cvt_i32_f32_e32 v10, v10
	v_cvt_i32_f32_e32 v6, v6
	;; [unrolled: 1-line block ×3, first 2 shown]
	v_add_f32_e32 v14, v12, v15
	v_cvt_i32_f32_e32 v11, v11
	v_cvt_f32_i32_dpp v5, v5 row_shl:1 row_mask:0xf bank_mask:0xf bound_ctrl:1
	v_cvt_i32_f32_e32 v7, v7
	v_cvt_i32_f32_e32 v3, v3
	v_cvt_f32_i32_dpp v22, v22 row_bcast:15 row_mask:0xf bank_mask:0xf bound_ctrl:1
	v_cvt_i32_f32_e32 v12, v14
	v_cvt_f32_i32_dpp v9, v9 row_shl:1 row_mask:0xf bank_mask:0xf bound_ctrl:1
	v_cvt_f32_i32_dpp v1, v1 row_shl:1 row_mask:0xf bank_mask:0xf bound_ctrl:1
	;; [unrolled: 1-line block ×6, first 2 shown]
	v_add_f32_e32 v4, v4, v5
	v_cvt_f32_i32_dpp v5, v7 row_shl:3 row_mask:0xf bank_mask:0xf bound_ctrl:1
	v_cvt_f32_i32_dpp v3, v3 row_shl:3 row_mask:0xf bank_mask:0xf bound_ctrl:1
	v_add_f32_e32 v13, v19, v22
	v_cvt_f32_i32_dpp v19, v12 row_shl:4 row_mask:0xf bank_mask:0xf bound_ctrl:1
	v_add_f32_e32 v8, v8, v9
	v_add_f32_e32 v0, v0, v1
	;; [unrolled: 1-line block ×9, first 2 shown]
	v_cvt_i32_f32_e32 v10, v9
	v_cvt_i32_f32_e32 v5, v4
	;; [unrolled: 1-line block ×5, first 2 shown]
	v_cvt_f32_i32_dpp v10, v10 row_shl:4 row_mask:0xf bank_mask:0xf bound_ctrl:1
	v_cvt_f32_i32_dpp v3, v5 row_shl:4 row_mask:0xf bank_mask:0xf bound_ctrl:1
	;; [unrolled: 1-line block ×3, first 2 shown]
	v_cvt_f32_i32_dpp v18, v23 row_shr:15 row_mask:0xf bank_mask:0xf bound_ctrl:1
	v_cvt_f32_i32_dpp v19, v19 row_shl:8 row_mask:0xf bank_mask:0xf bound_ctrl:1
	v_add_f32_e32 v9, v9, v10
	v_add_f32_e32 v3, v4, v3
	;; [unrolled: 1-line block ×3, first 2 shown]
	v_cvt_i32_f32_e32 v23, v18
	v_cvt_i32_f32_e32 v16, v25
	v_add_f32_e32 v14, v14, v19
	v_cvt_i32_f32_e32 v10, v9
	v_cvt_i32_f32_e32 v4, v3
	;; [unrolled: 1-line block ×4, first 2 shown]
	v_cvt_f32_i32_dpp v23, v23 row_bcast:15 row_mask:0xf bank_mask:0xf bound_ctrl:1
	v_cvt_f32_i32_dpp v26, v16 row_shl:8 row_mask:0xf bank_mask:0xf bound_ctrl:1
	v_cvt_f32_i32_dpp v2, v10 row_shl:8 row_mask:0xf bank_mask:0xf bound_ctrl:1
	;; [unrolled: 1-line block ×4, first 2 shown]
	v_cvt_f32_i32_dpp v5, v14 row_shr:15 row_mask:0xf bank_mask:0xf bound_ctrl:1
	v_add_f32_e32 v16, v18, v23
	v_add_f32_e32 v23, v25, v26
	;; [unrolled: 1-line block ×5, first 2 shown]
	v_cvt_i32_f32_e32 v23, v23
	v_cvt_i32_f32_e32 v2, v2
	;; [unrolled: 1-line block ×5, first 2 shown]
	v_cvt_f32_i32_dpp v23, v23 row_shr:15 row_mask:0xf bank_mask:0xf bound_ctrl:1
	v_cvt_f32_i32_dpp v2, v2 row_shr:15 row_mask:0xf bank_mask:0xf bound_ctrl:1
	v_cvt_f32_i32_dpp v1, v6 row_bcast:15 row_mask:0xf bank_mask:0xf bound_ctrl:1
	v_cvt_f32_i32_dpp v3, v3 row_shr:15 row_mask:0xf bank_mask:0xf bound_ctrl:1
	v_cvt_f32_i32_dpp v0, v0 row_shr:15 row_mask:0xf bank_mask:0xf bound_ctrl:1
	v_cvt_i32_f32_e32 v18, v16
	v_cvt_i32_f32_e32 v25, v23
	;; [unrolled: 1-line block ×3, first 2 shown]
	v_add_f32_e32 v7, v5, v1
	v_cvt_i32_f32_e32 v1, v3
	v_cvt_i32_f32_e32 v5, v0
	v_mov_b32_dpp v15, v18 row_bcast:31 row_mask:0xf bank_mask:0xf bound_ctrl:1
	v_cvt_f32_i32_dpp v18, v25 row_bcast:15 row_mask:0xf bank_mask:0xf bound_ctrl:1
	v_cvt_f32_i32_dpp v4, v4 row_bcast:15 row_mask:0xf bank_mask:0xf bound_ctrl:1
	;; [unrolled: 1-line block ×4, first 2 shown]
	v_add_f32_e32 v12, v23, v18
	v_add_f32_e32 v4, v2, v4
	;; [unrolled: 1-line block ×4, first 2 shown]
	v_cvt_i32_f32_e32 v22, v13
	v_cvt_i32_f32_e32 v18, v12
	;; [unrolled: 1-line block ×6, first 2 shown]
	v_mov_b32_dpp v11, v22 row_bcast:31 row_mask:0xf bank_mask:0xf bound_ctrl:1
	v_mov_b32_dpp v8, v18 row_bcast:31 row_mask:0xf bank_mask:0xf bound_ctrl:1
	;; [unrolled: 1-line block ×6, first 2 shown]
	s_and_saveexec_b64 s[34:35], s[0:1]
	s_cbranch_execz .LBB298_95
; %bb.33:                               ;   in Loop: Header=BB298_12 Depth=1
	s_andn2_b64 vcc, exec, s[26:27]
	v_mov_b32_e32 v27, 0
	v_mov_b32_e32 v26, 0
	;; [unrolled: 1-line block ×10, first 2 shown]
	s_cbranch_vccnz .LBB298_35
; %bb.34:                               ;   in Loop: Header=BB298_12 Depth=1
	v_mul_hi_u32 v5, v98, v110
	v_mul_lo_u32 v5, v5, s12
	v_sub_u32_e32 v5, v98, v5
	v_subrev_u32_e32 v9, s12, v5
	v_cmp_le_u32_e32 vcc, s12, v5
	v_mov_b32_e32 v19, v101
	v_mov_b32_e32 v33, v101
	v_cndmask_b32_e32 v5, v5, v9, vcc
	v_subrev_u32_e32 v9, s12, v5
	v_cmp_le_u32_e32 vcc, s12, v5
	s_nop 1
	v_cndmask_b32_e32 v100, v5, v9, vcc
	v_add_u32_e32 v5, 1, v98
	v_mul_hi_u32 v9, v5, v110
	v_mul_lo_u32 v9, v9, s12
	v_sub_u32_e32 v5, v5, v9
	v_subrev_u32_e32 v9, s12, v5
	v_cmp_le_u32_e32 vcc, s12, v5
	v_add_u32_e32 v18, s45, v100
	v_lshl_add_u64 v[36:37], v[18:19], 1, s[18:19]
	v_cndmask_b32_e32 v5, v5, v9, vcc
	v_subrev_u32_e32 v9, s12, v5
	v_cmp_le_u32_e32 vcc, s12, v5
	v_lshl_add_u64 v[30:31], v[100:101], 1, s[18:19]
	s_nop 0
	v_cndmask_b32_e32 v32, v5, v9, vcc
	v_add_u32_e32 v18, s45, v32
	v_lshl_add_u64 v[38:39], v[18:19], 1, s[18:19]
	v_add_u32_e32 v18, s46, v100
	v_lshl_add_u64 v[40:41], v[18:19], 1, s[18:19]
	;; [unrolled: 2-line block ×5, first 2 shown]
	v_lshl_add_u64 v[46:47], v[18:19], 1, s[18:19]
	global_load_ushort v27, v[30:31], off
	global_load_ushort v26, v[34:35], off
	;; [unrolled: 1-line block ×8, first 2 shown]
	v_add_u32_e32 v100, s48, v100
	v_lshl_add_u64 v[30:31], v[100:101], 1, s[18:19]
	v_add_u32_e32 v100, s48, v32
	v_lshl_add_u64 v[32:33], v[100:101], 1, s[18:19]
	global_load_ushort v9, v[30:31], off
	global_load_ushort v5, v[32:33], off
.LBB298_35:                             ;   in Loop: Header=BB298_12 Depth=1
	v_cmp_ne_u32_e32 vcc, 0, v96
	s_and_saveexec_b64 s[8:9], vcc
	s_cbranch_execnz .LBB298_45
; %bb.36:                               ;   in Loop: Header=BB298_12 Depth=1
	s_or_b64 exec, exec, s[8:9]
	v_cmp_ne_u32_e64 s[6:7], 0, v97
	s_and_saveexec_b64 s[36:37], s[6:7]
	s_cbranch_execnz .LBB298_50
.LBB298_37:                             ;   in Loop: Header=BB298_12 Depth=1
	s_or_b64 exec, exec, s[36:37]
	v_add_u32_e32 v100, s23, v98
	s_and_saveexec_b64 s[36:37], vcc
	s_cbranch_execnz .LBB298_55
.LBB298_38:                             ;   in Loop: Header=BB298_12 Depth=1
	s_or_b64 exec, exec, s[36:37]
	s_and_saveexec_b64 s[36:37], s[6:7]
	s_cbranch_execnz .LBB298_60
.LBB298_39:                             ;   in Loop: Header=BB298_12 Depth=1
	s_or_b64 exec, exec, s[36:37]
	v_add_u32_e32 v100, s23, v100
	s_and_saveexec_b64 s[36:37], vcc
	s_cbranch_execnz .LBB298_65
.LBB298_40:                             ;   in Loop: Header=BB298_12 Depth=1
	s_or_b64 exec, exec, s[36:37]
	s_and_saveexec_b64 s[36:37], s[6:7]
	s_cbranch_execnz .LBB298_70
.LBB298_41:                             ;   in Loop: Header=BB298_12 Depth=1
	s_or_b64 exec, exec, s[36:37]
	v_add_u32_e32 v100, s23, v100
	s_and_saveexec_b64 s[36:37], vcc
	s_cbranch_execnz .LBB298_75
.LBB298_42:                             ;   in Loop: Header=BB298_12 Depth=1
	s_or_b64 exec, exec, s[36:37]
	s_and_saveexec_b64 s[36:37], s[6:7]
	s_cbranch_execnz .LBB298_80
.LBB298_43:                             ;   in Loop: Header=BB298_12 Depth=1
	s_or_b64 exec, exec, s[36:37]
	v_add_u32_e32 v100, s23, v100
	s_and_saveexec_b64 s[8:9], vcc
	s_cbranch_execnz .LBB298_85
.LBB298_44:                             ;   in Loop: Header=BB298_12 Depth=1
	s_or_b64 exec, exec, s[8:9]
	s_and_b64 exec, exec, s[6:7]
	s_cbranch_execnz .LBB298_90
	s_branch .LBB298_95
.LBB298_45:                             ;   in Loop: Header=BB298_12 Depth=1
	v_cvt_f32_i32_e32 v29, v29
	s_waitcnt vmcnt(9)
	v_lshlrev_b32_e32 v27, 16, v27
	v_add_f32_e32 v28, v28, v29
	v_add_f32_e32 v28, v28, v27
	v_and_b32_e32 v27, 0x7f800000, v28
	v_cmp_ne_u32_e64 s[6:7], s54, v27
                                        ; implicit-def: $vgpr27
	s_and_saveexec_b64 s[36:37], s[6:7]
	s_xor_b64 s[6:7], exec, s[36:37]
; %bb.46:                               ;   in Loop: Header=BB298_12 Depth=1
	v_bfe_u32 v27, v28, 16, 1
	v_add3_u32 v27, v28, v27, s55
                                        ; implicit-def: $vgpr28
; %bb.47:                               ;   in Loop: Header=BB298_12 Depth=1
	s_andn2_saveexec_b64 s[36:37], s[6:7]
; %bb.48:                               ;   in Loop: Header=BB298_12 Depth=1
	v_or_b32_e32 v27, 0x10000, v28
	v_cmp_eq_u32_sdwa s[6:7], v28, v101 src0_sel:WORD_0 src1_sel:DWORD
	s_nop 1
	v_cndmask_b32_e64 v27, v27, v28, s[6:7]
; %bb.49:                               ;   in Loop: Header=BB298_12 Depth=1
	s_or_b64 exec, exec, s[36:37]
	v_mov_b32_e32 v99, v101
	v_lshl_add_u64 v[28:29], v[98:99], 1, s[10:11]
	global_store_short_d16_hi v[28:29], v27, off
	s_or_b64 exec, exec, s[8:9]
	v_cmp_ne_u32_e64 s[6:7], 0, v97
	s_and_saveexec_b64 s[36:37], s[6:7]
	s_cbranch_execz .LBB298_37
.LBB298_50:                             ;   in Loop: Header=BB298_12 Depth=1
	v_cvt_f32_i32_e32 v21, v21
	v_add_f32_e32 v21, v24, v21
	s_waitcnt vmcnt(8)
	v_lshlrev_b32_e32 v24, 16, v26
	v_add_f32_e32 v24, v21, v24
	v_and_b32_e32 v21, 0x7f800000, v24
	v_cmp_ne_u32_e64 s[8:9], s54, v21
                                        ; implicit-def: $vgpr21
	s_and_saveexec_b64 s[38:39], s[8:9]
	s_xor_b64 s[8:9], exec, s[38:39]
; %bb.51:                               ;   in Loop: Header=BB298_12 Depth=1
	v_bfe_u32 v21, v24, 16, 1
	v_add3_u32 v21, v24, v21, s55
                                        ; implicit-def: $vgpr24
; %bb.52:                               ;   in Loop: Header=BB298_12 Depth=1
	s_andn2_saveexec_b64 s[38:39], s[8:9]
; %bb.53:                               ;   in Loop: Header=BB298_12 Depth=1
	v_or_b32_e32 v21, 0x10000, v24
	v_cmp_eq_u32_sdwa s[8:9], v24, v101 src0_sel:WORD_0 src1_sel:DWORD
	s_nop 1
	v_cndmask_b32_e64 v21, v21, v24, s[8:9]
; %bb.54:                               ;   in Loop: Header=BB298_12 Depth=1
	s_or_b64 exec, exec, s[38:39]
	v_mov_b32_e32 v99, v101
	v_lshl_add_u64 v[26:27], v[98:99], 1, s[28:29]
	global_store_short_d16_hi v[26:27], v21, off
	s_or_b64 exec, exec, s[36:37]
	v_add_u32_e32 v100, s23, v98
	s_and_saveexec_b64 s[36:37], vcc
	s_cbranch_execz .LBB298_38
.LBB298_55:                             ;   in Loop: Header=BB298_12 Depth=1
	v_cvt_f32_i32_e32 v17, v17
	v_add_f32_e32 v17, v20, v17
	s_waitcnt vmcnt(7)
	v_lshlrev_b32_e32 v20, 16, v25
	v_add_f32_e32 v20, v17, v20
	v_and_b32_e32 v17, 0x7f800000, v20
	v_cmp_ne_u32_e64 s[8:9], s54, v17
                                        ; implicit-def: $vgpr17
	s_and_saveexec_b64 s[38:39], s[8:9]
	s_xor_b64 s[8:9], exec, s[38:39]
; %bb.56:                               ;   in Loop: Header=BB298_12 Depth=1
	v_bfe_u32 v17, v20, 16, 1
	v_add3_u32 v17, v20, v17, s55
                                        ; implicit-def: $vgpr20
; %bb.57:                               ;   in Loop: Header=BB298_12 Depth=1
	s_andn2_saveexec_b64 s[38:39], s[8:9]
; %bb.58:                               ;   in Loop: Header=BB298_12 Depth=1
	v_or_b32_e32 v17, 0x10000, v20
	v_cmp_eq_u32_sdwa s[8:9], v20, v101 src0_sel:WORD_0 src1_sel:DWORD
	s_nop 1
	v_cndmask_b32_e64 v17, v17, v20, s[8:9]
; %bb.59:                               ;   in Loop: Header=BB298_12 Depth=1
	s_or_b64 exec, exec, s[38:39]
	v_lshl_add_u64 v[20:21], v[100:101], 1, s[10:11]
	global_store_short_d16_hi v[20:21], v17, off
	s_or_b64 exec, exec, s[36:37]
	s_and_saveexec_b64 s[36:37], s[6:7]
	s_cbranch_execz .LBB298_39
.LBB298_60:                             ;   in Loop: Header=BB298_12 Depth=1
	v_cvt_f32_i32_e32 v15, v15
	v_add_f32_e32 v15, v16, v15
	s_waitcnt vmcnt(6)
	v_lshlrev_b32_e32 v16, 16, v23
	v_add_f32_e32 v16, v15, v16
	v_and_b32_e32 v15, 0x7f800000, v16
	v_cmp_ne_u32_e64 s[8:9], s54, v15
                                        ; implicit-def: $vgpr15
	s_and_saveexec_b64 s[38:39], s[8:9]
	s_xor_b64 s[8:9], exec, s[38:39]
; %bb.61:                               ;   in Loop: Header=BB298_12 Depth=1
	v_bfe_u32 v15, v16, 16, 1
	v_add3_u32 v15, v16, v15, s55
                                        ; implicit-def: $vgpr16
; %bb.62:                               ;   in Loop: Header=BB298_12 Depth=1
	s_andn2_saveexec_b64 s[38:39], s[8:9]
; %bb.63:                               ;   in Loop: Header=BB298_12 Depth=1
	v_or_b32_e32 v15, 0x10000, v16
	v_cmp_eq_u32_sdwa s[8:9], v16, v101 src0_sel:WORD_0 src1_sel:DWORD
	s_nop 1
	v_cndmask_b32_e64 v15, v15, v16, s[8:9]
; %bb.64:                               ;   in Loop: Header=BB298_12 Depth=1
	s_or_b64 exec, exec, s[38:39]
	v_add_u32_e32 v16, 1, v100
	v_mov_b32_e32 v17, v101
	v_lshl_add_u64 v[16:17], v[16:17], 1, s[10:11]
	global_store_short_d16_hi v[16:17], v15, off
	s_or_b64 exec, exec, s[36:37]
	v_add_u32_e32 v100, s23, v100
	s_and_saveexec_b64 s[36:37], vcc
	s_cbranch_execz .LBB298_40
.LBB298_65:                             ;   in Loop: Header=BB298_12 Depth=1
	v_cvt_f32_i32_e32 v11, v11
	v_add_f32_e32 v11, v13, v11
	s_waitcnt vmcnt(5)
	v_lshlrev_b32_e32 v13, 16, v22
	v_add_f32_e32 v13, v11, v13
	v_and_b32_e32 v11, 0x7f800000, v13
	v_cmp_ne_u32_e64 s[8:9], s54, v11
                                        ; implicit-def: $vgpr11
	s_and_saveexec_b64 s[38:39], s[8:9]
	s_xor_b64 s[8:9], exec, s[38:39]
; %bb.66:                               ;   in Loop: Header=BB298_12 Depth=1
	v_bfe_u32 v11, v13, 16, 1
	v_add3_u32 v11, v13, v11, s55
                                        ; implicit-def: $vgpr13
; %bb.67:                               ;   in Loop: Header=BB298_12 Depth=1
	s_andn2_saveexec_b64 s[38:39], s[8:9]
; %bb.68:                               ;   in Loop: Header=BB298_12 Depth=1
	v_or_b32_e32 v11, 0x10000, v13
	v_cmp_eq_u32_sdwa s[8:9], v13, v101 src0_sel:WORD_0 src1_sel:DWORD
	s_nop 1
	v_cndmask_b32_e64 v11, v11, v13, s[8:9]
; %bb.69:                               ;   in Loop: Header=BB298_12 Depth=1
	s_or_b64 exec, exec, s[38:39]
	v_lshl_add_u64 v[16:17], v[100:101], 1, s[10:11]
	global_store_short_d16_hi v[16:17], v11, off
	s_or_b64 exec, exec, s[36:37]
	s_and_saveexec_b64 s[36:37], s[6:7]
	s_cbranch_execz .LBB298_41
.LBB298_70:                             ;   in Loop: Header=BB298_12 Depth=1
	v_cvt_f32_i32_e32 v8, v8
	s_waitcnt vmcnt(4)
	v_lshlrev_b32_e32 v11, 16, v19
	v_add_f32_e32 v8, v12, v8
	v_add_f32_e32 v11, v8, v11
	v_and_b32_e32 v8, 0x7f800000, v11
	v_cmp_ne_u32_e64 s[8:9], s54, v8
                                        ; implicit-def: $vgpr8
	s_and_saveexec_b64 s[38:39], s[8:9]
	s_xor_b64 s[8:9], exec, s[38:39]
; %bb.71:                               ;   in Loop: Header=BB298_12 Depth=1
	v_bfe_u32 v8, v11, 16, 1
	v_add3_u32 v8, v11, v8, s55
                                        ; implicit-def: $vgpr11
; %bb.72:                               ;   in Loop: Header=BB298_12 Depth=1
	s_andn2_saveexec_b64 s[38:39], s[8:9]
; %bb.73:                               ;   in Loop: Header=BB298_12 Depth=1
	v_or_b32_e32 v8, 0x10000, v11
	v_cmp_eq_u32_sdwa s[8:9], v11, v101 src0_sel:WORD_0 src1_sel:DWORD
	s_nop 1
	v_cndmask_b32_e64 v8, v8, v11, s[8:9]
; %bb.74:                               ;   in Loop: Header=BB298_12 Depth=1
	s_or_b64 exec, exec, s[38:39]
	v_add_u32_e32 v12, 1, v100
	v_mov_b32_e32 v13, v101
	v_lshl_add_u64 v[12:13], v[12:13], 1, s[10:11]
	global_store_short_d16_hi v[12:13], v8, off
	s_or_b64 exec, exec, s[36:37]
	v_add_u32_e32 v100, s23, v100
	s_and_saveexec_b64 s[36:37], vcc
	s_cbranch_execz .LBB298_42
.LBB298_75:                             ;   in Loop: Header=BB298_12 Depth=1
	v_cvt_f32_i32_e32 v8, v10
	v_add_f32_e32 v7, v7, v8
	s_waitcnt vmcnt(3)
	v_lshlrev_b32_e32 v8, 16, v18
	v_add_f32_e32 v8, v7, v8
	v_and_b32_e32 v7, 0x7f800000, v8
	v_cmp_ne_u32_e64 s[8:9], s54, v7
                                        ; implicit-def: $vgpr7
	s_and_saveexec_b64 s[38:39], s[8:9]
	s_xor_b64 s[8:9], exec, s[38:39]
; %bb.76:                               ;   in Loop: Header=BB298_12 Depth=1
	v_bfe_u32 v7, v8, 16, 1
	v_add3_u32 v7, v8, v7, s55
                                        ; implicit-def: $vgpr8
; %bb.77:                               ;   in Loop: Header=BB298_12 Depth=1
	s_andn2_saveexec_b64 s[38:39], s[8:9]
; %bb.78:                               ;   in Loop: Header=BB298_12 Depth=1
	v_or_b32_e32 v7, 0x10000, v8
	v_cmp_eq_u32_sdwa s[8:9], v8, v101 src0_sel:WORD_0 src1_sel:DWORD
	s_nop 1
	v_cndmask_b32_e64 v7, v7, v8, s[8:9]
; %bb.79:                               ;   in Loop: Header=BB298_12 Depth=1
	s_or_b64 exec, exec, s[38:39]
	v_lshl_add_u64 v[10:11], v[100:101], 1, s[10:11]
	global_store_short_d16_hi v[10:11], v7, off
	s_or_b64 exec, exec, s[36:37]
	s_and_saveexec_b64 s[36:37], s[6:7]
	s_cbranch_execz .LBB298_43
.LBB298_80:                             ;   in Loop: Header=BB298_12 Depth=1
	v_cvt_f32_i32_e32 v6, v6
	v_add_f32_e32 v4, v4, v6
	s_waitcnt vmcnt(2)
	v_lshlrev_b32_e32 v6, 16, v14
	v_add_f32_e32 v6, v4, v6
	v_and_b32_e32 v4, 0x7f800000, v6
	v_cmp_ne_u32_e64 s[8:9], s54, v4
                                        ; implicit-def: $vgpr4
	s_and_saveexec_b64 s[38:39], s[8:9]
	s_xor_b64 s[8:9], exec, s[38:39]
; %bb.81:                               ;   in Loop: Header=BB298_12 Depth=1
	v_bfe_u32 v4, v6, 16, 1
	v_add3_u32 v4, v6, v4, s55
                                        ; implicit-def: $vgpr6
; %bb.82:                               ;   in Loop: Header=BB298_12 Depth=1
	s_andn2_saveexec_b64 s[38:39], s[8:9]
; %bb.83:                               ;   in Loop: Header=BB298_12 Depth=1
	v_or_b32_e32 v4, 0x10000, v6
	v_cmp_eq_u32_sdwa s[8:9], v6, v101 src0_sel:WORD_0 src1_sel:DWORD
	s_nop 1
	v_cndmask_b32_e64 v4, v4, v6, s[8:9]
; %bb.84:                               ;   in Loop: Header=BB298_12 Depth=1
	s_or_b64 exec, exec, s[38:39]
	v_add_u32_e32 v6, 1, v100
	v_mov_b32_e32 v7, v101
	v_lshl_add_u64 v[6:7], v[6:7], 1, s[10:11]
	global_store_short_d16_hi v[6:7], v4, off
	s_or_b64 exec, exec, s[36:37]
	v_add_u32_e32 v100, s23, v100
	s_and_saveexec_b64 s[8:9], vcc
	s_cbranch_execz .LBB298_44
.LBB298_85:                             ;   in Loop: Header=BB298_12 Depth=1
	v_cvt_f32_i32_e32 v3, v3
	v_add_f32_e32 v2, v2, v3
	s_waitcnt vmcnt(1)
	v_lshlrev_b32_e32 v3, 16, v9
	v_add_f32_e32 v3, v2, v3
	v_and_b32_e32 v2, 0x7f800000, v3
	v_cmp_ne_u32_e32 vcc, s54, v2
                                        ; implicit-def: $vgpr2
	s_and_saveexec_b64 s[36:37], vcc
	s_xor_b64 s[36:37], exec, s[36:37]
; %bb.86:                               ;   in Loop: Header=BB298_12 Depth=1
	v_bfe_u32 v2, v3, 16, 1
	v_add3_u32 v2, v3, v2, s55
                                        ; implicit-def: $vgpr3
; %bb.87:                               ;   in Loop: Header=BB298_12 Depth=1
	s_andn2_saveexec_b64 s[36:37], s[36:37]
; %bb.88:                               ;   in Loop: Header=BB298_12 Depth=1
	v_or_b32_e32 v2, 0x10000, v3
	v_cmp_eq_u32_sdwa vcc, v3, v101 src0_sel:WORD_0 src1_sel:DWORD
	s_nop 1
	v_cndmask_b32_e32 v2, v2, v3, vcc
; %bb.89:                               ;   in Loop: Header=BB298_12 Depth=1
	s_or_b64 exec, exec, s[36:37]
	v_lshl_add_u64 v[6:7], v[100:101], 1, s[10:11]
	global_store_short_d16_hi v[6:7], v2, off
	s_or_b64 exec, exec, s[8:9]
	s_and_b64 exec, exec, s[6:7]
	s_cbranch_execz .LBB298_95
.LBB298_90:                             ;   in Loop: Header=BB298_12 Depth=1
	v_cvt_f32_i32_e32 v1, v1
	v_add_f32_e32 v0, v0, v1
	s_waitcnt vmcnt(0)
	v_lshlrev_b32_e32 v1, 16, v5
	v_add_f32_e32 v1, v0, v1
	v_and_b32_e32 v0, 0x7f800000, v1
	v_cmp_ne_u32_e32 vcc, s54, v0
                                        ; implicit-def: $vgpr0
	s_and_saveexec_b64 s[6:7], vcc
	s_xor_b64 s[6:7], exec, s[6:7]
; %bb.91:                               ;   in Loop: Header=BB298_12 Depth=1
	v_bfe_u32 v0, v1, 16, 1
	v_add3_u32 v0, v1, v0, s55
                                        ; implicit-def: $vgpr1
; %bb.92:                               ;   in Loop: Header=BB298_12 Depth=1
	s_andn2_saveexec_b64 s[6:7], s[6:7]
; %bb.93:                               ;   in Loop: Header=BB298_12 Depth=1
	v_or_b32_e32 v0, 0x10000, v1
	v_cmp_eq_u32_sdwa vcc, v1, v101 src0_sel:WORD_0 src1_sel:DWORD
	s_nop 1
	v_cndmask_b32_e32 v0, v0, v1, vcc
; %bb.94:                               ;   in Loop: Header=BB298_12 Depth=1
	s_or_b64 exec, exec, s[6:7]
	v_add_u32_e32 v100, 1, v100
	v_lshl_add_u64 v[2:3], v[100:101], 1, s[10:11]
	global_store_short_d16_hi v[2:3], v0, off
.LBB298_95:                             ;   in Loop: Header=BB298_12 Depth=1
	s_or_b64 exec, exec, s[34:35]
	v_add_u32_e32 v98, s44, v98
	v_add_u32_e32 v0, 2, v98
	v_cmp_gt_u32_e32 vcc, s23, v98
	v_cmp_le_u32_e64 s[6:7], s23, v0
	s_and_b64 s[6:7], vcc, s[6:7]
	s_and_saveexec_b64 s[8:9], s[6:7]
	s_cbranch_execz .LBB298_10
; %bb.96:                               ;   in Loop: Header=BB298_12 Depth=1
	v_cmp_ne_u32_e32 vcc, s13, v98
	s_and_saveexec_b64 s[34:35], vcc
	s_cbranch_execz .LBB298_9
; %bb.97:                               ;   in Loop: Header=BB298_12 Depth=1
	v_subrev_u32_e32 v0, s13, v98
	v_cmp_lt_u32_e32 vcc, 1, v0
	s_mov_b64 s[36:37], 0
	s_mov_b64 s[38:39], 0
	v_cndmask_b32_e32 v0, 1, v0, vcc
.LBB298_98:                             ;   Parent Loop BB298_12 Depth=1
                                        ; =>  This Inner Loop Header: Depth=2
	s_cmp_lg_u32 s38, 1
	s_cselect_b64 vcc, -1, 0
	s_cmp_lg_u32 s38, 0
	v_cndmask_b32_e32 v97, 0, v97, vcc
	s_cselect_b64 vcc, -1, 0
	s_add_u32 s38, s38, 1
	s_addc_u32 s39, s39, 0
	v_cmp_eq_u32_e64 s[6:7], s38, v0
	s_or_b64 s[36:37], s[6:7], s[36:37]
	v_cndmask_b32_e32 v96, 0, v96, vcc
	s_andn2_b64 exec, exec, s[36:37]
	s_cbranch_execnz .LBB298_98
; %bb.99:                               ;   in Loop: Header=BB298_12 Depth=1
	s_or_b64 exec, exec, s[36:37]
	s_branch .LBB298_9
.LBB298_100:
	s_endpgm
	.section	.rodata,"a",@progbits
	.p2align	6, 0x0
	.amdhsa_kernel _Z16wvSplitK_hf_big_I14__hip_bfloat16Li64ELi2ELi16ELi8ELi2ELi5EEviiiiiiPKT_S3_S3_PS1_ii
		.amdhsa_group_segment_fixed_size 65536
		.amdhsa_private_segment_fixed_size 0
		.amdhsa_kernarg_size 64
		.amdhsa_user_sgpr_count 2
		.amdhsa_user_sgpr_dispatch_ptr 0
		.amdhsa_user_sgpr_queue_ptr 0
		.amdhsa_user_sgpr_kernarg_segment_ptr 1
		.amdhsa_user_sgpr_dispatch_id 0
		.amdhsa_user_sgpr_kernarg_preload_length 0
		.amdhsa_user_sgpr_kernarg_preload_offset 0
		.amdhsa_user_sgpr_private_segment_size 0
		.amdhsa_uses_dynamic_stack 0
		.amdhsa_enable_private_segment 0
		.amdhsa_system_sgpr_workgroup_id_x 1
		.amdhsa_system_sgpr_workgroup_id_y 0
		.amdhsa_system_sgpr_workgroup_id_z 0
		.amdhsa_system_sgpr_workgroup_info 0
		.amdhsa_system_vgpr_workitem_id 1
		.amdhsa_next_free_vgpr 118
		.amdhsa_next_free_sgpr 58
		.amdhsa_accum_offset 120
		.amdhsa_reserve_vcc 1
		.amdhsa_float_round_mode_32 0
		.amdhsa_float_round_mode_16_64 0
		.amdhsa_float_denorm_mode_32 3
		.amdhsa_float_denorm_mode_16_64 3
		.amdhsa_dx10_clamp 1
		.amdhsa_ieee_mode 1
		.amdhsa_fp16_overflow 0
		.amdhsa_tg_split 0
		.amdhsa_exception_fp_ieee_invalid_op 0
		.amdhsa_exception_fp_denorm_src 0
		.amdhsa_exception_fp_ieee_div_zero 0
		.amdhsa_exception_fp_ieee_overflow 0
		.amdhsa_exception_fp_ieee_underflow 0
		.amdhsa_exception_fp_ieee_inexact 0
		.amdhsa_exception_int_div_zero 0
	.end_amdhsa_kernel
	.section	.text._Z16wvSplitK_hf_big_I14__hip_bfloat16Li64ELi2ELi16ELi8ELi2ELi5EEviiiiiiPKT_S3_S3_PS1_ii,"axG",@progbits,_Z16wvSplitK_hf_big_I14__hip_bfloat16Li64ELi2ELi16ELi8ELi2ELi5EEviiiiiiPKT_S3_S3_PS1_ii,comdat
.Lfunc_end298:
	.size	_Z16wvSplitK_hf_big_I14__hip_bfloat16Li64ELi2ELi16ELi8ELi2ELi5EEviiiiiiPKT_S3_S3_PS1_ii, .Lfunc_end298-_Z16wvSplitK_hf_big_I14__hip_bfloat16Li64ELi2ELi16ELi8ELi2ELi5EEviiiiiiPKT_S3_S3_PS1_ii
                                        ; -- End function
	.section	.AMDGPU.csdata,"",@progbits
; Kernel info:
; codeLenInByte = 5620
; NumSgprs: 64
; NumVgprs: 118
; NumAgprs: 0
; TotalNumVgprs: 118
; ScratchSize: 0
; MemoryBound: 0
; FloatMode: 240
; IeeeMode: 1
; LDSByteSize: 65536 bytes/workgroup (compile time only)
; SGPRBlocks: 7
; VGPRBlocks: 14
; NumSGPRsForWavesPerEU: 64
; NumVGPRsForWavesPerEU: 118
; AccumOffset: 120
; Occupancy: 4
; WaveLimiterHint : 0
; COMPUTE_PGM_RSRC2:SCRATCH_EN: 0
; COMPUTE_PGM_RSRC2:USER_SGPR: 2
; COMPUTE_PGM_RSRC2:TRAP_HANDLER: 0
; COMPUTE_PGM_RSRC2:TGID_X_EN: 1
; COMPUTE_PGM_RSRC2:TGID_Y_EN: 0
; COMPUTE_PGM_RSRC2:TGID_Z_EN: 0
; COMPUTE_PGM_RSRC2:TIDIG_COMP_CNT: 1
; COMPUTE_PGM_RSRC3_GFX90A:ACCUM_OFFSET: 29
; COMPUTE_PGM_RSRC3_GFX90A:TG_SPLIT: 0
	.section	.text._Z16wvSplitK_hf_sml_I14__hip_bfloat16Li64ELi3ELi16ELi8ELi2ELi5EEviiiiiiPKT_S3_S3_PS1_ii,"axG",@progbits,_Z16wvSplitK_hf_sml_I14__hip_bfloat16Li64ELi3ELi16ELi8ELi2ELi5EEviiiiiiPKT_S3_S3_PS1_ii,comdat
	.protected	_Z16wvSplitK_hf_sml_I14__hip_bfloat16Li64ELi3ELi16ELi8ELi2ELi5EEviiiiiiPKT_S3_S3_PS1_ii ; -- Begin function _Z16wvSplitK_hf_sml_I14__hip_bfloat16Li64ELi3ELi16ELi8ELi2ELi5EEviiiiiiPKT_S3_S3_PS1_ii
	.globl	_Z16wvSplitK_hf_sml_I14__hip_bfloat16Li64ELi3ELi16ELi8ELi2ELi5EEviiiiiiPKT_S3_S3_PS1_ii
	.p2align	8
	.type	_Z16wvSplitK_hf_sml_I14__hip_bfloat16Li64ELi3ELi16ELi8ELi2ELi5EEviiiiiiPKT_S3_S3_PS1_ii,@function
_Z16wvSplitK_hf_sml_I14__hip_bfloat16Li64ELi3ELi16ELi8ELi2ELi5EEviiiiiiPKT_S3_S3_PS1_ii: ; @_Z16wvSplitK_hf_sml_I14__hip_bfloat16Li64ELi3ELi16ELi8ELi2ELi5EEviiiiiiPKT_S3_S3_PS1_ii
; %bb.0:
	s_load_dwordx4 s[4:7], s[0:1], 0x0
	s_load_dwordx2 s[8:9], s[0:1], 0x10
	s_load_dwordx2 s[10:11], s[0:1], 0x28
	v_and_b32_e32 v2, 0x3ff, v0
	v_bfe_u32 v3, v0, 10, 10
	v_lshlrev_b32_e32 v0, 3, v2
	s_waitcnt lgkmcnt(0)
	s_mul_i32 s3, s6, 5
	v_lshl_add_u32 v4, v3, 9, v0
	s_min_u32 s3, s3, 0x8000
	v_cmp_gt_u32_e32 vcc, s3, v4
	scratch_store_dword off, v0, off offset:40 ; 4-byte Folded Spill
	s_and_saveexec_b64 s[12:13], vcc
	s_cbranch_execz .LBB299_3
; %bb.1:
	s_load_dwordx2 s[14:15], s[0:1], 0x20
	v_mov_b32_e32 v7, 0
	v_lshlrev_b32_e32 v6, 10, v3
	v_lshlrev_b32_e32 v8, 4, v2
	v_mov_b32_e32 v9, v7
	v_lshl_add_u64 v[0:1], v[6:7], 0, v[8:9]
	s_waitcnt lgkmcnt(0)
	v_lshl_add_u64 v[0:1], s[14:15], 0, v[0:1]
	v_add_u32_e32 v5, v6, v8
	s_mov_b64 s[14:15], 0
	s_mov_b64 s[16:17], 0x4000
.LBB299_2:                              ; =>This Inner Loop Header: Depth=1
	global_load_dwordx4 v[6:9], v[0:1], off
	v_add_u32_e32 v4, 0x2000, v4
	v_cmp_le_u32_e32 vcc, s3, v4
	v_lshl_add_u64 v[0:1], v[0:1], 0, s[16:17]
	s_or_b64 s[14:15], vcc, s[14:15]
	s_waitcnt vmcnt(0)
	ds_write_b128 v5, v[6:9]
	v_add_u32_e32 v5, 0x4000, v5
	s_andn2_b64 exec, exec, s[14:15]
	s_cbranch_execnz .LBB299_2
.LBB299_3:
	s_or_b64 exec, exec, s[12:13]
	s_load_dwordx2 s[16:17], s[0:1], 0x38
	s_waitcnt lgkmcnt(0)
	s_barrier
	v_cmp_gt_u32_e32 vcc, s16, v3
	s_and_saveexec_b64 s[12:13], vcc
	s_cbranch_execz .LBB299_79
; %bb.4:
	s_mul_i32 s2, s2, s16
	v_add_u32_e32 v0, s2, v3
	v_lshl_add_u32 v46, v0, 1, v0
	v_cmp_gt_u32_e32 vcc, s7, v46
	s_and_b64 exec, exec, vcc
	s_cbranch_execz .LBB299_79
; %bb.5:
	s_cmp_lg_u32 s4, 0
	s_cselect_b64 s[2:3], -1, 0
	s_add_i32 s24, s4, -8
	s_add_i32 s25, s7, -1
	s_cmp_lg_u64 s[10:11], 0
	s_cselect_b64 s[18:19], -1, 0
	s_abs_i32 s21, s9
	v_cvt_f32_u32_e32 v0, s8
	v_cvt_f32_u32_e32 v1, s21
	s_mul_i32 s20, s16, s17
	s_mul_i32 s9, s20, 3
	v_rcp_iflag_f32_e32 v0, v0
	v_rcp_iflag_f32_e32 v1, v1
	s_sub_i32 s20, 0, s8
	s_load_dwordx2 s[12:13], s[0:1], 0x18
	s_load_dwordx2 s[14:15], s[0:1], 0x30
	v_mul_f32_e32 v0, 0x4f7ffffe, v0
	v_mul_f32_e32 v1, 0x4f7ffffe, v1
	v_cvt_u32_f32_e32 v0, v0
	v_cvt_u32_f32_e32 v1, v1
	v_cmp_eq_u32_e64 s[0:1], 63, v2
	s_mov_b64 s[16:17], 0
	v_mul_lo_u32 v3, s20, v0
	s_sub_i32 s20, 0, s21
	v_readfirstlane_b32 s22, v1
	s_mul_i32 s20, s20, s22
	s_mul_hi_u32 s20, s22, s20
	s_add_i32 s22, s22, s20
	s_sub_i32 s20, 1, s21
	s_cmp_lt_u32 s21, 2
	s_cselect_b32 s20, s20, 1
	s_sub_i32 s23, s20, s21
	s_cmp_ge_u32 s20, s21
	s_cselect_b32 s26, s23, s20
	s_lshr_b32 s20, s22, 31
	s_mul_i32 s20, s20, s21
	s_sub_i32 s20, 2, s20
	s_sub_i32 s23, s20, s21
	s_cmp_ge_u32 s20, s21
	s_cselect_b32 s20, s23, s20
	s_sub_i32 s23, s20, s21
	s_cmp_ge_u32 s20, s21
	s_cselect_b32 s27, s23, s20
	s_mul_hi_u32 s20, s22, 3
	s_mul_i32 s20, s20, s21
	s_sub_i32 s20, 3, s20
	s_sub_i32 s23, s20, s21
	s_cmp_ge_u32 s20, s21
	s_cselect_b32 s20, s23, s20
	s_sub_i32 s23, s20, s21
	s_cmp_ge_u32 s20, s21
	s_cselect_b32 s28, s23, s20
	s_lshr_b32 s20, s22, 30
	s_mul_i32 s20, s20, s21
	s_sub_i32 s20, 4, s20
	s_sub_i32 s22, s20, s21
	s_cmp_ge_u32 s20, s21
	v_mul_hi_u32 v3, v0, v3
	s_cselect_b32 s20, s22, s20
	v_add_u32_e32 v0, v0, v3
	s_sub_i32 s22, s20, s21
	scratch_store_dword off, v0, off offset:64 ; 4-byte Folded Spill
	s_cmp_ge_u32 s20, s21
	v_lshlrev_b32_e32 v0, 4, v2
	s_cselect_b32 s29, s22, s20
	scratch_store_dword off, v0, off offset:60 ; 4-byte Folded Spill
	v_cndmask_b32_e64 v0, 0, 1, s[2:3]
	v_mov_b32_e32 v119, 0
	s_mul_i32 s26, s26, s8
	s_mul_i32 s27, s27, s8
	;; [unrolled: 1-line block ×4, first 2 shown]
	s_lshl_b32 s30, s6, 3
	s_mul_i32 s31, s6, 6
	s_lshl_b32 s33, s6, 2
	s_lshl_b32 s6, s6, 1
	v_cmp_ne_u32_e64 s[2:3], 1, v0
	s_mov_b32 s34, 0x7f800000
	s_movk_i32 s35, 0x7fff
	s_branch .LBB299_8
.LBB299_6:                              ;   in Loop: Header=BB299_8 Depth=1
	s_or_b64 exec, exec, s[22:23]
	v_add_u32_e32 v118, 2, v118
	v_lshl_add_u64 v[2:3], v[118:119], 1, s[14:15]
	global_store_short_d16_hi v[2:3], v0, off
.LBB299_7:                              ;   in Loop: Header=BB299_8 Depth=1
	s_or_b64 exec, exec, s[20:21]
	s_waitcnt vmcnt(0)
	v_add_u32_e32 v46, s9, v46
	v_cmp_le_u32_e32 vcc, s7, v46
	s_or_b64 s[16:17], vcc, s[16:17]
	s_andn2_b64 exec, exec, s[16:17]
	s_cbranch_execz .LBB299_79
.LBB299_8:                              ; =>This Loop Header: Depth=1
                                        ;     Child Loop BB299_10 Depth 2
	v_mov_b32_e32 v0, v46
	s_and_b64 vcc, exec, s[2:3]
	scratch_store_dwordx2 off, v[0:1], off offset:44 ; 8-byte Folded Spill
	v_add_u32_e32 v0, 2, v46
	v_mov_b32_e32 v11, v119
	v_mov_b32_e32 v10, v119
	;; [unrolled: 1-line block ×60, first 2 shown]
	scratch_store_dwordx2 off, v[0:1], off offset:52 ; 8-byte Folded Spill
	s_cbranch_vccnz .LBB299_16
; %bb.9:                                ;   in Loop: Header=BB299_8 Depth=1
	scratch_load_dwordx2 v[0:1], off, off offset:44 ; 8-byte Folded Reload
	scratch_load_dword v126, off, off offset:60 ; 4-byte Folded Reload
	s_waitcnt vmcnt(1)
	v_mov_b32_e32 v1, v119
	v_mov_b32_e32 v24, 0
	s_mov_b32 s36, 0
	v_mov_b32_e32 v25, v24
	v_mov_b32_e32 v26, v24
	;; [unrolled: 1-line block ×54, first 2 shown]
	v_min_u32_e32 v0, s25, v2
	v_mul_lo_u32 v118, v0, s5
	v_add_u32_e32 v0, 1, v2
	scratch_load_dwordx2 v[2:3], off, off offset:52 ; 8-byte Folded Reload
	v_min_u32_e32 v0, s25, v0
	v_mul_lo_u32 v0, v0, s5
	s_waitcnt vmcnt(0)
	v_mov_b32_e32 v3, v119
	v_lshlrev_b64 v[0:1], 1, v[0:1]
	v_lshlrev_b64 v[4:5], 1, v[118:119]
	scratch_store_dwordx2 off, v[0:1], off offset:24 ; 8-byte Folded Spill
	scratch_store_dwordx2 off, v[4:5], off offset:16 ; 8-byte Folded Spill
	v_mov_b32_e32 v4, v24
	v_mov_b32_e32 v5, v24
	v_min_u32_e32 v2, s25, v2
	v_mul_lo_u32 v2, v2, s5
	v_lshlrev_b64 v[0:1], 1, v[2:3]
	scratch_store_dwordx2 off, v[0:1], off offset:32 ; 8-byte Folded Spill
	v_mov_b32_e32 v0, v24
	v_mov_b32_e32 v1, v24
	;; [unrolled: 1-line block ×4, first 2 shown]
	scratch_store_dwordx4 off, v[0:3], off  ; 16-byte Folded Spill
.LBB299_10:                             ;   Parent Loop BB299_8 Depth=1
                                        ; =>  This Inner Loop Header: Depth=2
	s_nop 0
	scratch_load_dword v0, off, off offset:40 ; 4-byte Folded Reload
	scratch_load_dwordx2 v[66:67], off, off offset:24 ; 8-byte Folded Reload
	scratch_load_dwordx2 v[62:63], off, off offset:16 ; 8-byte Folded Reload
	v_mov_b32_e32 v65, 0
	v_mov_b32_e32 v94, 0
	;; [unrolled: 1-line block ×37, first 2 shown]
	s_waitcnt vmcnt(2)
	v_add_u32_e32 v64, s36, v0
	v_min_u32_e32 v118, s24, v64
	s_waitcnt lgkmcnt(0)
	v_lshl_add_u64 v[0:1], v[118:119], 1, s[12:13]
	s_waitcnt vmcnt(0)
	v_lshl_add_u64 v[2:3], v[0:1], 0, v[62:63]
	v_lshl_add_u64 v[60:61], v[0:1], 0, v[66:67]
	global_load_dwordx4 v[80:83], v[2:3], off nt
	global_load_dwordx4 v[76:79], v[60:61], off nt
	scratch_load_dwordx2 v[72:73], off, off offset:32 ; 8-byte Folded Reload
	v_add_u32_e32 v127, 0x200, v64
	v_min_u32_e32 v118, s24, v127
	v_lshl_add_u64 v[2:3], v[118:119], 1, s[12:13]
	v_lshl_add_u64 v[60:61], v[2:3], 0, v[62:63]
	v_cmp_gt_u32_e32 vcc, s4, v64
	v_mov_b32_e32 v64, 0
	s_waitcnt vmcnt(0)
	v_lshl_add_u64 v[0:1], v[0:1], 0, v[72:73]
	global_load_dwordx4 v[84:87], v[0:1], off nt
	global_load_dwordx4 v[68:71], v[60:61], off nt
	v_lshl_add_u64 v[0:1], v[2:3], 0, v[66:67]
	v_lshl_add_u64 v[2:3], v[2:3], 0, v[72:73]
	global_load_dwordx4 v[72:75], v[0:1], off nt
	global_load_dwordx4 v[60:63], v[2:3], off nt
	v_mov_b32_e32 v66, 0
	v_mov_b32_e32 v67, 0
	s_and_saveexec_b64 s[20:21], vcc
	s_cbranch_execz .LBB299_14
; %bb.11:                               ;   in Loop: Header=BB299_10 Depth=2
	v_add_u32_e32 v118, s6, v126
	v_add_u32_e32 v1, s33, v126
	ds_read_b128 v[108:111], v118
	ds_read2_b32 v[124:125], v1 offset1:1
	v_add_u32_e32 v2, s31, v126
	ds_read2_b32 v[122:123], v1 offset0:2 offset1:3
	ds_read_b128 v[100:103], v2
	v_add_u32_e32 v0, s30, v126
	ds_read_b128 v[112:115], v126
	ds_read2_b64 v[92:95], v0 offset1:1
	v_cmp_gt_u32_e32 vcc, s4, v127
	v_mov_b32_e32 v105, 0
	v_mov_b32_e32 v104, 0
	;; [unrolled: 1-line block ×20, first 2 shown]
	s_and_saveexec_b64 s[22:23], vcc
	s_cbranch_execz .LBB299_13
; %bb.12:                               ;   in Loop: Header=BB299_10 Depth=2
	v_add_u32_e32 v3, 0x400, v1
	v_add_u32_e32 v1, 0x408, v1
	ds_read_b128 v[104:107], v126 offset:1024
	ds_read2_b32 v[120:121], v1 offset1:1
	ds_read_b128 v[96:99], v118 offset:1024
	ds_read_b128 v[88:91], v2 offset:1024
	ds_read2_b32 v[116:117], v3 offset1:1
	ds_read2_b64 v[64:67], v0 offset0:128 offset1:129
.LBB299_13:                             ;   in Loop: Header=BB299_10 Depth=2
	s_or_b64 exec, exec, s[22:23]
.LBB299_14:                             ;   in Loop: Header=BB299_10 Depth=2
	s_or_b64 exec, exec, s[20:21]
	s_waitcnt lgkmcnt(1)
	v_mfma_f32_4x4x4_16b_bf16 v[0:3], v[112:113], v[80:81], v[56:59]
	s_addk_i32 s36, 0x400
	scratch_load_dwordx4 v[56:59], off, off ; 16-byte Folded Reload
	v_mfma_f32_4x4x4_16b_bf16 v[0:3], v[114:115], v[82:83], v[0:3]
	v_add_u32_e32 v126, 0x800, v126
	v_mfma_f32_4x4x4_16b_bf16 v[52:55], v[112:113], v[76:77], v[52:55]
	s_cmp_ge_u32 s36, s4
	s_waitcnt vmcnt(4)
	v_mfma_f32_4x4x4_16b_bf16 v[48:51], v[112:113], v[84:85], v[48:51]
	v_mfma_f32_4x4x4_16b_bf16 v[52:55], v[114:115], v[78:79], v[52:55]
	;; [unrolled: 1-line block ×5, first 2 shown]
	s_waitcnt vmcnt(3)
	v_mfma_f32_4x4x4_16b_bf16 v[0:3], v[104:105], v[68:69], v[0:3]
	v_mfma_f32_4x4x4_16b_bf16 v[48:51], v[114:115], v[86:87], v[48:51]
	;; [unrolled: 1-line block ×9, first 2 shown]
	s_nop 0
	v_mfma_f32_4x4x4_16b_bf16 v[36:39], v[110:111], v[86:87], v[36:39]
	v_mfma_f32_4x4x4_16b_bf16 v[32:35], v[122:123], v[82:83], v[32:35]
	;; [unrolled: 1-line block ×4, first 2 shown]
	s_nop 0
	v_mfma_f32_4x4x4_16b_bf16 v[24:27], v[122:123], v[86:87], v[24:27]
	v_mfma_f32_4x4x4_16b_bf16 v[20:23], v[102:103], v[82:83], v[20:23]
	;; [unrolled: 1-line block ×3, first 2 shown]
	s_waitcnt lgkmcnt(0)
	v_mfma_f32_4x4x4_16b_bf16 v[4:7], v[92:93], v[80:81], v[4:7]
	v_mfma_f32_4x4x4_16b_bf16 v[12:15], v[102:103], v[86:87], v[12:15]
	s_nop 0
	v_mfma_f32_4x4x4_16b_bf16 v[4:7], v[94:95], v[82:83], v[4:7]
	v_mfma_f32_4x4x4_16b_bf16 v[8:11], v[92:93], v[84:85], v[8:11]
	s_waitcnt vmcnt(0)
	v_mfma_f32_4x4x4_16b_bf16 v[56:59], v[92:93], v[76:77], v[56:59]
	s_nop 1
	v_mfma_f32_4x4x4_16b_bf16 v[76:79], v[94:95], v[78:79], v[56:59]
	v_mfma_f32_4x4x4_16b_bf16 v[56:59], v[106:107], v[70:71], v[0:3]
	;; [unrolled: 1-line block ×4, first 2 shown]
	s_nop 0
	v_mfma_f32_4x4x4_16b_bf16 v[52:55], v[106:107], v[74:75], v[0:3]
	v_mfma_f32_4x4x4_16b_bf16 v[0:3], v[104:105], v[60:61], v[48:51]
	s_nop 1
	v_mfma_f32_4x4x4_16b_bf16 v[48:51], v[106:107], v[62:63], v[0:3]
	v_mfma_f32_4x4x4_16b_bf16 v[0:3], v[96:97], v[68:69], v[44:47]
	;; [unrolled: 3-line block ×13, first 2 shown]
	s_nop 1
	v_mfma_f32_4x4x4_16b_bf16 v[8:11], v[66:67], v[62:63], v[0:3]
	s_cbranch_scc1 .LBB299_16
; %bb.15:                               ;   in Loop: Header=BB299_10 Depth=2
	scratch_store_dwordx4 off, v[68:71], off ; 16-byte Folded Spill
	s_branch .LBB299_10
.LBB299_16:                             ;   in Loop: Header=BB299_8 Depth=1
	; sched_barrier mask(0x00000000)
	s_nop 0
	v_cvt_i32_f32_e32 v0, v57
	v_cvt_i32_f32_e32 v1, v58
	;; [unrolled: 1-line block ×4, first 2 shown]
	v_cvt_f32_i32_dpp v0, v0 row_shl:1 row_mask:0xf bank_mask:0xf bound_ctrl:1
	v_cvt_f32_i32_dpp v1, v1 row_shl:2 row_mask:0xf bank_mask:0xf bound_ctrl:1
	;; [unrolled: 1-line block ×3, first 2 shown]
	v_cvt_i32_f32_e32 v53, v54
	v_add_f32_e32 v0, v56, v0
	v_add_f32_e32 v0, v0, v1
	;; [unrolled: 1-line block ×3, first 2 shown]
	v_cvt_i32_f32_e32 v1, v0
	v_cvt_i32_f32_e32 v2, v55
	v_cvt_f32_i32_dpp v3, v3 row_shl:1 row_mask:0xf bank_mask:0xf bound_ctrl:1
	v_cvt_f32_i32_dpp v53, v53 row_shl:2 row_mask:0xf bank_mask:0xf bound_ctrl:1
	;; [unrolled: 1-line block ×4, first 2 shown]
	v_add_f32_e32 v3, v52, v3
	v_add_f32_e32 v3, v3, v53
	;; [unrolled: 1-line block ×3, first 2 shown]
	v_cvt_i32_f32_e32 v1, v0
	v_add_f32_e32 v2, v3, v2
	v_cvt_i32_f32_e32 v3, v2
	v_cvt_i32_f32_e32 v49, v49
	v_cvt_f32_i32_dpp v1, v1 row_shl:8 row_mask:0xf bank_mask:0xf bound_ctrl:1
	v_cvt_i32_f32_e32 v50, v50
	v_cvt_f32_i32_dpp v3, v3 row_shl:4 row_mask:0xf bank_mask:0xf bound_ctrl:1
	v_cvt_i32_f32_e32 v51, v51
	v_add_f32_e32 v0, v0, v1
	v_cvt_i32_f32_e32 v0, v0
	v_add_f32_e32 v2, v2, v3
	v_cvt_i32_f32_e32 v3, v2
	v_cvt_f32_i32_dpp v1, v49 row_shl:1 row_mask:0xf bank_mask:0xf bound_ctrl:1
	v_cvt_f32_i32_dpp v0, v0 row_shr:15 row_mask:0xf bank_mask:0xf bound_ctrl:1
	v_cvt_f32_i32_dpp v49, v50 row_shl:2 row_mask:0xf bank_mask:0xf bound_ctrl:1
	v_cvt_f32_i32_dpp v50, v51 row_shl:3 row_mask:0xf bank_mask:0xf bound_ctrl:1
	;; [unrolled: 1-line block ×3, first 2 shown]
	v_cvt_i32_f32_e32 v51, v0
	v_add_f32_e32 v1, v48, v1
	v_add_f32_e32 v1, v1, v49
	;; [unrolled: 1-line block ×3, first 2 shown]
	v_cvt_f32_i32_dpp v3, v51 row_bcast:15 row_mask:0xf bank_mask:0xf bound_ctrl:1
	v_cvt_i32_f32_e32 v2, v2
	v_add_f32_e32 v1, v1, v50
	v_cvt_i32_f32_e32 v49, v1
	v_add_f32_e32 v48, v0, v3
	v_cvt_f32_i32_dpp v0, v2 row_shr:15 row_mask:0xf bank_mask:0xf bound_ctrl:1
	v_cvt_i32_f32_e32 v2, v48
	v_cvt_f32_i32_dpp v3, v49 row_shl:4 row_mask:0xf bank_mask:0xf bound_ctrl:1
	v_cvt_i32_f32_e32 v37, v37
	v_cvt_i32_f32_e32 v50, v0
	v_mov_b32_dpp v49, v2 row_bcast:31 row_mask:0xf bank_mask:0xf bound_ctrl:1
	v_cvt_i32_f32_e32 v2, v45
	v_add_f32_e32 v1, v1, v3
	v_cvt_i32_f32_e32 v3, v46
	v_cvt_i32_f32_e32 v45, v47
	v_cvt_f32_i32_dpp v2, v2 row_shl:1 row_mask:0xf bank_mask:0xf bound_ctrl:1
	v_cvt_i32_f32_e32 v46, v1
	v_cvt_f32_i32_dpp v3, v3 row_shl:2 row_mask:0xf bank_mask:0xf bound_ctrl:1
	v_cvt_f32_i32_dpp v45, v45 row_shl:3 row_mask:0xf bank_mask:0xf bound_ctrl:1
	v_add_f32_e32 v2, v44, v2
	v_cvt_f32_i32_dpp v46, v46 row_shl:8 row_mask:0xf bank_mask:0xf bound_ctrl:1
	v_add_f32_e32 v2, v2, v3
	v_add_f32_e32 v2, v2, v45
	v_cvt_i32_f32_e32 v3, v2
	v_add_f32_e32 v1, v1, v46
	v_cvt_i32_f32_e32 v1, v1
	v_cvt_f32_i32_dpp v44, v50 row_bcast:15 row_mask:0xf bank_mask:0xf bound_ctrl:1
	v_cvt_f32_i32_dpp v3, v3 row_shl:4 row_mask:0xf bank_mask:0xf bound_ctrl:1
	v_cvt_i32_f32_e32 v38, v38
	v_cvt_f32_i32_dpp v1, v1 row_shr:15 row_mask:0xf bank_mask:0xf bound_ctrl:1
	v_add_f32_e32 v44, v0, v44
	v_add_f32_e32 v2, v2, v3
	v_cvt_i32_f32_e32 v3, v41
	v_cvt_i32_f32_e32 v41, v42
	;; [unrolled: 1-line block ×4, first 2 shown]
	v_cvt_f32_i32_dpp v3, v3 row_shl:1 row_mask:0xf bank_mask:0xf bound_ctrl:1
	v_cvt_f32_i32_dpp v41, v41 row_shl:2 row_mask:0xf bank_mask:0xf bound_ctrl:1
	;; [unrolled: 1-line block ×3, first 2 shown]
	v_cvt_i32_f32_e32 v43, v2
	v_add_f32_e32 v3, v40, v3
	v_add_f32_e32 v3, v3, v41
	;; [unrolled: 1-line block ×3, first 2 shown]
	v_cvt_i32_f32_e32 v40, v3
	v_cvt_i32_f32_e32 v42, v1
	v_mov_b32_dpp v41, v0 row_bcast:31 row_mask:0xf bank_mask:0xf bound_ctrl:1
	v_cvt_i32_f32_e32 v39, v39
	v_cvt_f32_i32_dpp v40, v40 row_shl:4 row_mask:0xf bank_mask:0xf bound_ctrl:1
	v_cvt_f32_i32_dpp v0, v42 row_bcast:15 row_mask:0xf bank_mask:0xf bound_ctrl:1
	v_cvt_f32_i32_dpp v43, v43 row_shl:8 row_mask:0xf bank_mask:0xf bound_ctrl:1
	v_cvt_f32_i32_dpp v37, v37 row_shl:1 row_mask:0xf bank_mask:0xf bound_ctrl:1
	v_add_f32_e32 v3, v3, v40
	v_cvt_i32_f32_e32 v42, v3
	v_cvt_f32_i32_dpp v38, v38 row_shl:2 row_mask:0xf bank_mask:0xf bound_ctrl:1
	v_cvt_f32_i32_dpp v39, v39 row_shl:3 row_mask:0xf bank_mask:0xf bound_ctrl:1
	v_add_f32_e32 v2, v2, v43
	v_cvt_f32_i32_dpp v42, v42 row_shl:8 row_mask:0xf bank_mask:0xf bound_ctrl:1
	v_cvt_i32_f32_e32 v2, v2
	v_add_f32_e32 v36, v36, v37
	v_add_f32_e32 v36, v36, v38
	;; [unrolled: 1-line block ×5, first 2 shown]
	v_cvt_i32_f32_e32 v0, v40
	v_cvt_i32_f32_e32 v3, v3
	v_cvt_i32_f32_e32 v36, v38
	v_cvt_f32_i32_dpp v2, v2 row_shr:15 row_mask:0xf bank_mask:0xf bound_ctrl:1
	v_mov_b32_dpp v37, v0 row_bcast:31 row_mask:0xf bank_mask:0xf bound_ctrl:1
	v_cvt_f32_i32_dpp v0, v3 row_shr:15 row_mask:0xf bank_mask:0xf bound_ctrl:1
	v_cvt_f32_i32_dpp v3, v36 row_shl:4 row_mask:0xf bank_mask:0xf bound_ctrl:1
	v_cvt_i32_f32_e32 v1, v2
	v_cvt_i32_f32_e32 v33, v33
	;; [unrolled: 1-line block ×3, first 2 shown]
	v_add_f32_e32 v3, v38, v3
	v_cvt_i32_f32_e32 v35, v35
	v_cvt_f32_i32_dpp v1, v1 row_bcast:15 row_mask:0xf bank_mask:0xf bound_ctrl:1
	v_cvt_i32_f32_e32 v38, v3
	v_cvt_f32_i32_dpp v33, v33 row_shl:1 row_mask:0xf bank_mask:0xf bound_ctrl:1
	v_cvt_f32_i32_dpp v34, v34 row_shl:2 row_mask:0xf bank_mask:0xf bound_ctrl:1
	;; [unrolled: 1-line block ×3, first 2 shown]
	v_add_f32_e32 v36, v2, v1
	v_cvt_i32_f32_e32 v2, v0
	v_cvt_f32_i32_dpp v38, v38 row_shl:8 row_mask:0xf bank_mask:0xf bound_ctrl:1
	v_add_f32_e32 v32, v32, v33
	v_add_f32_e32 v32, v32, v34
	;; [unrolled: 1-line block ×3, first 2 shown]
	v_cvt_i32_f32_e32 v32, v34
	v_cvt_f32_i32_dpp v2, v2 row_bcast:15 row_mask:0xf bank_mask:0xf bound_ctrl:1
	v_add_f32_e32 v3, v3, v38
	v_cvt_i32_f32_e32 v3, v3
	v_cvt_f32_i32_dpp v35, v32 row_shl:4 row_mask:0xf bank_mask:0xf bound_ctrl:1
	v_add_f32_e32 v32, v0, v2
	v_cvt_i32_f32_e32 v2, v29
	v_cvt_f32_i32_dpp v0, v3 row_shr:15 row_mask:0xf bank_mask:0xf bound_ctrl:1
	v_cvt_i32_f32_e32 v3, v30
	v_cvt_i32_f32_e32 v29, v31
	v_cvt_f32_i32_dpp v2, v2 row_shl:1 row_mask:0xf bank_mask:0xf bound_ctrl:1
	v_cvt_i32_f32_e32 v1, v36
	v_cvt_f32_i32_dpp v3, v3 row_shl:2 row_mask:0xf bank_mask:0xf bound_ctrl:1
	v_cvt_f32_i32_dpp v29, v29 row_shl:3 row_mask:0xf bank_mask:0xf bound_ctrl:1
	v_add_f32_e32 v2, v28, v2
	v_mov_b32_dpp v33, v1 row_bcast:31 row_mask:0xf bank_mask:0xf bound_ctrl:1
	v_add_f32_e32 v2, v2, v3
	v_add_f32_e32 v2, v2, v29
	v_cvt_i32_f32_e32 v3, v2
	v_add_f32_e32 v1, v34, v35
	v_cvt_i32_f32_e32 v30, v1
	v_cvt_i32_f32_e32 v28, v0
	v_cvt_f32_i32_dpp v3, v3 row_shl:4 row_mask:0xf bank_mask:0xf bound_ctrl:1
	v_cvt_i32_f32_e32 v29, v32
	v_cvt_f32_i32_dpp v30, v30 row_shl:8 row_mask:0xf bank_mask:0xf bound_ctrl:1
	v_cvt_f32_i32_dpp v28, v28 row_bcast:15 row_mask:0xf bank_mask:0xf bound_ctrl:1
	v_add_f32_e32 v2, v2, v3
	v_cvt_i32_f32_e32 v3, v2
	v_add_f32_e32 v1, v1, v30
	v_cvt_i32_f32_e32 v1, v1
	v_add_f32_e32 v28, v0, v28
	v_cvt_f32_i32_dpp v3, v3 row_shl:8 row_mask:0xf bank_mask:0xf bound_ctrl:1
	v_cvt_i32_f32_e32 v0, v28
	v_cvt_f32_i32_dpp v1, v1 row_shr:15 row_mask:0xf bank_mask:0xf bound_ctrl:1
	v_cvt_i32_f32_e32 v21, v21
	v_add_f32_e32 v2, v2, v3
	v_cvt_i32_f32_e32 v3, v25
	v_cvt_i32_f32_e32 v25, v26
	;; [unrolled: 1-line block ×4, first 2 shown]
	v_cvt_f32_i32_dpp v3, v3 row_shl:1 row_mask:0xf bank_mask:0xf bound_ctrl:1
	v_cvt_f32_i32_dpp v25, v25 row_shl:2 row_mask:0xf bank_mask:0xf bound_ctrl:1
	;; [unrolled: 1-line block ×3, first 2 shown]
	v_cvt_i32_f32_e32 v2, v2
	v_add_f32_e32 v3, v24, v3
	v_add_f32_e32 v3, v3, v25
	;; [unrolled: 1-line block ×3, first 2 shown]
	v_cvt_i32_f32_e32 v25, v3
	v_cvt_i32_f32_e32 v22, v22
	;; [unrolled: 1-line block ×3, first 2 shown]
	v_mov_b32_dpp v30, v29 row_bcast:31 row_mask:0xf bank_mask:0xf bound_ctrl:1
	v_mov_b32_dpp v29, v0 row_bcast:31 row_mask:0xf bank_mask:0xf bound_ctrl:1
	v_cvt_f32_i32_dpp v0, v31 row_bcast:15 row_mask:0xf bank_mask:0xf bound_ctrl:1
	v_cvt_f32_i32_dpp v2, v2 row_shr:15 row_mask:0xf bank_mask:0xf bound_ctrl:1
	v_cvt_f32_i32_dpp v25, v25 row_shl:4 row_mask:0xf bank_mask:0xf bound_ctrl:1
	v_cvt_f32_i32_dpp v21, v21 row_shl:1 row_mask:0xf bank_mask:0xf bound_ctrl:1
	;; [unrolled: 1-line block ×4, first 2 shown]
	v_add_f32_e32 v24, v1, v0
	v_cvt_i32_f32_e32 v1, v2
	v_add_f32_e32 v3, v3, v25
	v_cvt_i32_f32_e32 v25, v3
	v_add_f32_e32 v20, v20, v21
	v_add_f32_e32 v20, v20, v22
	;; [unrolled: 1-line block ×3, first 2 shown]
	v_cvt_i32_f32_e32 v0, v24
	v_cvt_i32_f32_e32 v20, v22
	v_cvt_f32_i32_dpp v1, v1 row_bcast:15 row_mask:0xf bank_mask:0xf bound_ctrl:1
	v_cvt_f32_i32_dpp v23, v25 row_shl:8 row_mask:0xf bank_mask:0xf bound_ctrl:1
	v_mov_b32_dpp v21, v0 row_bcast:31 row_mask:0xf bank_mask:0xf bound_ctrl:1
	v_cvt_f32_i32_dpp v0, v20 row_shl:4 row_mask:0xf bank_mask:0xf bound_ctrl:1
	v_add_f32_e32 v20, v2, v1
	v_cvt_i32_f32_e32 v2, v17
	v_add_f32_e32 v1, v3, v23
	v_cvt_i32_f32_e32 v3, v18
	v_cvt_i32_f32_e32 v17, v19
	v_cvt_f32_i32_dpp v2, v2 row_shl:1 row_mask:0xf bank_mask:0xf bound_ctrl:1
	v_add_f32_e32 v0, v22, v0
	v_cvt_f32_i32_dpp v3, v3 row_shl:2 row_mask:0xf bank_mask:0xf bound_ctrl:1
	v_cvt_f32_i32_dpp v17, v17 row_shl:3 row_mask:0xf bank_mask:0xf bound_ctrl:1
	v_add_f32_e32 v2, v16, v2
	v_cvt_i32_f32_e32 v18, v0
	v_add_f32_e32 v2, v2, v3
	v_add_f32_e32 v2, v2, v17
	v_cvt_i32_f32_e32 v3, v2
	v_cvt_i32_f32_e32 v1, v1
	v_cvt_f32_i32_dpp v18, v18 row_shl:8 row_mask:0xf bank_mask:0xf bound_ctrl:1
	v_cvt_i32_f32_e32 v16, v20
	v_cvt_f32_i32_dpp v3, v3 row_shl:4 row_mask:0xf bank_mask:0xf bound_ctrl:1
	v_cvt_f32_i32_dpp v1, v1 row_shr:15 row_mask:0xf bank_mask:0xf bound_ctrl:1
	v_add_f32_e32 v0, v0, v18
	v_cvt_i32_f32_e32 v0, v0
	v_add_f32_e32 v2, v2, v3
	v_cvt_i32_f32_e32 v3, v2
	v_cvt_i32_f32_e32 v17, v1
	v_cvt_f32_i32_dpp v0, v0 row_shr:15 row_mask:0xf bank_mask:0xf bound_ctrl:1
	v_cvt_f32_i32_dpp v3, v3 row_shl:8 row_mask:0xf bank_mask:0xf bound_ctrl:1
	v_cvt_f32_i32_dpp v18, v17 row_bcast:15 row_mask:0xf bank_mask:0xf bound_ctrl:1
	v_cvt_i32_f32_e32 v19, v0
	v_mov_b32_dpp v17, v16 row_bcast:31 row_mask:0xf bank_mask:0xf bound_ctrl:1
	v_add_f32_e32 v2, v2, v3
	v_cvt_i32_f32_e32 v3, v13
	v_cvt_i32_f32_e32 v13, v14
	;; [unrolled: 1-line block ×4, first 2 shown]
	v_cvt_f32_i32_dpp v3, v3 row_shl:1 row_mask:0xf bank_mask:0xf bound_ctrl:1
	v_cvt_f32_i32_dpp v13, v13 row_shl:2 row_mask:0xf bank_mask:0xf bound_ctrl:1
	v_cvt_f32_i32_dpp v2, v2 row_shr:15 row_mask:0xf bank_mask:0xf bound_ctrl:1
	v_cvt_f32_i32_dpp v14, v14 row_shl:3 row_mask:0xf bank_mask:0xf bound_ctrl:1
	v_add_f32_e32 v3, v12, v3
	v_add_f32_e32 v16, v1, v18
	;; [unrolled: 1-line block ×3, first 2 shown]
	v_cvt_i32_f32_e32 v1, v16
	v_cvt_f32_i32_dpp v18, v19 row_bcast:15 row_mask:0xf bank_mask:0xf bound_ctrl:1
	v_cvt_i32_f32_e32 v19, v2
	v_add_f32_e32 v3, v3, v14
	v_cvt_i32_f32_e32 v12, v3
	v_mov_b32_dpp v15, v1 row_bcast:31 row_mask:0xf bank_mask:0xf bound_ctrl:1
	v_cvt_f32_i32_dpp v1, v19 row_bcast:15 row_mask:0xf bank_mask:0xf bound_ctrl:1
	v_add_f32_e32 v13, v0, v18
	v_cvt_f32_i32_dpp v0, v12 row_shl:4 row_mask:0xf bank_mask:0xf bound_ctrl:1
	v_cvt_i32_f32_e32 v14, v13
	v_add_f32_e32 v12, v2, v1
	v_cvt_i32_f32_e32 v2, v5
	v_add_f32_e32 v0, v3, v0
	v_cvt_i32_f32_e32 v3, v6
	v_cvt_i32_f32_e32 v5, v7
	v_cvt_f32_i32_dpp v2, v2 row_shl:1 row_mask:0xf bank_mask:0xf bound_ctrl:1
	v_cvt_i32_f32_e32 v1, v12
	v_cvt_f32_i32_dpp v3, v3 row_shl:2 row_mask:0xf bank_mask:0xf bound_ctrl:1
	v_cvt_f32_i32_dpp v5, v5 row_shl:3 row_mask:0xf bank_mask:0xf bound_ctrl:1
	v_add_f32_e32 v2, v4, v2
	v_mov_b32_dpp v7, v1 row_bcast:31 row_mask:0xf bank_mask:0xf bound_ctrl:1
	v_add_f32_e32 v2, v2, v3
	v_add_f32_e32 v2, v2, v5
	v_cvt_i32_f32_e32 v3, v2
	v_cvt_i32_f32_e32 v4, v70
	;; [unrolled: 1-line block ×3, first 2 shown]
	v_mov_b32_dpp v14, v14 row_bcast:31 row_mask:0xf bank_mask:0xf bound_ctrl:1
	v_cvt_f32_i32_dpp v1, v3 row_shl:4 row_mask:0xf bank_mask:0xf bound_ctrl:1
	v_cvt_i32_f32_e32 v3, v69
	v_cvt_f32_i32_dpp v6, v6 row_shl:8 row_mask:0xf bank_mask:0xf bound_ctrl:1
	v_add_f32_e32 v1, v2, v1
	v_cvt_f32_i32_dpp v2, v3 row_shl:1 row_mask:0xf bank_mask:0xf bound_ctrl:1
	v_cvt_f32_i32_dpp v3, v4 row_shl:2 row_mask:0xf bank_mask:0xf bound_ctrl:1
	v_cvt_i32_f32_e32 v4, v71
	v_add_f32_e32 v0, v0, v6
	v_add_f32_e32 v2, v68, v2
	;; [unrolled: 1-line block ×3, first 2 shown]
	v_cvt_f32_i32_dpp v3, v4 row_shl:3 row_mask:0xf bank_mask:0xf bound_ctrl:1
	v_cvt_i32_f32_e32 v4, v9
	v_cvt_i32_f32_e32 v6, v10
	;; [unrolled: 1-line block ×3, first 2 shown]
	v_add_f32_e32 v2, v2, v3
	v_cvt_f32_i32_dpp v3, v4 row_shl:1 row_mask:0xf bank_mask:0xf bound_ctrl:1
	v_cvt_f32_i32_dpp v4, v6 row_shl:2 row_mask:0xf bank_mask:0xf bound_ctrl:1
	;; [unrolled: 1-line block ×3, first 2 shown]
	v_cvt_i32_f32_e32 v9, v2
	v_add_f32_e32 v3, v8, v3
	v_add_f32_e32 v3, v3, v4
	;; [unrolled: 1-line block ×3, first 2 shown]
	v_cvt_i32_f32_e32 v4, v3
	v_cvt_i32_f32_e32 v5, v1
	v_cvt_f32_i32_dpp v6, v9 row_shl:4 row_mask:0xf bank_mask:0xf bound_ctrl:1
	v_cvt_i32_f32_e32 v0, v0
	v_cvt_f32_i32_dpp v4, v4 row_shl:4 row_mask:0xf bank_mask:0xf bound_ctrl:1
	v_cvt_f32_i32_dpp v5, v5 row_shl:8 row_mask:0xf bank_mask:0xf bound_ctrl:1
	v_add_f32_e32 v2, v2, v6
	v_cvt_f32_i32_dpp v0, v0 row_shr:15 row_mask:0xf bank_mask:0xf bound_ctrl:1
	v_add_f32_e32 v3, v3, v4
	v_add_f32_e32 v1, v1, v5
	v_cvt_i32_f32_e32 v5, v2
	v_cvt_i32_f32_e32 v4, v3
	;; [unrolled: 1-line block ×4, first 2 shown]
	v_cvt_f32_i32_dpp v5, v5 row_shl:8 row_mask:0xf bank_mask:0xf bound_ctrl:1
	v_cvt_f32_i32_dpp v4, v4 row_shl:8 row_mask:0xf bank_mask:0xf bound_ctrl:1
	v_cvt_f32_i32_dpp v1, v1 row_shr:15 row_mask:0xf bank_mask:0xf bound_ctrl:1
	v_add_f32_e32 v2, v2, v5
	v_add_f32_e32 v3, v3, v4
	v_cvt_i32_f32_e32 v2, v2
	v_cvt_i32_f32_e32 v3, v3
	v_cvt_f32_i32_dpp v4, v6 row_bcast:15 row_mask:0xf bank_mask:0xf bound_ctrl:1
	v_cvt_i32_f32_e32 v5, v1
	v_cvt_f32_i32_dpp v2, v2 row_shr:15 row_mask:0xf bank_mask:0xf bound_ctrl:1
	v_cvt_f32_i32_dpp v3, v3 row_shr:15 row_mask:0xf bank_mask:0xf bound_ctrl:1
	v_add_f32_e32 v9, v0, v4
	v_cvt_f32_i32_dpp v4, v5 row_bcast:15 row_mask:0xf bank_mask:0xf bound_ctrl:1
	v_cvt_i32_f32_e32 v0, v2
	v_cvt_i32_f32_e32 v5, v3
	;; [unrolled: 1-line block ×3, first 2 shown]
	v_add_f32_e32 v6, v1, v4
	v_cvt_f32_i32_dpp v0, v0 row_bcast:15 row_mask:0xf bank_mask:0xf bound_ctrl:1
	v_cvt_f32_i32_dpp v1, v5 row_bcast:15 row_mask:0xf bank_mask:0xf bound_ctrl:1
	v_cvt_i32_f32_e32 v5, v6
	v_mov_b32_dpp v10, v8 row_bcast:31 row_mask:0xf bank_mask:0xf bound_ctrl:1
	v_add_f32_e32 v4, v2, v0
	v_add_f32_e32 v2, v3, v1
	v_cvt_i32_f32_e32 v0, v4
	v_cvt_i32_f32_e32 v1, v2
	v_mov_b32_dpp v8, v5 row_bcast:31 row_mask:0xf bank_mask:0xf bound_ctrl:1
	v_mov_b32_dpp v5, v0 row_bcast:31 row_mask:0xf bank_mask:0xf bound_ctrl:1
	;; [unrolled: 1-line block ×3, first 2 shown]
	s_mov_b64 s[20:21], exec
	scratch_load_dwordx2 v[46:47], off, off offset:44 ; 8-byte Folded Reload
	s_and_b64 s[22:23], s[20:21], s[0:1]
	s_mov_b64 exec, s[22:23]
	s_cbranch_execz .LBB299_7
; %bb.17:                               ;   in Loop: Header=BB299_8 Depth=1
	s_andn2_b64 vcc, exec, s[18:19]
	v_mov_b32_e32 v0, 0
	v_mov_b32_e32 v42, 0
	v_mov_b32_e32 v39, 0
	v_mov_b32_e32 v38, 0
	v_mov_b32_e32 v35, 0
	v_mov_b32_e32 v34, 0
	v_mov_b32_e32 v31, 0
	v_mov_b32_e32 v26, 0
	v_mov_b32_e32 v27, 0
	v_mov_b32_e32 v25, 0
	v_mov_b32_e32 v23, 0
	v_mov_b32_e32 v22, 0
	v_mov_b32_e32 v19, 0
	v_mov_b32_e32 v18, 0
	v_mov_b32_e32 v11, 0
	s_cbranch_vccnz .LBB299_19
; %bb.18:                               ;   in Loop: Header=BB299_8 Depth=1
	scratch_load_dword v11, off, off offset:64 ; 4-byte Folded Reload
	v_mov_b32_e32 v23, v119
	v_mov_b32_e32 v51, v119
	s_waitcnt vmcnt(0)
	v_mul_hi_u32 v0, v46, v11
	v_mul_lo_u32 v0, v0, s8
	v_sub_u32_e32 v0, v46, v0
	v_subrev_u32_e32 v1, s8, v0
	v_cmp_le_u32_e32 vcc, s8, v0
	s_nop 1
	v_cndmask_b32_e32 v0, v0, v1, vcc
	v_subrev_u32_e32 v1, s8, v0
	v_cmp_le_u32_e32 vcc, s8, v0
	s_nop 1
	v_cndmask_b32_e32 v118, v0, v1, vcc
	v_add_u32_e32 v0, 1, v46
	v_mul_hi_u32 v1, v0, v11
	v_mul_lo_u32 v1, v1, s8
	v_sub_u32_e32 v0, v0, v1
	v_subrev_u32_e32 v1, s8, v0
	v_cmp_le_u32_e32 vcc, s8, v0
	v_lshl_add_u64 v[18:19], v[118:119], 1, s[10:11]
	s_nop 0
	v_cndmask_b32_e32 v0, v0, v1, vcc
	v_subrev_u32_e32 v1, s8, v0
	v_cmp_le_u32_e32 vcc, s8, v0
	s_nop 1
	v_cndmask_b32_e32 v22, v0, v1, vcc
	scratch_load_dwordx2 v[0:1], off, off offset:52 ; 8-byte Folded Reload
	v_lshl_add_u64 v[46:47], v[22:23], 1, s[10:11]
	s_waitcnt vmcnt(0)
	v_mov_b32_e32 v26, v0
	v_mul_hi_u32 v0, v26, v11
	v_mul_lo_u32 v0, v0, s8
	v_sub_u32_e32 v0, v26, v0
	v_subrev_u32_e32 v1, s8, v0
	v_cmp_le_u32_e32 vcc, s8, v0
	s_nop 1
	v_cndmask_b32_e32 v0, v0, v1, vcc
	v_subrev_u32_e32 v1, s8, v0
	v_cmp_le_u32_e32 vcc, s8, v0
	s_nop 1
	v_cndmask_b32_e32 v50, v0, v1, vcc
	v_add_u32_e32 v0, s26, v118
	v_mov_b32_e32 v1, v119
	v_lshl_add_u64 v[54:55], v[0:1], 1, s[10:11]
	v_add_u32_e32 v0, s26, v22
	v_lshl_add_u64 v[56:57], v[0:1], 1, s[10:11]
	v_add_u32_e32 v0, s26, v50
	;; [unrolled: 2-line block ×4, first 2 shown]
	v_lshl_add_u64 v[52:53], v[50:51], 1, s[10:11]
	v_lshl_add_u64 v[62:63], v[0:1], 1, s[10:11]
	global_load_ushort v0, v[18:19], off
	global_load_ushort v42, v[46:47], off
	;; [unrolled: 1-line block ×8, first 2 shown]
	v_add_u32_e32 v18, s27, v50
	v_mov_b32_e32 v19, v119
	v_lshl_add_u64 v[46:47], v[18:19], 1, s[10:11]
	v_add_u32_e32 v18, s28, v118
	v_add_u32_e32 v118, s29, v118
	v_lshl_add_u64 v[52:53], v[18:19], 1, s[10:11]
	v_add_u32_e32 v18, s28, v22
	v_lshl_add_u64 v[58:59], v[118:119], 1, s[10:11]
	;; [unrolled: 2-line block ×5, first 2 shown]
	v_lshl_add_u64 v[50:51], v[118:119], 1, s[10:11]
	global_load_ushort v27, v[46:47], off
	global_load_ushort v25, v[52:53], off
	;; [unrolled: 1-line block ×6, first 2 shown]
                                        ; kill: killed $vgpr46_vgpr47
	scratch_load_dwordx2 v[46:47], off, off offset:44 ; 8-byte Folded Reload
                                        ; kill: killed $vgpr52_vgpr53
                                        ; kill: killed $vgpr54_vgpr55
                                        ; kill: killed $vgpr56_vgpr57
                                        ; kill: killed $vgpr58_vgpr59
                                        ; kill: killed $vgpr60_vgpr61
	global_load_ushort v11, v[50:51], off
.LBB299_19:                             ;   in Loop: Header=BB299_8 Depth=1
	v_cvt_f32_i32_e32 v1, v49
	s_waitcnt vmcnt(15)
	v_lshlrev_b32_e32 v0, 16, v0
                                        ; implicit-def: $vgpr43
	v_add_f32_e32 v1, v48, v1
	v_add_f32_e32 v0, v1, v0
	v_and_b32_e32 v1, 0x7f800000, v0
	v_cmp_ne_u32_e32 vcc, s34, v1
	s_and_saveexec_b64 s[22:23], vcc
	s_xor_b64 s[22:23], exec, s[22:23]
; %bb.20:                               ;   in Loop: Header=BB299_8 Depth=1
	v_bfe_u32 v1, v0, 16, 1
	v_add3_u32 v43, v0, v1, s35
                                        ; implicit-def: $vgpr0
; %bb.21:                               ;   in Loop: Header=BB299_8 Depth=1
	s_andn2_saveexec_b64 s[22:23], s[22:23]
; %bb.22:                               ;   in Loop: Header=BB299_8 Depth=1
	v_or_b32_e32 v1, 0x10000, v0
	v_cmp_eq_u32_sdwa vcc, v0, v119 src0_sel:WORD_0 src1_sel:DWORD
	s_nop 1
	v_cndmask_b32_e32 v43, v1, v0, vcc
; %bb.23:                               ;   in Loop: Header=BB299_8 Depth=1
	s_or_b64 exec, exec, s[22:23]
	v_cvt_f32_i32_e32 v41, v41
	s_waitcnt vmcnt(14)
	v_lshlrev_b32_e32 v42, 16, v42
	s_waitcnt vmcnt(0)
	v_mov_b32_e32 v47, v119
	s_waitcnt lgkmcnt(0)
	v_lshl_add_u64 v[0:1], v[46:47], 1, s[14:15]
	v_add_f32_e32 v41, v44, v41
	v_add_f32_e32 v41, v41, v42
	v_and_b32_e32 v42, 0x7f800000, v41
	v_cmp_ne_u32_e32 vcc, s34, v42
	global_store_short_d16_hi v[0:1], v43, off
                                        ; implicit-def: $vgpr42
	s_and_saveexec_b64 s[22:23], vcc
	s_xor_b64 s[22:23], exec, s[22:23]
; %bb.24:                               ;   in Loop: Header=BB299_8 Depth=1
	v_bfe_u32 v42, v41, 16, 1
	v_add3_u32 v42, v41, v42, s35
                                        ; implicit-def: $vgpr41
; %bb.25:                               ;   in Loop: Header=BB299_8 Depth=1
	s_andn2_saveexec_b64 s[22:23], s[22:23]
; %bb.26:                               ;   in Loop: Header=BB299_8 Depth=1
	v_or_b32_e32 v42, 0x10000, v41
	v_cmp_eq_u32_sdwa vcc, v41, v119 src0_sel:WORD_0 src1_sel:DWORD
	s_nop 1
	v_cndmask_b32_e32 v42, v42, v41, vcc
; %bb.27:                               ;   in Loop: Header=BB299_8 Depth=1
	s_or_b64 exec, exec, s[22:23]
	v_cvt_f32_i32_e32 v37, v37
	global_store_short_d16_hi v[0:1], v42, off offset:2
	v_lshlrev_b32_e32 v1, 16, v39
	v_add_f32_e32 v0, v40, v37
	v_add_f32_e32 v1, v0, v1
	v_and_b32_e32 v0, 0x7f800000, v1
	v_cmp_ne_u32_e32 vcc, s34, v0
                                        ; implicit-def: $vgpr0
	s_and_saveexec_b64 s[22:23], vcc
	s_xor_b64 s[22:23], exec, s[22:23]
; %bb.28:                               ;   in Loop: Header=BB299_8 Depth=1
	v_bfe_u32 v0, v1, 16, 1
	v_add3_u32 v0, v1, v0, s35
                                        ; implicit-def: $vgpr1
; %bb.29:                               ;   in Loop: Header=BB299_8 Depth=1
	s_andn2_saveexec_b64 s[22:23], s[22:23]
; %bb.30:                               ;   in Loop: Header=BB299_8 Depth=1
	v_or_b32_e32 v0, 0x10000, v1
	v_cmp_eq_u32_sdwa vcc, v1, v119 src0_sel:WORD_0 src1_sel:DWORD
	s_nop 1
	v_cndmask_b32_e32 v0, v0, v1, vcc
; %bb.31:                               ;   in Loop: Header=BB299_8 Depth=1
	s_or_b64 exec, exec, s[22:23]
	scratch_load_dwordx2 v[40:41], off, off offset:52 ; 8-byte Folded Reload
	v_cvt_f32_i32_e32 v1, v33
	s_waitcnt vmcnt(0)
	v_mov_b32_e32 v41, v119
	v_lshl_add_u64 v[40:41], v[40:41], 1, s[14:15]
	global_store_short_d16_hi v[40:41], v0, off
	v_add_f32_e32 v0, v36, v1
	v_lshlrev_b32_e32 v1, 16, v38
	v_add_f32_e32 v1, v0, v1
	v_and_b32_e32 v0, 0x7f800000, v1
	v_cmp_ne_u32_e32 vcc, s34, v0
                                        ; implicit-def: $vgpr0
	s_and_saveexec_b64 s[22:23], vcc
	s_xor_b64 s[22:23], exec, s[22:23]
; %bb.32:                               ;   in Loop: Header=BB299_8 Depth=1
	v_bfe_u32 v0, v1, 16, 1
	v_add3_u32 v0, v1, v0, s35
                                        ; implicit-def: $vgpr1
; %bb.33:                               ;   in Loop: Header=BB299_8 Depth=1
	s_andn2_saveexec_b64 s[22:23], s[22:23]
; %bb.34:                               ;   in Loop: Header=BB299_8 Depth=1
	v_or_b32_e32 v0, 0x10000, v1
	v_cmp_eq_u32_sdwa vcc, v1, v119 src0_sel:WORD_0 src1_sel:DWORD
	s_nop 1
	v_cndmask_b32_e32 v0, v0, v1, vcc
; %bb.35:                               ;   in Loop: Header=BB299_8 Depth=1
	s_or_b64 exec, exec, s[22:23]
	v_cvt_f32_i32_e32 v1, v30
	v_add_u32_e32 v118, s7, v46
	v_lshl_add_u64 v[36:37], v[118:119], 1, s[14:15]
	global_store_short_d16_hi v[36:37], v0, off
	v_add_f32_e32 v0, v32, v1
	v_lshlrev_b32_e32 v1, 16, v35
	v_add_f32_e32 v1, v0, v1
	v_and_b32_e32 v0, 0x7f800000, v1
	v_cmp_ne_u32_e32 vcc, s34, v0
                                        ; implicit-def: $vgpr0
	s_and_saveexec_b64 s[22:23], vcc
	s_xor_b64 s[22:23], exec, s[22:23]
; %bb.36:                               ;   in Loop: Header=BB299_8 Depth=1
	v_bfe_u32 v0, v1, 16, 1
	v_add3_u32 v0, v1, v0, s35
                                        ; implicit-def: $vgpr1
; %bb.37:                               ;   in Loop: Header=BB299_8 Depth=1
	s_andn2_saveexec_b64 s[22:23], s[22:23]
; %bb.38:                               ;   in Loop: Header=BB299_8 Depth=1
	v_or_b32_e32 v0, 0x10000, v1
	v_cmp_eq_u32_sdwa vcc, v1, v119 src0_sel:WORD_0 src1_sel:DWORD
	s_nop 1
	v_cndmask_b32_e32 v0, v0, v1, vcc
; %bb.39:                               ;   in Loop: Header=BB299_8 Depth=1
	s_or_b64 exec, exec, s[22:23]
	v_cvt_f32_i32_e32 v1, v29
	v_add_u32_e32 v32, 1, v118
	v_mov_b32_e32 v33, v119
	v_lshl_add_u64 v[32:33], v[32:33], 1, s[14:15]
	v_add_f32_e32 v1, v28, v1
	global_store_short_d16_hi v[32:33], v0, off
	v_lshlrev_b32_e32 v0, 16, v34
	v_add_f32_e32 v1, v1, v0
	v_and_b32_e32 v0, 0x7f800000, v1
	v_cmp_ne_u32_e32 vcc, s34, v0
                                        ; implicit-def: $vgpr0
	s_and_saveexec_b64 s[22:23], vcc
	s_xor_b64 s[22:23], exec, s[22:23]
; %bb.40:                               ;   in Loop: Header=BB299_8 Depth=1
	v_bfe_u32 v0, v1, 16, 1
	v_add3_u32 v0, v1, v0, s35
                                        ; implicit-def: $vgpr1
; %bb.41:                               ;   in Loop: Header=BB299_8 Depth=1
	s_andn2_saveexec_b64 s[22:23], s[22:23]
; %bb.42:                               ;   in Loop: Header=BB299_8 Depth=1
	v_or_b32_e32 v0, 0x10000, v1
	v_cmp_eq_u32_sdwa vcc, v1, v119 src0_sel:WORD_0 src1_sel:DWORD
	s_nop 1
	v_cndmask_b32_e32 v0, v0, v1, vcc
; %bb.43:                               ;   in Loop: Header=BB299_8 Depth=1
	s_or_b64 exec, exec, s[22:23]
	v_cvt_f32_i32_e32 v1, v21
	v_add_u32_e32 v28, 2, v118
	v_mov_b32_e32 v29, v119
	v_lshl_add_u64 v[28:29], v[28:29], 1, s[14:15]
	v_add_f32_e32 v1, v24, v1
	global_store_short_d16_hi v[28:29], v0, off
	v_lshlrev_b32_e32 v0, 16, v31
	v_add_f32_e32 v1, v1, v0
	v_and_b32_e32 v0, 0x7f800000, v1
	v_cmp_ne_u32_e32 vcc, s34, v0
                                        ; implicit-def: $vgpr0
	s_and_saveexec_b64 s[22:23], vcc
	s_xor_b64 s[22:23], exec, s[22:23]
; %bb.44:                               ;   in Loop: Header=BB299_8 Depth=1
	v_bfe_u32 v0, v1, 16, 1
	v_add3_u32 v0, v1, v0, s35
                                        ; implicit-def: $vgpr1
; %bb.45:                               ;   in Loop: Header=BB299_8 Depth=1
	s_andn2_saveexec_b64 s[22:23], s[22:23]
; %bb.46:                               ;   in Loop: Header=BB299_8 Depth=1
	v_or_b32_e32 v0, 0x10000, v1
	v_cmp_eq_u32_sdwa vcc, v1, v119 src0_sel:WORD_0 src1_sel:DWORD
	s_nop 1
	v_cndmask_b32_e32 v0, v0, v1, vcc
; %bb.47:                               ;   in Loop: Header=BB299_8 Depth=1
	s_or_b64 exec, exec, s[22:23]
	v_cvt_f32_i32_e32 v1, v17
	v_add_u32_e32 v118, s7, v118
	v_lshl_add_u64 v[28:29], v[118:119], 1, s[14:15]
	global_store_short_d16_hi v[28:29], v0, off
	v_add_f32_e32 v0, v20, v1
	v_lshlrev_b32_e32 v1, 16, v26
	v_add_f32_e32 v1, v0, v1
	v_and_b32_e32 v0, 0x7f800000, v1
	v_cmp_ne_u32_e32 vcc, s34, v0
                                        ; implicit-def: $vgpr0
	s_and_saveexec_b64 s[22:23], vcc
	s_xor_b64 s[22:23], exec, s[22:23]
; %bb.48:                               ;   in Loop: Header=BB299_8 Depth=1
	v_bfe_u32 v0, v1, 16, 1
	v_add3_u32 v0, v1, v0, s35
                                        ; implicit-def: $vgpr1
; %bb.49:                               ;   in Loop: Header=BB299_8 Depth=1
	s_andn2_saveexec_b64 s[22:23], s[22:23]
; %bb.50:                               ;   in Loop: Header=BB299_8 Depth=1
	v_or_b32_e32 v0, 0x10000, v1
	v_cmp_eq_u32_sdwa vcc, v1, v119 src0_sel:WORD_0 src1_sel:DWORD
	s_nop 1
	v_cndmask_b32_e32 v0, v0, v1, vcc
; %bb.51:                               ;   in Loop: Header=BB299_8 Depth=1
	s_or_b64 exec, exec, s[22:23]
	v_cvt_f32_i32_e32 v1, v15
	v_add_u32_e32 v20, 1, v118
	v_mov_b32_e32 v21, v119
	v_lshl_add_u64 v[20:21], v[20:21], 1, s[14:15]
	v_add_f32_e32 v1, v16, v1
	global_store_short_d16_hi v[20:21], v0, off
	v_lshlrev_b32_e32 v0, 16, v27
	v_add_f32_e32 v1, v1, v0
	v_and_b32_e32 v0, 0x7f800000, v1
	v_cmp_ne_u32_e32 vcc, s34, v0
                                        ; implicit-def: $vgpr0
	s_and_saveexec_b64 s[22:23], vcc
	s_xor_b64 s[22:23], exec, s[22:23]
; %bb.52:                               ;   in Loop: Header=BB299_8 Depth=1
	v_bfe_u32 v0, v1, 16, 1
	v_add3_u32 v0, v1, v0, s35
                                        ; implicit-def: $vgpr1
; %bb.53:                               ;   in Loop: Header=BB299_8 Depth=1
	s_andn2_saveexec_b64 s[22:23], s[22:23]
; %bb.54:                               ;   in Loop: Header=BB299_8 Depth=1
	v_or_b32_e32 v0, 0x10000, v1
	v_cmp_eq_u32_sdwa vcc, v1, v119 src0_sel:WORD_0 src1_sel:DWORD
	s_nop 1
	v_cndmask_b32_e32 v0, v0, v1, vcc
; %bb.55:                               ;   in Loop: Header=BB299_8 Depth=1
	s_or_b64 exec, exec, s[22:23]
	v_cvt_f32_i32_e32 v1, v14
	v_add_u32_e32 v14, 2, v118
	v_mov_b32_e32 v15, v119
	v_lshl_add_u64 v[14:15], v[14:15], 1, s[14:15]
	v_add_f32_e32 v1, v13, v1
	global_store_short_d16_hi v[14:15], v0, off
	v_lshlrev_b32_e32 v0, 16, v25
	v_add_f32_e32 v1, v1, v0
	v_and_b32_e32 v0, 0x7f800000, v1
	v_cmp_ne_u32_e32 vcc, s34, v0
                                        ; implicit-def: $vgpr0
	s_and_saveexec_b64 s[22:23], vcc
	s_xor_b64 s[22:23], exec, s[22:23]
; %bb.56:                               ;   in Loop: Header=BB299_8 Depth=1
	v_bfe_u32 v0, v1, 16, 1
	v_add3_u32 v0, v1, v0, s35
                                        ; implicit-def: $vgpr1
; %bb.57:                               ;   in Loop: Header=BB299_8 Depth=1
	s_andn2_saveexec_b64 s[22:23], s[22:23]
; %bb.58:                               ;   in Loop: Header=BB299_8 Depth=1
	v_or_b32_e32 v0, 0x10000, v1
	v_cmp_eq_u32_sdwa vcc, v1, v119 src0_sel:WORD_0 src1_sel:DWORD
	s_nop 1
	v_cndmask_b32_e32 v0, v0, v1, vcc
; %bb.59:                               ;   in Loop: Header=BB299_8 Depth=1
	s_or_b64 exec, exec, s[22:23]
	v_cvt_f32_i32_e32 v1, v7
	v_add_u32_e32 v118, s7, v118
	v_lshl_add_u64 v[14:15], v[118:119], 1, s[14:15]
	global_store_short_d16_hi v[14:15], v0, off
	v_add_f32_e32 v0, v12, v1
	v_lshlrev_b32_e32 v1, 16, v23
	v_add_f32_e32 v1, v0, v1
	v_and_b32_e32 v0, 0x7f800000, v1
	v_cmp_ne_u32_e32 vcc, s34, v0
                                        ; implicit-def: $vgpr0
	s_and_saveexec_b64 s[22:23], vcc
	s_xor_b64 s[22:23], exec, s[22:23]
; %bb.60:                               ;   in Loop: Header=BB299_8 Depth=1
	v_bfe_u32 v0, v1, 16, 1
	v_add3_u32 v0, v1, v0, s35
                                        ; implicit-def: $vgpr1
; %bb.61:                               ;   in Loop: Header=BB299_8 Depth=1
	s_andn2_saveexec_b64 s[22:23], s[22:23]
; %bb.62:                               ;   in Loop: Header=BB299_8 Depth=1
	v_or_b32_e32 v0, 0x10000, v1
	v_cmp_eq_u32_sdwa vcc, v1, v119 src0_sel:WORD_0 src1_sel:DWORD
	s_nop 1
	v_cndmask_b32_e32 v0, v0, v1, vcc
; %bb.63:                               ;   in Loop: Header=BB299_8 Depth=1
	s_or_b64 exec, exec, s[22:23]
	v_cvt_f32_i32_e32 v1, v10
	v_add_u32_e32 v12, 1, v118
	v_mov_b32_e32 v13, v119
	v_lshl_add_u64 v[12:13], v[12:13], 1, s[14:15]
	v_add_f32_e32 v1, v9, v1
	global_store_short_d16_hi v[12:13], v0, off
	v_lshlrev_b32_e32 v0, 16, v22
	v_add_f32_e32 v1, v1, v0
	v_and_b32_e32 v0, 0x7f800000, v1
	v_cmp_ne_u32_e32 vcc, s34, v0
                                        ; implicit-def: $vgpr0
	s_and_saveexec_b64 s[22:23], vcc
	s_xor_b64 s[22:23], exec, s[22:23]
; %bb.64:                               ;   in Loop: Header=BB299_8 Depth=1
	v_bfe_u32 v0, v1, 16, 1
	v_add3_u32 v0, v1, v0, s35
                                        ; implicit-def: $vgpr1
; %bb.65:                               ;   in Loop: Header=BB299_8 Depth=1
	s_andn2_saveexec_b64 s[22:23], s[22:23]
; %bb.66:                               ;   in Loop: Header=BB299_8 Depth=1
	v_or_b32_e32 v0, 0x10000, v1
	v_cmp_eq_u32_sdwa vcc, v1, v119 src0_sel:WORD_0 src1_sel:DWORD
	s_nop 1
	v_cndmask_b32_e32 v0, v0, v1, vcc
; %bb.67:                               ;   in Loop: Header=BB299_8 Depth=1
	s_or_b64 exec, exec, s[22:23]
	v_cvt_f32_i32_e32 v1, v8
	v_add_u32_e32 v8, 2, v118
	v_mov_b32_e32 v9, v119
	v_lshl_add_u64 v[8:9], v[8:9], 1, s[14:15]
	v_add_f32_e32 v1, v6, v1
	global_store_short_d16_hi v[8:9], v0, off
	v_lshlrev_b32_e32 v0, 16, v19
	v_add_f32_e32 v1, v1, v0
	v_and_b32_e32 v0, 0x7f800000, v1
	v_cmp_ne_u32_e32 vcc, s34, v0
                                        ; implicit-def: $vgpr0
	s_and_saveexec_b64 s[22:23], vcc
	s_xor_b64 s[22:23], exec, s[22:23]
; %bb.68:                               ;   in Loop: Header=BB299_8 Depth=1
	v_bfe_u32 v0, v1, 16, 1
	v_add3_u32 v0, v1, v0, s35
                                        ; implicit-def: $vgpr1
; %bb.69:                               ;   in Loop: Header=BB299_8 Depth=1
	s_andn2_saveexec_b64 s[22:23], s[22:23]
; %bb.70:                               ;   in Loop: Header=BB299_8 Depth=1
	v_or_b32_e32 v0, 0x10000, v1
	v_cmp_eq_u32_sdwa vcc, v1, v119 src0_sel:WORD_0 src1_sel:DWORD
	s_nop 1
	v_cndmask_b32_e32 v0, v0, v1, vcc
; %bb.71:                               ;   in Loop: Header=BB299_8 Depth=1
	s_or_b64 exec, exec, s[22:23]
	v_cvt_f32_i32_e32 v1, v5
	v_add_u32_e32 v118, s7, v118
	v_lshl_add_u64 v[6:7], v[118:119], 1, s[14:15]
	global_store_short_d16_hi v[6:7], v0, off
	v_add_f32_e32 v0, v4, v1
	v_lshlrev_b32_e32 v1, 16, v18
	v_add_f32_e32 v1, v0, v1
	v_and_b32_e32 v0, 0x7f800000, v1
	v_cmp_ne_u32_e32 vcc, s34, v0
                                        ; implicit-def: $vgpr0
	s_and_saveexec_b64 s[22:23], vcc
	s_xor_b64 s[22:23], exec, s[22:23]
; %bb.72:                               ;   in Loop: Header=BB299_8 Depth=1
	v_bfe_u32 v0, v1, 16, 1
	v_add3_u32 v0, v1, v0, s35
                                        ; implicit-def: $vgpr1
; %bb.73:                               ;   in Loop: Header=BB299_8 Depth=1
	s_andn2_saveexec_b64 s[22:23], s[22:23]
; %bb.74:                               ;   in Loop: Header=BB299_8 Depth=1
	v_or_b32_e32 v0, 0x10000, v1
	v_cmp_eq_u32_sdwa vcc, v1, v119 src0_sel:WORD_0 src1_sel:DWORD
	s_nop 1
	v_cndmask_b32_e32 v0, v0, v1, vcc
; %bb.75:                               ;   in Loop: Header=BB299_8 Depth=1
	s_or_b64 exec, exec, s[22:23]
	v_cvt_f32_i32_e32 v1, v3
	v_add_u32_e32 v4, 1, v118
	v_mov_b32_e32 v5, v119
	v_lshl_add_u64 v[4:5], v[4:5], 1, s[14:15]
	v_add_f32_e32 v1, v2, v1
	global_store_short_d16_hi v[4:5], v0, off
	v_lshlrev_b32_e32 v0, 16, v11
	v_add_f32_e32 v1, v1, v0
	v_and_b32_e32 v0, 0x7f800000, v1
	v_cmp_ne_u32_e32 vcc, s34, v0
                                        ; implicit-def: $vgpr0
	s_and_saveexec_b64 s[22:23], vcc
	s_xor_b64 s[22:23], exec, s[22:23]
; %bb.76:                               ;   in Loop: Header=BB299_8 Depth=1
	v_bfe_u32 v0, v1, 16, 1
	v_add3_u32 v0, v1, v0, s35
                                        ; implicit-def: $vgpr1
; %bb.77:                               ;   in Loop: Header=BB299_8 Depth=1
	s_andn2_saveexec_b64 s[22:23], s[22:23]
	s_cbranch_execz .LBB299_6
; %bb.78:                               ;   in Loop: Header=BB299_8 Depth=1
	v_or_b32_e32 v0, 0x10000, v1
	v_cmp_eq_u32_sdwa vcc, v1, v119 src0_sel:WORD_0 src1_sel:DWORD
	s_nop 1
	v_cndmask_b32_e32 v0, v0, v1, vcc
	s_branch .LBB299_6
.LBB299_79:
	s_endpgm
	.section	.rodata,"a",@progbits
	.p2align	6, 0x0
	.amdhsa_kernel _Z16wvSplitK_hf_sml_I14__hip_bfloat16Li64ELi3ELi16ELi8ELi2ELi5EEviiiiiiPKT_S3_S3_PS1_ii
		.amdhsa_group_segment_fixed_size 65536
		.amdhsa_private_segment_fixed_size 72
		.amdhsa_kernarg_size 64
		.amdhsa_user_sgpr_count 2
		.amdhsa_user_sgpr_dispatch_ptr 0
		.amdhsa_user_sgpr_queue_ptr 0
		.amdhsa_user_sgpr_kernarg_segment_ptr 1
		.amdhsa_user_sgpr_dispatch_id 0
		.amdhsa_user_sgpr_kernarg_preload_length 0
		.amdhsa_user_sgpr_kernarg_preload_offset 0
		.amdhsa_user_sgpr_private_segment_size 0
		.amdhsa_uses_dynamic_stack 0
		.amdhsa_enable_private_segment 1
		.amdhsa_system_sgpr_workgroup_id_x 1
		.amdhsa_system_sgpr_workgroup_id_y 0
		.amdhsa_system_sgpr_workgroup_id_z 0
		.amdhsa_system_sgpr_workgroup_info 0
		.amdhsa_system_vgpr_workitem_id 1
		.amdhsa_next_free_vgpr 128
		.amdhsa_next_free_sgpr 37
		.amdhsa_accum_offset 128
		.amdhsa_reserve_vcc 1
		.amdhsa_float_round_mode_32 0
		.amdhsa_float_round_mode_16_64 0
		.amdhsa_float_denorm_mode_32 3
		.amdhsa_float_denorm_mode_16_64 3
		.amdhsa_dx10_clamp 1
		.amdhsa_ieee_mode 1
		.amdhsa_fp16_overflow 0
		.amdhsa_tg_split 0
		.amdhsa_exception_fp_ieee_invalid_op 0
		.amdhsa_exception_fp_denorm_src 0
		.amdhsa_exception_fp_ieee_div_zero 0
		.amdhsa_exception_fp_ieee_overflow 0
		.amdhsa_exception_fp_ieee_underflow 0
		.amdhsa_exception_fp_ieee_inexact 0
		.amdhsa_exception_int_div_zero 0
	.end_amdhsa_kernel
	.section	.text._Z16wvSplitK_hf_sml_I14__hip_bfloat16Li64ELi3ELi16ELi8ELi2ELi5EEviiiiiiPKT_S3_S3_PS1_ii,"axG",@progbits,_Z16wvSplitK_hf_sml_I14__hip_bfloat16Li64ELi3ELi16ELi8ELi2ELi5EEviiiiiiPKT_S3_S3_PS1_ii,comdat
.Lfunc_end299:
	.size	_Z16wvSplitK_hf_sml_I14__hip_bfloat16Li64ELi3ELi16ELi8ELi2ELi5EEviiiiiiPKT_S3_S3_PS1_ii, .Lfunc_end299-_Z16wvSplitK_hf_sml_I14__hip_bfloat16Li64ELi3ELi16ELi8ELi2ELi5EEviiiiiiPKT_S3_S3_PS1_ii
                                        ; -- End function
	.section	.AMDGPU.csdata,"",@progbits
; Kernel info:
; codeLenInByte = 6528
; NumSgprs: 43
; NumVgprs: 128
; NumAgprs: 0
; TotalNumVgprs: 128
; ScratchSize: 72
; MemoryBound: 0
; FloatMode: 240
; IeeeMode: 1
; LDSByteSize: 65536 bytes/workgroup (compile time only)
; SGPRBlocks: 5
; VGPRBlocks: 15
; NumSGPRsForWavesPerEU: 43
; NumVGPRsForWavesPerEU: 128
; AccumOffset: 128
; Occupancy: 4
; WaveLimiterHint : 0
; COMPUTE_PGM_RSRC2:SCRATCH_EN: 1
; COMPUTE_PGM_RSRC2:USER_SGPR: 2
; COMPUTE_PGM_RSRC2:TRAP_HANDLER: 0
; COMPUTE_PGM_RSRC2:TGID_X_EN: 1
; COMPUTE_PGM_RSRC2:TGID_Y_EN: 0
; COMPUTE_PGM_RSRC2:TGID_Z_EN: 0
; COMPUTE_PGM_RSRC2:TIDIG_COMP_CNT: 1
; COMPUTE_PGM_RSRC3_GFX90A:ACCUM_OFFSET: 31
; COMPUTE_PGM_RSRC3_GFX90A:TG_SPLIT: 0
	.section	.text._Z12wvSplitK_hf_I14__hip_bfloat16Li64ELi3ELi16ELi8ELi2ELi5EEviiiiiiPKT_S3_S3_PS1_ii,"axG",@progbits,_Z12wvSplitK_hf_I14__hip_bfloat16Li64ELi3ELi16ELi8ELi2ELi5EEviiiiiiPKT_S3_S3_PS1_ii,comdat
	.protected	_Z12wvSplitK_hf_I14__hip_bfloat16Li64ELi3ELi16ELi8ELi2ELi5EEviiiiiiPKT_S3_S3_PS1_ii ; -- Begin function _Z12wvSplitK_hf_I14__hip_bfloat16Li64ELi3ELi16ELi8ELi2ELi5EEviiiiiiPKT_S3_S3_PS1_ii
	.globl	_Z12wvSplitK_hf_I14__hip_bfloat16Li64ELi3ELi16ELi8ELi2ELi5EEviiiiiiPKT_S3_S3_PS1_ii
	.p2align	8
	.type	_Z12wvSplitK_hf_I14__hip_bfloat16Li64ELi3ELi16ELi8ELi2ELi5EEviiiiiiPKT_S3_S3_PS1_ii,@function
_Z12wvSplitK_hf_I14__hip_bfloat16Li64ELi3ELi16ELi8ELi2ELi5EEviiiiiiPKT_S3_S3_PS1_ii: ; @_Z12wvSplitK_hf_I14__hip_bfloat16Li64ELi3ELi16ELi8ELi2ELi5EEviiiiiiPKT_S3_S3_PS1_ii
; %bb.0:
	s_load_dwordx2 s[8:9], s[0:1], 0x38
	s_load_dwordx4 s[12:15], s[0:1], 0x0
	s_load_dwordx2 s[10:11], s[0:1], 0x10
	v_bfe_u32 v3, v0, 10, 10
	s_mov_b32 s4, 1
	s_waitcnt lgkmcnt(0)
	s_mul_i32 s2, s2, s8
	v_add_u32_e32 v1, s2, v3
	v_lshl_add_u32 v64, v1, 1, v1
	v_add_u32_e32 v1, 3, v64
	s_mov_b32 s6, s4
	v_cmp_gt_u32_e32 vcc, s15, v64
	v_cmp_le_u32_e64 s[2:3], s15, v1
	s_mov_b32 s5, s4
	v_mov_b32_e32 v62, s6
	s_and_b64 s[16:17], vcc, s[2:3]
	v_mov_b32_e32 v61, s5
	v_mov_b32_e32 v60, s4
	s_and_saveexec_b64 s[2:3], s[16:17]
	s_cbranch_execz .LBB300_6
; %bb.1:
	s_add_i32 s7, s15, -3
	v_mov_b32_e32 v62, s6
	v_cmp_ne_u32_e32 vcc, s7, v64
	v_mov_b32_e32 v61, s5
	v_mov_b32_e32 v60, s4
	s_and_saveexec_b64 s[16:17], vcc
	s_cbranch_execz .LBB300_5
; %bb.2:
	v_subrev_u32_e32 v1, s7, v64
	v_cmp_lt_u32_e32 vcc, 1, v1
	s_mov_b64 s[18:19], 0
	s_mov_b64 s[20:21], 0
	v_cndmask_b32_e32 v2, 1, v1, vcc
	s_mov_b32 s5, s4
	s_mov_b32 s6, s4
.LBB300_3:                              ; =>This Inner Loop Header: Depth=1
	s_cmp_lg_u32 s20, 2
	s_cselect_b32 s6, s6, 0
	s_cmp_lg_u32 s20, 1
	s_cselect_b32 s5, s5, 0
	;; [unrolled: 2-line block ×3, first 2 shown]
	s_add_u32 s20, s20, 1
	s_addc_u32 s21, s21, 0
	v_cmp_eq_u32_e32 vcc, s20, v2
	v_mov_b32_e32 v62, s6
	s_or_b64 s[18:19], vcc, s[18:19]
	v_mov_b32_e32 v61, s5
	v_mov_b32_e32 v60, s4
	s_andn2_b64 exec, exec, s[18:19]
	s_cbranch_execnz .LBB300_3
; %bb.4:
	s_or_b64 exec, exec, s[18:19]
	v_mov_b32_e32 v64, s7
.LBB300_5:
	s_or_b64 exec, exec, s[16:17]
.LBB300_6:
	s_or_b64 exec, exec, s[2:3]
	s_load_dwordx4 s[16:19], s[0:1], 0x20
	v_and_b32_e32 v2, 0x3ff, v0
	v_lshlrev_b32_e32 v4, 3, v2
	s_mul_i32 s2, s14, 5
	v_mov_b32_e32 v0, v4
	v_lshl_add_u32 v4, v3, 9, v4
	s_min_u32 s20, s2, 0x8000
	v_cmp_gt_u32_e32 vcc, s20, v4
	scratch_store_dwordx2 off, v[0:1], off offset:56 ; 8-byte Folded Spill
	s_and_saveexec_b64 s[2:3], vcc
	s_cbranch_execz .LBB300_9
; %bb.7:
	v_mov_b32_e32 v7, 0
	v_lshlrev_b32_e32 v6, 10, v3
	v_lshlrev_b32_e32 v8, 4, v2
	v_mov_b32_e32 v9, v7
	v_lshl_add_u64 v[0:1], v[6:7], 0, v[8:9]
	s_waitcnt lgkmcnt(0)
	v_lshl_add_u64 v[0:1], s[16:17], 0, v[0:1]
	v_add_u32_e32 v5, v6, v8
	s_mov_b64 s[4:5], 0
	s_mov_b64 s[6:7], 0x4000
.LBB300_8:                              ; =>This Inner Loop Header: Depth=1
	global_load_dwordx4 v[6:9], v[0:1], off
	v_add_u32_e32 v4, 0x2000, v4
	v_cmp_le_u32_e32 vcc, s20, v4
	v_lshl_add_u64 v[0:1], v[0:1], 0, s[6:7]
	s_or_b64 s[4:5], vcc, s[4:5]
	s_waitcnt vmcnt(0)
	ds_write_b128 v5, v[6:9]
	v_add_u32_e32 v5, 0x4000, v5
	s_andn2_b64 exec, exec, s[4:5]
	s_cbranch_execnz .LBB300_8
.LBB300_9:
	s_or_b64 exec, exec, s[2:3]
	v_cmp_gt_u32_e32 vcc, s8, v3
	v_cmp_gt_u32_e64 s[2:3], s15, v64
	s_and_b64 s[2:3], vcc, s[2:3]
	s_waitcnt lgkmcnt(0)
	s_barrier
	s_and_saveexec_b64 s[4:5], s[2:3]
	s_cbranch_execz .LBB300_160
; %bb.10:
	s_cmp_lg_u32 s12, 0
	v_cvt_f32_u32_e32 v0, s10
	s_cselect_b64 s[2:3], -1, 0
	s_add_i32 s33, s12, -8
	s_add_i32 s38, s15, -1
	s_cmp_lg_u64 s[18:19], 0
	s_cselect_b64 s[26:27], -1, 0
	s_abs_i32 s4, s11
	v_rcp_iflag_f32_e32 v0, v0
	v_cvt_f32_u32_e32 v1, s4
	s_sub_i32 s5, 0, s10
	s_load_dwordx2 s[20:21], s[0:1], 0x18
	s_load_dwordx2 s[22:23], s[0:1], 0x30
	v_mul_f32_e32 v0, 0x4f7ffffe, v0
	v_rcp_iflag_f32_e32 v1, v1
	v_cvt_u32_f32_e32 v0, v0
	s_add_i32 s40, s15, -3
	s_lshl_b32 s11, s14, 1
	v_mul_f32_e32 v1, 0x4f7ffffe, v1
	v_mul_lo_u32 v3, s5, v0
	v_cvt_u32_f32_e32 v1, v1
	v_mul_hi_u32 v3, v0, v3
	v_add_u32_e32 v0, v0, v3
	scratch_store_dword off, v0, off offset:112 ; 4-byte Folded Spill
	v_lshlrev_b32_e32 v0, 4, v2
	v_readfirstlane_b32 s6, v1
	scratch_store_dword off, v0, off offset:108 ; 4-byte Folded Spill
	scratch_load_dwordx2 v[0:1], off, off offset:56 ; 8-byte Folded Reload
	s_sub_i32 s5, 0, s4
	s_mul_i32 s5, s5, s6
	s_mul_hi_u32 s5, s6, s5
	s_add_i32 s6, s6, s5
	s_sub_i32 s5, 1, s4
	s_cmp_lt_u32 s4, 2
	s_cselect_b32 s5, s5, 1
	s_sub_i32 s7, s5, s4
	s_cmp_ge_u32 s5, s4
	s_cselect_b32 s41, s7, s5
	s_lshr_b32 s5, s6, 31
	s_mul_i32 s5, s5, s4
	s_sub_i32 s5, 2, s5
	s_sub_i32 s7, s5, s4
	s_cmp_ge_u32 s5, s4
	s_cselect_b32 s5, s7, s5
	s_sub_i32 s7, s5, s4
	s_cmp_ge_u32 s5, s4
	s_cselect_b32 s42, s7, s5
	s_mul_hi_u32 s5, s6, 3
	s_mul_i32 s5, s5, s4
	s_sub_i32 s5, 3, s5
	s_sub_i32 s7, s5, s4
	s_cmp_ge_u32 s5, s4
	s_cselect_b32 s5, s7, s5
	s_sub_i32 s7, s5, s4
	s_cmp_ge_u32 s5, s4
	s_cselect_b32 s43, s7, s5
	s_lshr_b32 s5, s6, 30
	s_mul_i32 s5, s5, s4
	s_sub_i32 s5, 4, s5
	s_sub_i32 s6, s5, s4
	s_cmp_ge_u32 s5, s4
	s_cselect_b32 s5, s6, s5
	s_sub_i32 s6, s5, s4
	s_cmp_ge_u32 s5, s4
	s_cselect_b32 s44, s6, s5
	s_lshl_b32 s45, s14, 2
	s_mul_i32 s39, s8, s9
	v_cmp_eq_u32_e64 s[0:1], 63, v2
	s_mov_b64 s[24:25], 0
	s_mul_i32 s39, s39, 3
	v_mov_b32_e32 v5, 0
	s_mul_i32 s41, s41, s10
	s_mul_i32 s42, s42, s10
	;; [unrolled: 1-line block ×5, first 2 shown]
	s_lshl_b32 s47, s14, 3
	s_mov_b32 s48, 0x7f800000
	s_mov_b32 s28, 0
	s_waitcnt vmcnt(0)
	v_add_u32_e32 v125, s11, v0
	v_mad_u64_u32 v[2:3], s[4:5], s14, 3, v[0:1]
	v_add_u32_e32 v127, s45, v0
	v_add_u32_e32 v7, s14, v0
	v_cndmask_b32_e64 v0, 0, 1, s[2:3]
	v_cmp_ne_u32_e64 s[2:3], 1, v0
	s_movk_i32 s14, 0x7fff
	scratch_store_dwordx2 off, v[2:3], off offset:64 ; 8-byte Folded Spill
	s_branch .LBB300_13
.LBB300_11:                             ;   in Loop: Header=BB300_13 Depth=1
	s_or_b64 exec, exec, s[8:9]
	v_mov_b32_e32 v64, s40
.LBB300_12:                             ;   in Loop: Header=BB300_13 Depth=1
	s_or_b64 exec, exec, s[6:7]
	v_cmp_le_u32_e32 vcc, s15, v64
	s_or_b64 s[24:25], vcc, s[24:25]
	s_andn2_b64 exec, exec, s[24:25]
	s_cbranch_execz .LBB300_160
.LBB300_13:                             ; =>This Loop Header: Depth=1
                                        ;     Child Loop BB300_15 Depth 2
                                        ;     Child Loop BB300_158 Depth 2
	s_and_b64 vcc, exec, s[2:3]
	s_waitcnt vmcnt(0)
	v_add_u32_e32 v68, 1, v64
	v_add_u32_e32 v66, 2, v64
	v_mov_b32_e32 v11, v5
	v_mov_b32_e32 v10, v5
	;; [unrolled: 1-line block ×60, first 2 shown]
	s_cbranch_vccnz .LBB300_62
; %bb.14:                               ;   in Loop: Header=BB300_13 Depth=1
	scratch_load_dword v6, off, off offset:108 ; 4-byte Folded Reload
	v_mov_b32_e32 v0, v64
	scratch_store_dwordx2 off, v[0:1], off offset:84 ; 8-byte Folded Spill
	v_min_u32_e32 v0, s38, v64
	v_mul_lo_u32 v4, v0, s13
	v_mov_b32_e32 v0, v68
	scratch_store_dwordx2 off, v[0:1], off offset:100 ; 8-byte Folded Spill
	v_min_u32_e32 v0, s38, v68
	v_mov_b32_e32 v2, v66
	v_mul_lo_u32 v0, v0, s13
	v_mov_b32_e32 v1, v5
	scratch_store_dwordx2 off, v[2:3], off offset:92 ; 8-byte Folded Spill
	v_min_u32_e32 v2, s38, v66
	v_mul_lo_u32 v2, v2, s13
	v_mov_b32_e32 v3, v5
	v_lshlrev_b64 v[0:1], 1, v[0:1]
	v_mov_b32_e32 v24, 0
	v_lshlrev_b64 v[8:9], 1, v[4:5]
	scratch_store_dwordx2 off, v[0:1], off offset:40 ; 8-byte Folded Spill
	v_lshlrev_b64 v[0:1], 1, v[2:3]
	s_mov_b32 s4, 0
	scratch_store_dwordx2 off, v[8:9], off offset:32 ; 8-byte Folded Spill
	scratch_store_dwordx2 off, v[0:1], off offset:48 ; 8-byte Folded Spill
	s_mov_b32 s34, 0
	v_mov_b32_e32 v25, v24
	v_mov_b32_e32 v26, v24
	;; [unrolled: 1-line block ×55, first 2 shown]
	scratch_store_dwordx3 off, v[60:62], off offset:72 ; 12-byte Folded Spill
	scratch_store_dwordx4 off, v[0:3], off offset:16 ; 16-byte Folded Spill
	scratch_store_dwordx4 off, v[0:3], off  ; 16-byte Folded Spill
.LBB300_15:                             ;   Parent Loop BB300_13 Depth=1
                                        ; =>  This Inner Loop Header: Depth=2
	scratch_load_dwordx2 v[0:1], off, off offset:56 ; 8-byte Folded Reload
	s_nop 0
	scratch_load_dwordx2 v[80:81], off, off offset:40 ; 8-byte Folded Reload
	scratch_load_dwordx2 v[72:73], off, off offset:32 ; 8-byte Folded Reload
	s_mov_b32 s5, s4
	v_mov_b64_e32 v[84:85], s[4:5]
	v_mov_b32_e32 v113, 0
	v_mov_b32_e32 v112, 0
	;; [unrolled: 1-line block ×4, first 2 shown]
	v_mov_b64_e32 v[86:87], s[4:5]
	v_mov_b64_e32 v[104:105], s[4:5]
	;; [unrolled: 1-line block ×17, first 2 shown]
	s_waitcnt vmcnt(2)
	v_add_u32_e32 v0, s34, v0
	v_min_u32_e32 v4, s33, v0
	s_waitcnt lgkmcnt(0)
	v_lshl_add_u64 v[2:3], v[4:5], 1, s[20:21]
	s_waitcnt vmcnt(0)
	v_lshl_add_u64 v[60:61], v[2:3], 0, v[72:73]
	v_lshl_add_u64 v[62:63], v[2:3], 0, v[80:81]
	global_load_dwordx4 v[68:71], v[60:61], off nt
	global_load_dwordx4 v[64:67], v[62:63], off nt
	scratch_load_dwordx2 v[82:83], off, off offset:48 ; 8-byte Folded Reload
	v_add_u32_e32 v124, 0x200, v0
	v_min_u32_e32 v4, s33, v124
	v_lshl_add_u64 v[60:61], v[4:5], 1, s[20:21]
	v_lshl_add_u64 v[62:63], v[60:61], 0, v[72:73]
	v_cmp_gt_u32_e32 vcc, s12, v0
	s_waitcnt vmcnt(0)
	v_lshl_add_u64 v[2:3], v[2:3], 0, v[82:83]
	global_load_dwordx4 v[76:79], v[2:3], off nt
	global_load_dwordx4 v[72:75], v[62:63], off nt
	v_lshl_add_u64 v[2:3], v[60:61], 0, v[80:81]
	v_lshl_add_u64 v[60:61], v[60:61], 0, v[82:83]
	global_load_dwordx4 v[80:83], v[2:3], off nt
	s_nop 0
	global_load_dwordx4 v[60:63], v[60:61], off nt
	s_and_saveexec_b64 s[6:7], vcc
	s_cbranch_execz .LBB300_59
; %bb.16:                               ;   in Loop: Header=BB300_15 Depth=2
	v_cmp_lt_u32_e32 vcc, s14, v0
                                        ; implicit-def: $vgpr84_vgpr85
	s_and_saveexec_b64 s[8:9], vcc
	s_xor_b64 s[8:9], exec, s[8:9]
	s_cbranch_execz .LBB300_18
; %bb.17:                               ;   in Loop: Header=BB300_15 Depth=2
	v_mov_b32_e32 v1, v5
	v_lshl_add_u64 v[0:1], v[0:1], 1, s[16:17]
	global_load_dwordx4 v[84:87], v[0:1], off
.LBB300_18:                             ;   in Loop: Header=BB300_15 Depth=2
	s_andn2_saveexec_b64 s[8:9], s[8:9]
	s_cbranch_execz .LBB300_20
; %bb.19:                               ;   in Loop: Header=BB300_15 Depth=2
	s_waitcnt vmcnt(0)
	ds_read_b128 v[84:87], v6
.LBB300_20:                             ;   in Loop: Header=BB300_15 Depth=2
	s_or_b64 exec, exec, s[8:9]
	v_add_u32_e32 v4, s34, v7
	v_cmp_lt_u32_e32 vcc, s14, v4
                                        ; implicit-def: $vgpr88_vgpr89
	s_and_saveexec_b64 s[8:9], vcc
	s_xor_b64 s[8:9], exec, s[8:9]
	s_cbranch_execz .LBB300_22
; %bb.21:                               ;   in Loop: Header=BB300_15 Depth=2
	v_lshl_add_u64 v[0:1], v[4:5], 1, s[16:17]
	global_load_dwordx4 v[88:91], v[0:1], off
.LBB300_22:                             ;   in Loop: Header=BB300_15 Depth=2
	s_andn2_saveexec_b64 s[8:9], s[8:9]
	s_cbranch_execz .LBB300_24
; %bb.23:                               ;   in Loop: Header=BB300_15 Depth=2
	v_add_u32_e32 v0, s11, v6
	s_waitcnt vmcnt(0)
	ds_read_b128 v[88:91], v0
.LBB300_24:                             ;   in Loop: Header=BB300_15 Depth=2
	s_or_b64 exec, exec, s[8:9]
	v_add_u32_e32 v0, s34, v125
	v_cmp_lt_u32_e32 vcc, s14, v0
                                        ; implicit-def: $vgpr92_vgpr93
	s_and_saveexec_b64 s[8:9], vcc
	s_xor_b64 s[8:9], exec, s[8:9]
	s_cbranch_execz .LBB300_26
; %bb.25:                               ;   in Loop: Header=BB300_15 Depth=2
	v_mov_b32_e32 v1, v5
	v_lshl_add_u64 v[2:3], v[0:1], 1, s[16:17]
	global_load_dwordx4 v[92:95], v[2:3], off
.LBB300_26:                             ;   in Loop: Header=BB300_15 Depth=2
	s_andn2_saveexec_b64 s[8:9], s[8:9]
	s_cbranch_execz .LBB300_28
; %bb.27:                               ;   in Loop: Header=BB300_15 Depth=2
	v_add_u32_e32 v1, s45, v6
	s_waitcnt vmcnt(0)
	ds_read2_b32 v[92:93], v1 offset1:1
	ds_read2_b32 v[94:95], v1 offset0:2 offset1:3
.LBB300_28:                             ;   in Loop: Header=BB300_15 Depth=2
	s_or_b64 exec, exec, s[8:9]
	scratch_load_dwordx2 v[2:3], off, off offset:64 ; 8-byte Folded Reload
                                        ; implicit-def: $vgpr96_vgpr97
	s_waitcnt vmcnt(0)
	v_add_u32_e32 v2, s34, v2
	v_cmp_lt_u32_e32 vcc, s14, v2
	s_and_saveexec_b64 s[8:9], vcc
	s_xor_b64 s[8:9], exec, s[8:9]
	s_cbranch_execz .LBB300_30
; %bb.29:                               ;   in Loop: Header=BB300_15 Depth=2
	v_mov_b32_e32 v3, v5
	v_lshl_add_u64 v[96:97], v[2:3], 1, s[16:17]
	global_load_dwordx4 v[96:99], v[96:97], off
.LBB300_30:                             ;   in Loop: Header=BB300_15 Depth=2
	s_andn2_saveexec_b64 s[8:9], s[8:9]
	s_cbranch_execz .LBB300_32
; %bb.31:                               ;   in Loop: Header=BB300_15 Depth=2
	v_add_u32_e32 v1, s46, v6
	s_waitcnt vmcnt(0)
	ds_read_b128 v[96:99], v1
.LBB300_32:                             ;   in Loop: Header=BB300_15 Depth=2
	s_or_b64 exec, exec, s[8:9]
	v_add_u32_e32 v126, s34, v127
	v_cmp_lt_u32_e32 vcc, s14, v126
                                        ; implicit-def: $vgpr100_vgpr101
	s_and_saveexec_b64 s[8:9], vcc
	s_xor_b64 s[8:9], exec, s[8:9]
	s_cbranch_execz .LBB300_34
; %bb.33:                               ;   in Loop: Header=BB300_15 Depth=2
	v_mov_b32_e32 v1, v127
	v_mov_b32_e32 v127, v5
	v_lshl_add_u64 v[100:101], v[126:127], 1, s[16:17]
	global_load_dwordx4 v[100:103], v[100:101], off
	v_mov_b32_e32 v127, v1
.LBB300_34:                             ;   in Loop: Header=BB300_15 Depth=2
	s_andn2_saveexec_b64 s[8:9], s[8:9]
	s_cbranch_execz .LBB300_36
; %bb.35:                               ;   in Loop: Header=BB300_15 Depth=2
	v_add_u32_e32 v1, s47, v6
	s_waitcnt vmcnt(0)
	ds_read2_b64 v[100:103], v1 offset1:1
.LBB300_36:                             ;   in Loop: Header=BB300_15 Depth=2
	s_or_b64 exec, exec, s[8:9]
	s_mov_b32 s29, s28
	v_cmp_gt_u32_e32 vcc, s12, v124
	v_mov_b32_e32 v113, 0
	v_mov_b64_e32 v[104:105], s[28:29]
	v_mov_b32_e32 v112, 0
	v_mov_b32_e32 v115, 0
	;; [unrolled: 1-line block ×3, first 2 shown]
	v_mov_b64_e32 v[106:107], s[28:29]
	v_mov_b64_e32 v[108:109], s[28:29]
	;; [unrolled: 1-line block ×7, first 2 shown]
	s_and_saveexec_b64 s[8:9], vcc
	s_cbranch_execz .LBB300_58
; %bb.37:                               ;   in Loop: Header=BB300_15 Depth=2
	v_cmp_lt_u32_e32 vcc, s14, v124
                                        ; implicit-def: $vgpr104_vgpr105
	s_and_saveexec_b64 s[30:31], vcc
	s_xor_b64 s[30:31], exec, s[30:31]
	s_cbranch_execz .LBB300_39
; %bb.38:                               ;   in Loop: Header=BB300_15 Depth=2
	v_mov_b32_e32 v1, v125
	v_mov_b32_e32 v125, v5
	v_lshl_add_u64 v[104:105], v[124:125], 1, s[16:17]
	global_load_dwordx4 v[104:107], v[104:105], off
	v_mov_b32_e32 v125, v1
.LBB300_39:                             ;   in Loop: Header=BB300_15 Depth=2
	s_andn2_saveexec_b64 s[30:31], s[30:31]
	s_cbranch_execz .LBB300_41
; %bb.40:                               ;   in Loop: Header=BB300_15 Depth=2
	s_waitcnt vmcnt(0)
	ds_read_b128 v[104:107], v6 offset:1024
.LBB300_41:                             ;   in Loop: Header=BB300_15 Depth=2
	s_or_b64 exec, exec, s[30:31]
	v_add_u32_e32 v4, 0x200, v4
	v_cmp_lt_u32_e32 vcc, s14, v4
                                        ; implicit-def: $vgpr108_vgpr109
	s_and_saveexec_b64 s[30:31], vcc
	s_xor_b64 s[30:31], exec, s[30:31]
	s_cbranch_execz .LBB300_43
; %bb.42:                               ;   in Loop: Header=BB300_15 Depth=2
	v_lshl_add_u64 v[108:109], v[4:5], 1, s[16:17]
	global_load_dwordx4 v[108:111], v[108:109], off
.LBB300_43:                             ;   in Loop: Header=BB300_15 Depth=2
	s_andn2_saveexec_b64 s[30:31], s[30:31]
	s_cbranch_execz .LBB300_45
; %bb.44:                               ;   in Loop: Header=BB300_15 Depth=2
	v_add_u32_e32 v1, s11, v6
	s_waitcnt vmcnt(0)
	ds_read_b128 v[108:111], v1 offset:1024
.LBB300_45:                             ;   in Loop: Header=BB300_15 Depth=2
	s_or_b64 exec, exec, s[30:31]
	v_add_u32_e32 v4, 0x200, v0
	v_cmp_lt_u32_e32 vcc, s14, v4
                                        ; implicit-def: $vgpr116_vgpr117
	s_and_saveexec_b64 s[30:31], vcc
	s_xor_b64 s[30:31], exec, s[30:31]
	s_cbranch_execz .LBB300_47
; %bb.46:                               ;   in Loop: Header=BB300_15 Depth=2
	v_lshl_add_u64 v[0:1], v[4:5], 1, s[16:17]
	global_load_dwordx4 v[116:119], v[0:1], off
.LBB300_47:                             ;   in Loop: Header=BB300_15 Depth=2
	s_andn2_saveexec_b64 s[30:31], s[30:31]
	s_cbranch_execz .LBB300_49
; %bb.48:                               ;   in Loop: Header=BB300_15 Depth=2
	v_add_u32_e32 v0, s45, v6
	v_add_u32_e32 v1, 0x400, v0
	;; [unrolled: 1-line block ×3, first 2 shown]
	s_waitcnt vmcnt(0)
	ds_read2_b32 v[116:117], v1 offset1:1
	ds_read2_b32 v[118:119], v0 offset1:1
.LBB300_49:                             ;   in Loop: Header=BB300_15 Depth=2
	s_or_b64 exec, exec, s[30:31]
	v_add_u32_e32 v4, 0x200, v2
	v_cmp_lt_u32_e32 vcc, s14, v4
                                        ; implicit-def: $vgpr120_vgpr121
	s_and_saveexec_b64 s[30:31], vcc
	s_xor_b64 s[30:31], exec, s[30:31]
	s_cbranch_execz .LBB300_51
; %bb.50:                               ;   in Loop: Header=BB300_15 Depth=2
	v_lshl_add_u64 v[0:1], v[4:5], 1, s[16:17]
	global_load_dwordx4 v[120:123], v[0:1], off
.LBB300_51:                             ;   in Loop: Header=BB300_15 Depth=2
	s_andn2_saveexec_b64 s[30:31], s[30:31]
	s_cbranch_execz .LBB300_53
; %bb.52:                               ;   in Loop: Header=BB300_15 Depth=2
	v_add_u32_e32 v0, s46, v6
	s_waitcnt vmcnt(0)
	ds_read_b128 v[120:123], v0 offset:1024
.LBB300_53:                             ;   in Loop: Header=BB300_15 Depth=2
	s_or_b64 exec, exec, s[30:31]
	v_add_u32_e32 v4, 0x200, v126
	v_cmp_lt_u32_e32 vcc, s14, v4
                                        ; implicit-def: $vgpr113
	s_and_saveexec_b64 s[30:31], vcc
	s_xor_b64 s[30:31], exec, s[30:31]
	s_cbranch_execz .LBB300_55
; %bb.54:                               ;   in Loop: Header=BB300_15 Depth=2
	v_lshl_add_u64 v[0:1], v[4:5], 1, s[16:17]
	global_load_dwordx4 v[112:115], v[0:1], off
.LBB300_55:                             ;   in Loop: Header=BB300_15 Depth=2
	s_andn2_saveexec_b64 s[30:31], s[30:31]
	s_cbranch_execz .LBB300_57
; %bb.56:                               ;   in Loop: Header=BB300_15 Depth=2
	v_add_u32_e32 v0, s47, v6
	s_waitcnt vmcnt(0)
	ds_read2_b64 v[112:115], v0 offset0:128 offset1:129
.LBB300_57:                             ;   in Loop: Header=BB300_15 Depth=2
	s_or_b64 exec, exec, s[30:31]
.LBB300_58:                             ;   in Loop: Header=BB300_15 Depth=2
	s_or_b64 exec, exec, s[8:9]
.LBB300_59:                             ;   in Loop: Header=BB300_15 Depth=2
	s_or_b64 exec, exec, s[6:7]
	s_waitcnt lgkmcnt(0)
	v_mfma_f32_4x4x4_16b_bf16 v[0:3], v[84:85], v[68:69], v[56:59]
	s_addk_i32 s34, 0x400
	v_mfma_f32_4x4x4_16b_bf16 v[52:55], v[84:85], v[64:65], v[52:55]
	v_add_u32_e32 v6, 0x800, v6
	v_mfma_f32_4x4x4_16b_bf16 v[0:3], v[86:87], v[70:71], v[0:3]
	s_cmp_ge_u32 s34, s12
	v_mfma_f32_4x4x4_16b_bf16 v[52:55], v[86:87], v[66:67], v[52:55]
	s_waitcnt vmcnt(3)
	v_mfma_f32_4x4x4_16b_bf16 v[48:51], v[84:85], v[76:77], v[48:51]
	s_waitcnt vmcnt(0)
	v_mfma_f32_4x4x4_16b_bf16 v[0:3], v[104:105], v[72:73], v[0:3]
	v_mfma_f32_4x4x4_16b_bf16 v[48:51], v[86:87], v[78:79], v[48:51]
	s_nop 0
	v_mfma_f32_4x4x4_16b_bf16 v[56:59], v[106:107], v[74:75], v[0:3]
	v_mfma_f32_4x4x4_16b_bf16 v[0:3], v[104:105], v[80:81], v[52:55]
	v_mfma_f32_4x4x4_16b_bf16 v[40:43], v[88:89], v[64:65], v[40:43]
	s_nop 0
	v_mfma_f32_4x4x4_16b_bf16 v[52:55], v[106:107], v[82:83], v[0:3]
	v_mfma_f32_4x4x4_16b_bf16 v[0:3], v[104:105], v[60:61], v[48:51]
	v_mfma_f32_4x4x4_16b_bf16 v[40:43], v[90:91], v[66:67], v[40:43]
	s_nop 0
	v_mfma_f32_4x4x4_16b_bf16 v[48:51], v[106:107], v[62:63], v[0:3]
	v_mfma_f32_4x4x4_16b_bf16 v[0:3], v[88:89], v[68:69], v[44:47]
	v_mfma_f32_4x4x4_16b_bf16 v[36:39], v[88:89], v[76:77], v[36:39]
	s_nop 0
	v_mfma_f32_4x4x4_16b_bf16 v[0:3], v[90:91], v[70:71], v[0:3]
	v_mfma_f32_4x4x4_16b_bf16 v[36:39], v[90:91], v[78:79], v[36:39]
	s_nop 0
	v_mfma_f32_4x4x4_16b_bf16 v[0:3], v[108:109], v[72:73], v[0:3]
	v_mfma_f32_4x4x4_16b_bf16 v[28:31], v[92:93], v[64:65], v[28:31]
	s_nop 0
	v_mfma_f32_4x4x4_16b_bf16 v[44:47], v[110:111], v[74:75], v[0:3]
	v_mfma_f32_4x4x4_16b_bf16 v[0:3], v[108:109], v[80:81], v[40:43]
	v_mfma_f32_4x4x4_16b_bf16 v[28:31], v[94:95], v[66:67], v[28:31]
	s_nop 0
	v_mfma_f32_4x4x4_16b_bf16 v[40:43], v[110:111], v[82:83], v[0:3]
	v_mfma_f32_4x4x4_16b_bf16 v[0:3], v[108:109], v[60:61], v[36:39]
	v_mfma_f32_4x4x4_16b_bf16 v[24:27], v[92:93], v[76:77], v[24:27]
	s_nop 0
	v_mfma_f32_4x4x4_16b_bf16 v[36:39], v[110:111], v[62:63], v[0:3]
	v_mfma_f32_4x4x4_16b_bf16 v[0:3], v[92:93], v[68:69], v[32:35]
	v_mfma_f32_4x4x4_16b_bf16 v[24:27], v[94:95], v[78:79], v[24:27]
	s_nop 0
	v_mfma_f32_4x4x4_16b_bf16 v[0:3], v[94:95], v[70:71], v[0:3]
	v_mfma_f32_4x4x4_16b_bf16 v[16:19], v[96:97], v[64:65], v[16:19]
	s_nop 0
	;; [unrolled: 18-line block ×3, first 2 shown]
	v_mfma_f32_4x4x4_16b_bf16 v[0:3], v[120:121], v[72:73], v[0:3]
	s_nop 1
	v_mfma_f32_4x4x4_16b_bf16 v[20:23], v[122:123], v[74:75], v[0:3]
	v_mfma_f32_4x4x4_16b_bf16 v[0:3], v[120:121], v[80:81], v[16:19]
	s_nop 1
	v_mfma_f32_4x4x4_16b_bf16 v[16:19], v[122:123], v[82:83], v[0:3]
	;; [unrolled: 3-line block ×3, first 2 shown]
	s_nop 1
	scratch_load_dwordx4 v[0:3], off, off offset:16 ; 16-byte Folded Reload
	s_waitcnt vmcnt(0)
	v_mfma_f32_4x4x4_16b_bf16 v[0:3], v[100:101], v[68:69], v[0:3]
	s_nop 1
	v_mfma_f32_4x4x4_16b_bf16 v[0:3], v[102:103], v[70:71], v[0:3]
	scratch_load_dwordx4 v[68:71], off, off ; 16-byte Folded Reload
	s_waitcnt vmcnt(0)
	v_mfma_f32_4x4x4_16b_bf16 v[68:71], v[100:101], v[64:65], v[68:71]
	s_nop 1
	v_mfma_f32_4x4x4_16b_bf16 v[64:67], v[102:103], v[66:67], v[68:71]
	v_mfma_f32_4x4x4_16b_bf16 v[0:3], v[112:113], v[72:73], v[0:3]
	s_nop 1
	v_mfma_f32_4x4x4_16b_bf16 v[74:77], v[114:115], v[74:75], v[0:3]
	;; [unrolled: 3-line block ×4, first 2 shown]
	s_cbranch_scc1 .LBB300_61
; %bb.60:                               ;   in Loop: Header=BB300_15 Depth=2
	scratch_store_dwordx4 off, v[74:77], off offset:16 ; 16-byte Folded Spill
	scratch_store_dwordx4 off, v[70:73], off ; 16-byte Folded Spill
	s_branch .LBB300_15
.LBB300_61:                             ;   in Loop: Header=BB300_13 Depth=1
	scratch_load_dwordx3 v[60:62], off, off offset:72 ; 12-byte Folded Reload
	scratch_load_dwordx2 v[64:65], off, off offset:84 ; 8-byte Folded Reload
	scratch_load_dwordx2 v[66:67], off, off offset:92 ; 8-byte Folded Reload
	;; [unrolled: 1-line block ×3, first 2 shown]
.LBB300_62:                             ;   in Loop: Header=BB300_13 Depth=1
	v_cvt_i32_f32_e32 v0, v57
	v_cvt_i32_f32_e32 v1, v58
	;; [unrolled: 1-line block ×4, first 2 shown]
	v_cvt_f32_i32_dpp v0, v0 row_shl:1 row_mask:0xf bank_mask:0xf bound_ctrl:1
	v_cvt_f32_i32_dpp v1, v1 row_shl:2 row_mask:0xf bank_mask:0xf bound_ctrl:1
	;; [unrolled: 1-line block ×3, first 2 shown]
	v_cvt_i32_f32_e32 v4, v54
	v_add_f32_e32 v0, v56, v0
	v_add_f32_e32 v0, v0, v1
	;; [unrolled: 1-line block ×3, first 2 shown]
	v_cvt_i32_f32_e32 v1, v0
	v_cvt_i32_f32_e32 v2, v55
	v_cvt_f32_i32_dpp v3, v3 row_shl:1 row_mask:0xf bank_mask:0xf bound_ctrl:1
	v_cvt_f32_i32_dpp v4, v4 row_shl:2 row_mask:0xf bank_mask:0xf bound_ctrl:1
	;; [unrolled: 1-line block ×4, first 2 shown]
	v_add_f32_e32 v3, v52, v3
	v_add_f32_e32 v3, v3, v4
	;; [unrolled: 1-line block ×3, first 2 shown]
	v_cvt_i32_f32_e32 v1, v0
	v_add_f32_e32 v2, v3, v2
	v_cvt_i32_f32_e32 v3, v2
	v_cvt_i32_f32_e32 v6, v49
	v_cvt_f32_i32_dpp v1, v1 row_shl:8 row_mask:0xf bank_mask:0xf bound_ctrl:1
	v_cvt_i32_f32_e32 v4, v50
	v_cvt_f32_i32_dpp v3, v3 row_shl:4 row_mask:0xf bank_mask:0xf bound_ctrl:1
	v_cvt_i32_f32_e32 v49, v51
	v_add_f32_e32 v0, v0, v1
	v_cvt_i32_f32_e32 v0, v0
	v_add_f32_e32 v2, v2, v3
	v_cvt_i32_f32_e32 v3, v2
	v_cvt_f32_i32_dpp v1, v6 row_shl:1 row_mask:0xf bank_mask:0xf bound_ctrl:1
	v_cvt_f32_i32_dpp v0, v0 row_shr:15 row_mask:0xf bank_mask:0xf bound_ctrl:1
	v_cvt_f32_i32_dpp v4, v4 row_shl:2 row_mask:0xf bank_mask:0xf bound_ctrl:1
	v_cvt_f32_i32_dpp v6, v49 row_shl:3 row_mask:0xf bank_mask:0xf bound_ctrl:1
	;; [unrolled: 1-line block ×3, first 2 shown]
	v_cvt_i32_f32_e32 v49, v0
	v_add_f32_e32 v1, v48, v1
	v_add_f32_e32 v1, v1, v4
	;; [unrolled: 1-line block ×3, first 2 shown]
	v_cvt_f32_i32_dpp v3, v49 row_bcast:15 row_mask:0xf bank_mask:0xf bound_ctrl:1
	v_cvt_i32_f32_e32 v2, v2
	v_add_f32_e32 v1, v1, v6
	v_cvt_i32_f32_e32 v4, v1
	v_add_f32_e32 v48, v0, v3
	v_cvt_f32_i32_dpp v0, v2 row_shr:15 row_mask:0xf bank_mask:0xf bound_ctrl:1
	v_cvt_i32_f32_e32 v2, v48
	v_cvt_f32_i32_dpp v3, v4 row_shl:4 row_mask:0xf bank_mask:0xf bound_ctrl:1
	v_cvt_i32_f32_e32 v6, v47
	v_cvt_i32_f32_e32 v4, v0
	v_mov_b32_dpp v49, v2 row_bcast:31 row_mask:0xf bank_mask:0xf bound_ctrl:1
	v_cvt_i32_f32_e32 v2, v45
	v_add_f32_e32 v1, v1, v3
	v_cvt_i32_f32_e32 v3, v46
	v_cvt_f32_i32_dpp v6, v6 row_shl:3 row_mask:0xf bank_mask:0xf bound_ctrl:1
	v_cvt_f32_i32_dpp v2, v2 row_shl:1 row_mask:0xf bank_mask:0xf bound_ctrl:1
	v_cvt_f32_i32_dpp v4, v4 row_bcast:15 row_mask:0xf bank_mask:0xf bound_ctrl:1
	v_cvt_f32_i32_dpp v3, v3 row_shl:2 row_mask:0xf bank_mask:0xf bound_ctrl:1
	v_cvt_i32_f32_e32 v45, v1
	v_add_f32_e32 v2, v44, v2
	v_add_f32_e32 v44, v0, v4
	;; [unrolled: 1-line block ×4, first 2 shown]
	v_cvt_i32_f32_e32 v3, v2
	v_cvt_i32_f32_e32 v4, v42
	;; [unrolled: 1-line block ×3, first 2 shown]
	v_cvt_f32_i32_dpp v45, v45 row_shl:8 row_mask:0xf bank_mask:0xf bound_ctrl:1
	v_cvt_f32_i32_dpp v3, v3 row_shl:4 row_mask:0xf bank_mask:0xf bound_ctrl:1
	;; [unrolled: 1-line block ×4, first 2 shown]
	v_add_f32_e32 v1, v1, v45
	v_add_f32_e32 v2, v2, v3
	v_cvt_i32_f32_e32 v3, v41
	v_cvt_i32_f32_e32 v1, v1
	;; [unrolled: 1-line block ×4, first 2 shown]
	v_cvt_f32_i32_dpp v3, v3 row_shl:1 row_mask:0xf bank_mask:0xf bound_ctrl:1
	v_cvt_f32_i32_dpp v1, v1 row_shr:15 row_mask:0xf bank_mask:0xf bound_ctrl:1
	v_cvt_f32_i32_dpp v41, v41 row_shl:8 row_mask:0xf bank_mask:0xf bound_ctrl:1
	v_add_f32_e32 v3, v40, v3
	v_add_f32_e32 v3, v3, v4
	;; [unrolled: 1-line block ×3, first 2 shown]
	v_cvt_i32_f32_e32 v4, v3
	v_cvt_i32_f32_e32 v6, v1
	v_add_f32_e32 v2, v2, v41
	v_mov_b32_dpp v41, v0 row_bcast:31 row_mask:0xf bank_mask:0xf bound_ctrl:1
	v_cvt_f32_i32_dpp v4, v4 row_shl:4 row_mask:0xf bank_mask:0xf bound_ctrl:1
	v_cvt_f32_i32_dpp v0, v6 row_bcast:15 row_mask:0xf bank_mask:0xf bound_ctrl:1
	v_cvt_i32_f32_e32 v6, v37
	v_cvt_i32_f32_e32 v37, v38
	v_add_f32_e32 v3, v3, v4
	v_cvt_i32_f32_e32 v4, v3
	v_cvt_i32_f32_e32 v38, v39
	v_add_f32_e32 v40, v1, v0
	v_cvt_i32_f32_e32 v0, v40
	v_cvt_f32_i32_dpp v4, v4 row_shl:8 row_mask:0xf bank_mask:0xf bound_ctrl:1
	v_cvt_i32_f32_e32 v2, v2
	v_add_f32_e32 v3, v3, v4
	v_cvt_f32_i32_dpp v4, v6 row_shl:1 row_mask:0xf bank_mask:0xf bound_ctrl:1
	v_cvt_f32_i32_dpp v6, v37 row_shl:2 row_mask:0xf bank_mask:0xf bound_ctrl:1
	;; [unrolled: 1-line block ×3, first 2 shown]
	v_cvt_i32_f32_e32 v3, v3
	v_add_f32_e32 v4, v36, v4
	v_add_f32_e32 v4, v4, v6
	;; [unrolled: 1-line block ×3, first 2 shown]
	v_cvt_i32_f32_e32 v6, v4
	v_mov_b32_dpp v37, v0 row_bcast:31 row_mask:0xf bank_mask:0xf bound_ctrl:1
	v_cvt_f32_i32_dpp v0, v3 row_shr:15 row_mask:0xf bank_mask:0xf bound_ctrl:1
	v_cvt_f32_i32_dpp v2, v2 row_shr:15 row_mask:0xf bank_mask:0xf bound_ctrl:1
	v_cvt_f32_i32_dpp v3, v6 row_shl:4 row_mask:0xf bank_mask:0xf bound_ctrl:1
	v_cvt_i32_f32_e32 v6, v34
	v_cvt_i32_f32_e32 v1, v2
	v_add_f32_e32 v3, v4, v3
	v_cvt_i32_f32_e32 v4, v33
	v_cvt_i32_f32_e32 v33, v35
	v_cvt_f32_i32_dpp v1, v1 row_bcast:15 row_mask:0xf bank_mask:0xf bound_ctrl:1
	v_cvt_i32_f32_e32 v34, v3
	v_cvt_f32_i32_dpp v4, v4 row_shl:1 row_mask:0xf bank_mask:0xf bound_ctrl:1
	v_cvt_f32_i32_dpp v6, v6 row_shl:2 row_mask:0xf bank_mask:0xf bound_ctrl:1
	;; [unrolled: 1-line block ×3, first 2 shown]
	v_add_f32_e32 v36, v2, v1
	v_add_f32_e32 v4, v32, v4
	v_cvt_i32_f32_e32 v2, v0
	v_cvt_f32_i32_dpp v34, v34 row_shl:8 row_mask:0xf bank_mask:0xf bound_ctrl:1
	v_add_f32_e32 v4, v4, v6
	v_add_f32_e32 v4, v4, v33
	v_cvt_i32_f32_e32 v6, v4
	v_cvt_f32_i32_dpp v2, v2 row_bcast:15 row_mask:0xf bank_mask:0xf bound_ctrl:1
	v_add_f32_e32 v3, v3, v34
	v_cvt_i32_f32_e32 v3, v3
	v_cvt_i32_f32_e32 v1, v36
	v_cvt_f32_i32_dpp v6, v6 row_shl:4 row_mask:0xf bank_mask:0xf bound_ctrl:1
	v_add_f32_e32 v32, v0, v2
	v_cvt_i32_f32_e32 v2, v29
	v_cvt_f32_i32_dpp v0, v3 row_shr:15 row_mask:0xf bank_mask:0xf bound_ctrl:1
	v_cvt_i32_f32_e32 v3, v30
	v_mov_b32_dpp v33, v1 row_bcast:31 row_mask:0xf bank_mask:0xf bound_ctrl:1
	v_add_f32_e32 v1, v4, v6
	v_cvt_i32_f32_e32 v4, v31
	v_cvt_f32_i32_dpp v2, v2 row_shl:1 row_mask:0xf bank_mask:0xf bound_ctrl:1
	v_cvt_f32_i32_dpp v3, v3 row_shl:2 row_mask:0xf bank_mask:0xf bound_ctrl:1
	v_cvt_i32_f32_e32 v6, v1
	v_cvt_f32_i32_dpp v4, v4 row_shl:3 row_mask:0xf bank_mask:0xf bound_ctrl:1
	v_add_f32_e32 v2, v28, v2
	v_add_f32_e32 v2, v2, v3
	v_cvt_f32_i32_dpp v6, v6 row_shl:8 row_mask:0xf bank_mask:0xf bound_ctrl:1
	v_add_f32_e32 v2, v2, v4
	v_cvt_i32_f32_e32 v3, v2
	v_cvt_i32_f32_e32 v4, v0
	v_add_f32_e32 v1, v1, v6
	v_cvt_i32_f32_e32 v1, v1
	v_cvt_f32_i32_dpp v3, v3 row_shl:4 row_mask:0xf bank_mask:0xf bound_ctrl:1
	v_cvt_f32_i32_dpp v4, v4 row_bcast:15 row_mask:0xf bank_mask:0xf bound_ctrl:1
	v_cvt_i32_f32_e32 v6, v32
	v_cvt_f32_i32_dpp v1, v1 row_shr:15 row_mask:0xf bank_mask:0xf bound_ctrl:1
	v_add_f32_e32 v2, v2, v3
	v_cvt_i32_f32_e32 v3, v2
	v_add_f32_e32 v28, v0, v4
	v_cvt_i32_f32_e32 v0, v28
	v_cvt_i32_f32_e32 v4, v1
	v_cvt_f32_i32_dpp v3, v3 row_shl:8 row_mask:0xf bank_mask:0xf bound_ctrl:1
	v_mov_b32_dpp v30, v6 row_bcast:31 row_mask:0xf bank_mask:0xf bound_ctrl:1
	v_mov_b32_dpp v29, v0 row_bcast:31 row_mask:0xf bank_mask:0xf bound_ctrl:1
	v_cvt_f32_i32_dpp v0, v4 row_bcast:15 row_mask:0xf bank_mask:0xf bound_ctrl:1
	v_add_f32_e32 v2, v2, v3
	v_cvt_i32_f32_e32 v3, v25
	v_cvt_i32_f32_e32 v4, v26
	;; [unrolled: 1-line block ×4, first 2 shown]
	v_cvt_f32_i32_dpp v3, v3 row_shl:1 row_mask:0xf bank_mask:0xf bound_ctrl:1
	v_cvt_f32_i32_dpp v4, v4 row_shl:2 row_mask:0xf bank_mask:0xf bound_ctrl:1
	;; [unrolled: 1-line block ×3, first 2 shown]
	v_cvt_f32_i32_dpp v2, v2 row_shr:15 row_mask:0xf bank_mask:0xf bound_ctrl:1
	v_add_f32_e32 v3, v24, v3
	v_add_f32_e32 v3, v3, v4
	;; [unrolled: 1-line block ×3, first 2 shown]
	v_cvt_i32_f32_e32 v4, v3
	v_cvt_i32_f32_e32 v6, v21
	;; [unrolled: 1-line block ×4, first 2 shown]
	v_cvt_f32_i32_dpp v4, v4 row_shl:4 row_mask:0xf bank_mask:0xf bound_ctrl:1
	v_add_f32_e32 v24, v1, v0
	v_cvt_i32_f32_e32 v1, v2
	v_cvt_i32_f32_e32 v0, v24
	v_add_f32_e32 v3, v3, v4
	v_cvt_f32_i32_dpp v4, v6 row_shl:1 row_mask:0xf bank_mask:0xf bound_ctrl:1
	v_cvt_f32_i32_dpp v6, v21 row_shl:2 row_mask:0xf bank_mask:0xf bound_ctrl:1
	;; [unrolled: 1-line block ×3, first 2 shown]
	v_cvt_i32_f32_e32 v22, v3
	v_add_f32_e32 v4, v20, v4
	v_add_f32_e32 v4, v4, v6
	;; [unrolled: 1-line block ×3, first 2 shown]
	v_cvt_i32_f32_e32 v6, v4
	v_cvt_f32_i32_dpp v1, v1 row_bcast:15 row_mask:0xf bank_mask:0xf bound_ctrl:1
	v_cvt_f32_i32_dpp v22, v22 row_shl:8 row_mask:0xf bank_mask:0xf bound_ctrl:1
	v_mov_b32_dpp v21, v0 row_bcast:31 row_mask:0xf bank_mask:0xf bound_ctrl:1
	v_cvt_f32_i32_dpp v0, v6 row_shl:4 row_mask:0xf bank_mask:0xf bound_ctrl:1
	v_add_f32_e32 v20, v2, v1
	v_cvt_i32_f32_e32 v2, v17
	v_add_f32_e32 v1, v3, v22
	v_cvt_i32_f32_e32 v3, v18
	;; [unrolled: 2-line block ×3, first 2 shown]
	v_cvt_f32_i32_dpp v2, v2 row_shl:1 row_mask:0xf bank_mask:0xf bound_ctrl:1
	v_cvt_f32_i32_dpp v3, v3 row_shl:2 row_mask:0xf bank_mask:0xf bound_ctrl:1
	v_cvt_i32_f32_e32 v1, v1
	v_cvt_f32_i32_dpp v4, v4 row_shl:3 row_mask:0xf bank_mask:0xf bound_ctrl:1
	v_add_f32_e32 v2, v16, v2
	v_add_f32_e32 v2, v2, v3
	v_cvt_i32_f32_e32 v6, v0
	v_add_f32_e32 v2, v2, v4
	v_cvt_i32_f32_e32 v3, v2
	v_cvt_f32_i32_dpp v1, v1 row_shr:15 row_mask:0xf bank_mask:0xf bound_ctrl:1
	v_cvt_f32_i32_dpp v6, v6 row_shl:8 row_mask:0xf bank_mask:0xf bound_ctrl:1
	v_cvt_i32_f32_e32 v4, v20
	v_cvt_f32_i32_dpp v3, v3 row_shl:4 row_mask:0xf bank_mask:0xf bound_ctrl:1
	v_add_f32_e32 v0, v0, v6
	v_cvt_i32_f32_e32 v6, v1
	v_add_f32_e32 v2, v2, v3
	v_cvt_i32_f32_e32 v3, v2
	v_cvt_i32_f32_e32 v0, v0
	v_cvt_f32_i32_dpp v6, v6 row_bcast:15 row_mask:0xf bank_mask:0xf bound_ctrl:1
	v_mov_b32_dpp v19, v4 row_bcast:31 row_mask:0xf bank_mask:0xf bound_ctrl:1
	v_cvt_f32_i32_dpp v3, v3 row_shl:8 row_mask:0xf bank_mask:0xf bound_ctrl:1
	v_cvt_f32_i32_dpp v0, v0 row_shr:15 row_mask:0xf bank_mask:0xf bound_ctrl:1
	v_add_f32_e32 v16, v1, v6
	v_cvt_i32_f32_e32 v6, v14
	v_add_f32_e32 v2, v2, v3
	v_cvt_i32_f32_e32 v3, v13
	v_cvt_i32_f32_e32 v2, v2
	v_cvt_i32_f32_e32 v13, v15
	v_cvt_f32_i32_dpp v6, v6 row_shl:2 row_mask:0xf bank_mask:0xf bound_ctrl:1
	v_cvt_f32_i32_dpp v3, v3 row_shl:1 row_mask:0xf bank_mask:0xf bound_ctrl:1
	v_cvt_f32_i32_dpp v2, v2 row_shr:15 row_mask:0xf bank_mask:0xf bound_ctrl:1
	v_cvt_f32_i32_dpp v13, v13 row_shl:3 row_mask:0xf bank_mask:0xf bound_ctrl:1
	v_cvt_i32_f32_e32 v4, v0
	v_add_f32_e32 v3, v12, v3
	v_add_f32_e32 v3, v3, v6
	v_cvt_i32_f32_e32 v1, v16
	v_cvt_i32_f32_e32 v14, v2
	v_add_f32_e32 v3, v3, v13
	v_cvt_f32_i32_dpp v4, v4 row_bcast:15 row_mask:0xf bank_mask:0xf bound_ctrl:1
	v_cvt_i32_f32_e32 v6, v3
	v_mov_b32_dpp v17, v1 row_bcast:31 row_mask:0xf bank_mask:0xf bound_ctrl:1
	v_cvt_f32_i32_dpp v1, v14 row_bcast:15 row_mask:0xf bank_mask:0xf bound_ctrl:1
	v_add_f32_e32 v13, v0, v4
	v_cvt_f32_i32_dpp v0, v6 row_shl:4 row_mask:0xf bank_mask:0xf bound_ctrl:1
	v_cvt_i32_f32_e32 v12, v77
	v_add_f32_e32 v6, v2, v1
	v_cvt_i32_f32_e32 v2, v75
	v_add_f32_e32 v0, v3, v0
	v_cvt_i32_f32_e32 v3, v76
	v_cvt_f32_i32_dpp v12, v12 row_shl:3 row_mask:0xf bank_mask:0xf bound_ctrl:1
	v_cvt_f32_i32_dpp v2, v2 row_shl:1 row_mask:0xf bank_mask:0xf bound_ctrl:1
	v_cvt_i32_f32_e32 v1, v6
	v_cvt_f32_i32_dpp v3, v3 row_shl:2 row_mask:0xf bank_mask:0xf bound_ctrl:1
	v_cvt_i32_f32_e32 v4, v13
	v_add_f32_e32 v2, v74, v2
	v_cvt_i32_f32_e32 v14, v0
	v_add_f32_e32 v2, v2, v3
	v_add_f32_e32 v2, v2, v12
	v_cvt_i32_f32_e32 v3, v2
	v_mov_b32_dpp v12, v1 row_bcast:31 row_mask:0xf bank_mask:0xf bound_ctrl:1
	v_mov_b32_dpp v15, v4 row_bcast:31 row_mask:0xf bank_mask:0xf bound_ctrl:1
	v_cvt_i32_f32_e32 v4, v72
	v_cvt_f32_i32_dpp v1, v3 row_shl:4 row_mask:0xf bank_mask:0xf bound_ctrl:1
	v_cvt_i32_f32_e32 v3, v71
	v_cvt_f32_i32_dpp v14, v14 row_shl:8 row_mask:0xf bank_mask:0xf bound_ctrl:1
	v_add_f32_e32 v1, v2, v1
	v_cvt_f32_i32_dpp v2, v3 row_shl:1 row_mask:0xf bank_mask:0xf bound_ctrl:1
	v_cvt_f32_i32_dpp v3, v4 row_shl:2 row_mask:0xf bank_mask:0xf bound_ctrl:1
	v_cvt_i32_f32_e32 v4, v73
	v_add_f32_e32 v0, v0, v14
	v_add_f32_e32 v2, v70, v2
	;; [unrolled: 1-line block ×3, first 2 shown]
	v_cvt_f32_i32_dpp v3, v4 row_shl:3 row_mask:0xf bank_mask:0xf bound_ctrl:1
	v_cvt_i32_f32_e32 v4, v9
	v_cvt_i32_f32_e32 v9, v10
	;; [unrolled: 1-line block ×3, first 2 shown]
	v_add_f32_e32 v2, v2, v3
	v_cvt_f32_i32_dpp v3, v4 row_shl:1 row_mask:0xf bank_mask:0xf bound_ctrl:1
	v_cvt_f32_i32_dpp v4, v9 row_shl:2 row_mask:0xf bank_mask:0xf bound_ctrl:1
	;; [unrolled: 1-line block ×3, first 2 shown]
	v_cvt_i32_f32_e32 v10, v2
	v_add_f32_e32 v3, v8, v3
	v_add_f32_e32 v3, v3, v4
	;; [unrolled: 1-line block ×3, first 2 shown]
	v_cvt_i32_f32_e32 v4, v3
	v_cvt_i32_f32_e32 v14, v1
	v_cvt_f32_i32_dpp v9, v10 row_shl:4 row_mask:0xf bank_mask:0xf bound_ctrl:1
	v_cvt_i32_f32_e32 v0, v0
	v_cvt_f32_i32_dpp v4, v4 row_shl:4 row_mask:0xf bank_mask:0xf bound_ctrl:1
	v_cvt_f32_i32_dpp v8, v14 row_shl:8 row_mask:0xf bank_mask:0xf bound_ctrl:1
	v_add_f32_e32 v2, v2, v9
	v_cvt_f32_i32_dpp v0, v0 row_shr:15 row_mask:0xf bank_mask:0xf bound_ctrl:1
	v_add_f32_e32 v3, v3, v4
	v_add_f32_e32 v1, v1, v8
	v_cvt_i32_f32_e32 v8, v2
	v_cvt_i32_f32_e32 v4, v3
	;; [unrolled: 1-line block ×4, first 2 shown]
	v_cvt_f32_i32_dpp v8, v8 row_shl:8 row_mask:0xf bank_mask:0xf bound_ctrl:1
	v_cvt_f32_i32_dpp v4, v4 row_shl:8 row_mask:0xf bank_mask:0xf bound_ctrl:1
	v_cvt_f32_i32_dpp v1, v1 row_shr:15 row_mask:0xf bank_mask:0xf bound_ctrl:1
	v_add_f32_e32 v2, v2, v8
	v_add_f32_e32 v3, v3, v4
	v_cvt_i32_f32_e32 v2, v2
	v_cvt_i32_f32_e32 v3, v3
	v_cvt_f32_i32_dpp v4, v9 row_bcast:15 row_mask:0xf bank_mask:0xf bound_ctrl:1
	v_cvt_i32_f32_e32 v8, v1
	v_cvt_f32_i32_dpp v2, v2 row_shr:15 row_mask:0xf bank_mask:0xf bound_ctrl:1
	v_cvt_f32_i32_dpp v3, v3 row_shr:15 row_mask:0xf bank_mask:0xf bound_ctrl:1
	v_add_f32_e32 v10, v0, v4
	v_cvt_f32_i32_dpp v4, v8 row_bcast:15 row_mask:0xf bank_mask:0xf bound_ctrl:1
	v_cvt_i32_f32_e32 v0, v2
	v_cvt_i32_f32_e32 v9, v3
	;; [unrolled: 1-line block ×3, first 2 shown]
	v_add_f32_e32 v8, v1, v4
	v_cvt_f32_i32_dpp v0, v0 row_bcast:15 row_mask:0xf bank_mask:0xf bound_ctrl:1
	v_cvt_f32_i32_dpp v1, v9 row_bcast:15 row_mask:0xf bank_mask:0xf bound_ctrl:1
	v_cvt_i32_f32_e32 v4, v8
	v_mov_b32_dpp v14, v11 row_bcast:31 row_mask:0xf bank_mask:0xf bound_ctrl:1
	v_add_f32_e32 v2, v2, v0
	v_add_f32_e32 v0, v3, v1
	v_cvt_i32_f32_e32 v18, v2
	v_cvt_i32_f32_e32 v1, v0
	v_mov_b32_dpp v9, v4 row_bcast:31 row_mask:0xf bank_mask:0xf bound_ctrl:1
	v_mov_b32_dpp v3, v18 row_bcast:31 row_mask:0xf bank_mask:0xf bound_ctrl:1
	;; [unrolled: 1-line block ×3, first 2 shown]
	s_and_saveexec_b64 s[30:31], s[0:1]
	s_cbranch_execz .LBB300_155
; %bb.63:                               ;   in Loop: Header=BB300_13 Depth=1
	s_andn2_b64 vcc, exec, s[26:27]
	v_mov_b32_e32 v45, 0
	v_mov_b32_e32 v43, 0
	;; [unrolled: 1-line block ×15, first 2 shown]
	s_cbranch_vccnz .LBB300_65
; %bb.64:                               ;   in Loop: Header=BB300_13 Depth=1
	scratch_load_dword v25, off, off offset:112 ; 4-byte Folded Reload
	v_mov_b32_e32 v43, v5
	v_mov_b32_e32 v27, v5
	;; [unrolled: 1-line block ×3, first 2 shown]
	s_waitcnt vmcnt(0)
	v_mul_hi_u32 v4, v64, v25
	v_mul_lo_u32 v4, v4, s10
	v_sub_u32_e32 v4, v64, v4
	v_subrev_u32_e32 v11, s10, v4
	v_cmp_le_u32_e32 vcc, s10, v4
	s_nop 1
	v_cndmask_b32_e32 v4, v4, v11, vcc
	v_subrev_u32_e32 v11, s10, v4
	v_cmp_le_u32_e32 vcc, s10, v4
	s_nop 1
	v_cndmask_b32_e32 v4, v4, v11, vcc
	v_mul_hi_u32 v11, v68, v25
	v_mul_lo_u32 v11, v11, s10
	v_sub_u32_e32 v11, v68, v11
	v_subrev_u32_e32 v18, s10, v11
	v_cmp_le_u32_e32 vcc, s10, v11
	v_add_u32_e32 v42, s41, v4
	v_lshl_add_u64 v[50:51], v[42:43], 1, s[18:19]
	v_cndmask_b32_e32 v11, v11, v18, vcc
	v_subrev_u32_e32 v18, s10, v11
	v_cmp_le_u32_e32 vcc, s10, v11
	v_lshl_add_u64 v[22:23], v[4:5], 1, s[18:19]
	s_nop 0
	v_cndmask_b32_e32 v26, v11, v18, vcc
	v_mul_hi_u32 v11, v66, v25
	v_mul_lo_u32 v11, v11, s10
	v_sub_u32_e32 v11, v66, v11
	v_subrev_u32_e32 v18, s10, v11
	v_cmp_le_u32_e32 vcc, s10, v11
	v_add_u32_e32 v42, s41, v26
	v_lshl_add_u64 v[52:53], v[42:43], 1, s[18:19]
	v_cndmask_b32_e32 v11, v11, v18, vcc
	v_subrev_u32_e32 v18, s10, v11
	v_cmp_le_u32_e32 vcc, s10, v11
	v_lshl_add_u64 v[34:35], v[26:27], 1, s[18:19]
	s_nop 0
	v_cndmask_b32_e32 v46, v11, v18, vcc
	v_add_u32_e32 v42, s41, v46
	v_lshl_add_u64 v[54:55], v[42:43], 1, s[18:19]
	v_add_u32_e32 v42, s42, v4
	v_lshl_add_u64 v[38:39], v[46:47], 1, s[18:19]
	v_lshl_add_u64 v[56:57], v[42:43], 1, s[18:19]
	v_add_u32_e32 v42, s42, v26
	v_lshl_add_u64 v[58:59], v[42:43], 1, s[18:19]
	global_load_ushort v45, v[22:23], off
	global_load_ushort v43, v[34:35], off
	;; [unrolled: 1-line block ×3, first 2 shown]
                                        ; kill: killed $vgpr34_vgpr35
                                        ; kill: killed $vgpr38_vgpr39
	s_nop 0
	global_load_ushort v39, v[50:51], off
	global_load_ushort v38, v[52:53], off
	;; [unrolled: 1-line block ×4, first 2 shown]
                                        ; kill: killed $vgpr50_vgpr51
                                        ; kill: killed $vgpr52_vgpr53
                                        ; kill: killed $vgpr54_vgpr55
                                        ; kill: killed $vgpr56_vgpr57
	global_load_ushort v31, v[58:59], off
	v_add_u32_e32 v50, s43, v4
	v_add_u32_e32 v4, s44, v4
	;; [unrolled: 1-line block ×3, first 2 shown]
	v_mov_b32_e32 v23, v5
	v_lshl_add_u64 v[56:57], v[4:5], 1, s[18:19]
	v_add_u32_e32 v4, s44, v26
	v_lshl_add_u64 v[22:23], v[22:23], 1, s[18:19]
	v_mov_b32_e32 v51, v5
	v_add_u32_e32 v52, s43, v26
	v_mov_b32_e32 v53, v5
	v_add_u32_e32 v54, s43, v46
	v_mov_b32_e32 v55, v5
	v_lshl_add_u64 v[58:59], v[4:5], 1, s[18:19]
	v_add_u32_e32 v4, s44, v46
	v_lshl_add_u64 v[50:51], v[50:51], 1, s[18:19]
	v_lshl_add_u64 v[52:53], v[52:53], 1, s[18:19]
	;; [unrolled: 1-line block ×4, first 2 shown]
	global_load_ushort v27, v[22:23], off
	global_load_ushort v26, v[50:51], off
	;; [unrolled: 1-line block ×3, first 2 shown]
	s_nop 0
	global_load_ushort v23, v[54:55], off
	global_load_ushort v22, v[56:57], off
	;; [unrolled: 1-line block ×3, first 2 shown]
                                        ; kill: killed $vgpr56_vgpr57
                                        ; kill: killed $vgpr58_vgpr59
	global_load_ushort v11, v[46:47], off
.LBB300_65:                             ;   in Loop: Header=BB300_13 Depth=1
	s_waitcnt vmcnt(3)
	v_cmp_ne_u32_e32 vcc, 0, v60
	s_and_saveexec_b64 s[6:7], vcc
	s_cbranch_execnz .LBB300_80
; %bb.66:                               ;   in Loop: Header=BB300_13 Depth=1
	s_or_b64 exec, exec, s[6:7]
	v_cmp_ne_u32_e64 s[4:5], 0, v61
	s_and_saveexec_b64 s[8:9], s[4:5]
	s_cbranch_execnz .LBB300_85
.LBB300_67:                             ;   in Loop: Header=BB300_13 Depth=1
	s_or_b64 exec, exec, s[8:9]
	v_cmp_ne_u32_e64 s[6:7], 0, v62
	s_and_saveexec_b64 s[34:35], s[6:7]
	s_cbranch_execnz .LBB300_90
.LBB300_68:                             ;   in Loop: Header=BB300_13 Depth=1
	s_or_b64 exec, exec, s[34:35]
	s_waitcnt vmcnt(2)
	v_add_u32_e32 v4, s15, v64
	s_and_saveexec_b64 s[34:35], vcc
	s_cbranch_execnz .LBB300_95
.LBB300_69:                             ;   in Loop: Header=BB300_13 Depth=1
	s_or_b64 exec, exec, s[34:35]
	s_and_saveexec_b64 s[34:35], s[4:5]
	s_cbranch_execnz .LBB300_100
.LBB300_70:                             ;   in Loop: Header=BB300_13 Depth=1
	s_or_b64 exec, exec, s[34:35]
	s_and_saveexec_b64 s[34:35], s[6:7]
	s_cbranch_execnz .LBB300_105
.LBB300_71:                             ;   in Loop: Header=BB300_13 Depth=1
	s_or_b64 exec, exec, s[34:35]
	v_add_u32_e32 v4, s15, v4
	s_and_saveexec_b64 s[34:35], vcc
	s_cbranch_execnz .LBB300_110
.LBB300_72:                             ;   in Loop: Header=BB300_13 Depth=1
	s_or_b64 exec, exec, s[34:35]
	s_and_saveexec_b64 s[34:35], s[4:5]
	s_cbranch_execnz .LBB300_115
.LBB300_73:                             ;   in Loop: Header=BB300_13 Depth=1
	s_or_b64 exec, exec, s[34:35]
	s_and_saveexec_b64 s[34:35], s[6:7]
	s_cbranch_execnz .LBB300_120
.LBB300_74:                             ;   in Loop: Header=BB300_13 Depth=1
	s_or_b64 exec, exec, s[34:35]
	v_add_u32_e32 v4, s15, v4
	s_and_saveexec_b64 s[34:35], vcc
	s_cbranch_execnz .LBB300_125
.LBB300_75:                             ;   in Loop: Header=BB300_13 Depth=1
	s_or_b64 exec, exec, s[34:35]
	s_and_saveexec_b64 s[34:35], s[4:5]
	s_cbranch_execnz .LBB300_130
.LBB300_76:                             ;   in Loop: Header=BB300_13 Depth=1
	s_or_b64 exec, exec, s[34:35]
	s_and_saveexec_b64 s[34:35], s[6:7]
	s_cbranch_execnz .LBB300_135
.LBB300_77:                             ;   in Loop: Header=BB300_13 Depth=1
	s_or_b64 exec, exec, s[34:35]
	v_add_u32_e32 v4, s15, v4
	s_and_saveexec_b64 s[8:9], vcc
	s_cbranch_execnz .LBB300_140
.LBB300_78:                             ;   in Loop: Header=BB300_13 Depth=1
	s_or_b64 exec, exec, s[8:9]
	s_and_saveexec_b64 s[8:9], s[4:5]
	s_cbranch_execnz .LBB300_145
.LBB300_79:                             ;   in Loop: Header=BB300_13 Depth=1
	s_or_b64 exec, exec, s[8:9]
	s_and_b64 exec, exec, s[6:7]
	s_cbranch_execnz .LBB300_150
	s_branch .LBB300_155
.LBB300_80:                             ;   in Loop: Header=BB300_13 Depth=1
	v_cvt_f32_i32_e32 v4, v49
	v_lshlrev_b32_e32 v45, 16, v45
	v_add_f32_e32 v4, v48, v4
	v_add_f32_e32 v45, v4, v45
	v_and_b32_e32 v4, 0x7f800000, v45
	v_cmp_ne_u32_e64 s[4:5], s48, v4
                                        ; implicit-def: $vgpr4
	s_and_saveexec_b64 s[8:9], s[4:5]
	s_xor_b64 s[4:5], exec, s[8:9]
; %bb.81:                               ;   in Loop: Header=BB300_13 Depth=1
	v_bfe_u32 v4, v45, 16, 1
	v_add3_u32 v4, v45, v4, s14
                                        ; implicit-def: $vgpr45
; %bb.82:                               ;   in Loop: Header=BB300_13 Depth=1
	s_andn2_saveexec_b64 s[8:9], s[4:5]
; %bb.83:                               ;   in Loop: Header=BB300_13 Depth=1
	v_or_b32_e32 v4, 0x10000, v45
	v_cmp_eq_u32_sdwa s[4:5], v45, v5 src0_sel:WORD_0 src1_sel:DWORD
	s_nop 1
	v_cndmask_b32_e64 v4, v4, v45, s[4:5]
; %bb.84:                               ;   in Loop: Header=BB300_13 Depth=1
	s_or_b64 exec, exec, s[8:9]
	s_waitcnt vmcnt(2)
	v_mov_b32_e32 v65, v5
	s_waitcnt lgkmcnt(0)
	v_lshl_add_u64 v[46:47], v[64:65], 1, s[22:23]
	global_store_short_d16_hi v[46:47], v4, off
	s_or_b64 exec, exec, s[6:7]
	v_cmp_ne_u32_e64 s[4:5], 0, v61
	s_and_saveexec_b64 s[8:9], s[4:5]
	s_cbranch_execz .LBB300_67
.LBB300_85:                             ;   in Loop: Header=BB300_13 Depth=1
	v_cvt_f32_i32_e32 v4, v41
	v_lshlrev_b32_e32 v41, 16, v43
	v_add_f32_e32 v4, v44, v4
	v_add_f32_e32 v41, v4, v41
	v_and_b32_e32 v4, 0x7f800000, v41
	v_cmp_ne_u32_e64 s[6:7], s48, v4
                                        ; implicit-def: $vgpr4
	s_and_saveexec_b64 s[34:35], s[6:7]
	s_xor_b64 s[6:7], exec, s[34:35]
; %bb.86:                               ;   in Loop: Header=BB300_13 Depth=1
	v_bfe_u32 v4, v41, 16, 1
	v_add3_u32 v4, v41, v4, s14
                                        ; implicit-def: $vgpr41
; %bb.87:                               ;   in Loop: Header=BB300_13 Depth=1
	s_andn2_saveexec_b64 s[34:35], s[6:7]
; %bb.88:                               ;   in Loop: Header=BB300_13 Depth=1
	v_or_b32_e32 v4, 0x10000, v41
	v_cmp_eq_u32_sdwa s[6:7], v41, v5 src0_sel:WORD_0 src1_sel:DWORD
	s_nop 1
	v_cndmask_b32_e64 v4, v4, v41, s[6:7]
; %bb.89:                               ;   in Loop: Header=BB300_13 Depth=1
	s_or_b64 exec, exec, s[34:35]
	s_waitcnt vmcnt(0)
	v_mov_b32_e32 v69, v5
	s_waitcnt lgkmcnt(0)
	v_lshl_add_u64 v[44:45], v[68:69], 1, s[22:23]
	global_store_short_d16_hi v[44:45], v4, off
	s_or_b64 exec, exec, s[8:9]
	v_cmp_ne_u32_e64 s[6:7], 0, v62
	s_and_saveexec_b64 s[34:35], s[6:7]
	s_cbranch_execz .LBB300_68
.LBB300_90:                             ;   in Loop: Header=BB300_13 Depth=1
	v_cvt_f32_i32_e32 v4, v37
	v_lshlrev_b32_e32 v37, 16, v42
	v_add_f32_e32 v4, v40, v4
	v_add_f32_e32 v37, v4, v37
	v_and_b32_e32 v4, 0x7f800000, v37
	v_cmp_ne_u32_e64 s[8:9], s48, v4
                                        ; implicit-def: $vgpr4
	s_and_saveexec_b64 s[36:37], s[8:9]
	s_xor_b64 s[8:9], exec, s[36:37]
; %bb.91:                               ;   in Loop: Header=BB300_13 Depth=1
	v_bfe_u32 v4, v37, 16, 1
	v_add3_u32 v4, v37, v4, s14
                                        ; implicit-def: $vgpr37
; %bb.92:                               ;   in Loop: Header=BB300_13 Depth=1
	s_andn2_saveexec_b64 s[36:37], s[8:9]
; %bb.93:                               ;   in Loop: Header=BB300_13 Depth=1
	v_or_b32_e32 v4, 0x10000, v37
	v_cmp_eq_u32_sdwa s[8:9], v37, v5 src0_sel:WORD_0 src1_sel:DWORD
	s_nop 1
	v_cndmask_b32_e64 v4, v4, v37, s[8:9]
; %bb.94:                               ;   in Loop: Header=BB300_13 Depth=1
	s_or_b64 exec, exec, s[36:37]
	s_waitcnt vmcnt(1)
	v_mov_b32_e32 v67, v5
	s_waitcnt lgkmcnt(0)
	v_lshl_add_u64 v[40:41], v[66:67], 1, s[22:23]
	global_store_short_d16_hi v[40:41], v4, off
	s_or_b64 exec, exec, s[34:35]
	v_add_u32_e32 v4, s15, v64
	s_and_saveexec_b64 s[34:35], vcc
	s_cbranch_execz .LBB300_69
.LBB300_95:                             ;   in Loop: Header=BB300_13 Depth=1
	v_cvt_f32_i32_e32 v33, v33
	v_add_f32_e32 v33, v36, v33
	v_lshlrev_b32_e32 v36, 16, v39
	v_add_f32_e32 v36, v33, v36
	v_and_b32_e32 v33, 0x7f800000, v36
	v_cmp_ne_u32_e64 s[8:9], s48, v33
                                        ; implicit-def: $vgpr33
	s_and_saveexec_b64 s[36:37], s[8:9]
	s_xor_b64 s[8:9], exec, s[36:37]
; %bb.96:                               ;   in Loop: Header=BB300_13 Depth=1
	v_bfe_u32 v33, v36, 16, 1
	v_add3_u32 v33, v36, v33, s14
                                        ; implicit-def: $vgpr36
; %bb.97:                               ;   in Loop: Header=BB300_13 Depth=1
	s_andn2_saveexec_b64 s[36:37], s[8:9]
; %bb.98:                               ;   in Loop: Header=BB300_13 Depth=1
	v_or_b32_e32 v33, 0x10000, v36
	v_cmp_eq_u32_sdwa s[8:9], v36, v5 src0_sel:WORD_0 src1_sel:DWORD
	s_nop 1
	v_cndmask_b32_e64 v33, v33, v36, s[8:9]
; %bb.99:                               ;   in Loop: Header=BB300_13 Depth=1
	s_or_b64 exec, exec, s[36:37]
	s_waitcnt lgkmcnt(0)
	v_lshl_add_u64 v[36:37], v[4:5], 1, s[22:23]
	global_store_short_d16_hi v[36:37], v33, off
	s_or_b64 exec, exec, s[34:35]
	s_and_saveexec_b64 s[34:35], s[4:5]
	s_cbranch_execz .LBB300_70
.LBB300_100:                            ;   in Loop: Header=BB300_13 Depth=1
	v_cvt_f32_i32_e32 v30, v30
	v_add_f32_e32 v30, v32, v30
	v_lshlrev_b32_e32 v32, 16, v38
	v_add_f32_e32 v32, v30, v32
	v_and_b32_e32 v30, 0x7f800000, v32
	v_cmp_ne_u32_e64 s[8:9], s48, v30
                                        ; implicit-def: $vgpr30
	s_and_saveexec_b64 s[36:37], s[8:9]
	s_xor_b64 s[8:9], exec, s[36:37]
; %bb.101:                              ;   in Loop: Header=BB300_13 Depth=1
	v_bfe_u32 v30, v32, 16, 1
	v_add3_u32 v30, v32, v30, s14
                                        ; implicit-def: $vgpr32
; %bb.102:                              ;   in Loop: Header=BB300_13 Depth=1
	s_andn2_saveexec_b64 s[36:37], s[8:9]
; %bb.103:                              ;   in Loop: Header=BB300_13 Depth=1
	v_or_b32_e32 v30, 0x10000, v32
	v_cmp_eq_u32_sdwa s[8:9], v32, v5 src0_sel:WORD_0 src1_sel:DWORD
	s_nop 1
	v_cndmask_b32_e64 v30, v30, v32, s[8:9]
; %bb.104:                              ;   in Loop: Header=BB300_13 Depth=1
	s_or_b64 exec, exec, s[36:37]
	v_add_u32_e32 v32, 1, v4
	v_mov_b32_e32 v33, v5
	s_waitcnt lgkmcnt(0)
	v_lshl_add_u64 v[32:33], v[32:33], 1, s[22:23]
	global_store_short_d16_hi v[32:33], v30, off
	s_or_b64 exec, exec, s[34:35]
	s_and_saveexec_b64 s[34:35], s[6:7]
	s_cbranch_execz .LBB300_71
.LBB300_105:                            ;   in Loop: Header=BB300_13 Depth=1
	v_cvt_f32_i32_e32 v29, v29
	v_add_f32_e32 v28, v28, v29
	v_lshlrev_b32_e32 v29, 16, v35
	v_add_f32_e32 v29, v28, v29
	v_and_b32_e32 v28, 0x7f800000, v29
	v_cmp_ne_u32_e64 s[8:9], s48, v28
                                        ; implicit-def: $vgpr28
	s_and_saveexec_b64 s[36:37], s[8:9]
	s_xor_b64 s[8:9], exec, s[36:37]
; %bb.106:                              ;   in Loop: Header=BB300_13 Depth=1
	v_bfe_u32 v28, v29, 16, 1
	v_add3_u32 v28, v29, v28, s14
                                        ; implicit-def: $vgpr29
; %bb.107:                              ;   in Loop: Header=BB300_13 Depth=1
	s_andn2_saveexec_b64 s[36:37], s[8:9]
; %bb.108:                              ;   in Loop: Header=BB300_13 Depth=1
	v_or_b32_e32 v28, 0x10000, v29
	v_cmp_eq_u32_sdwa s[8:9], v29, v5 src0_sel:WORD_0 src1_sel:DWORD
	s_nop 1
	v_cndmask_b32_e64 v28, v28, v29, s[8:9]
; %bb.109:                              ;   in Loop: Header=BB300_13 Depth=1
	s_or_b64 exec, exec, s[36:37]
	v_add_u32_e32 v32, 2, v4
	v_mov_b32_e32 v33, v5
	s_waitcnt lgkmcnt(0)
	v_lshl_add_u64 v[32:33], v[32:33], 1, s[22:23]
	global_store_short_d16_hi v[32:33], v28, off
	s_or_b64 exec, exec, s[34:35]
	v_add_u32_e32 v4, s15, v4
	s_and_saveexec_b64 s[34:35], vcc
	s_cbranch_execz .LBB300_72
.LBB300_110:                            ;   in Loop: Header=BB300_13 Depth=1
	v_cvt_f32_i32_e32 v21, v21
	v_add_f32_e32 v21, v24, v21
	v_lshlrev_b32_e32 v24, 16, v34
	v_add_f32_e32 v24, v21, v24
	v_and_b32_e32 v21, 0x7f800000, v24
	v_cmp_ne_u32_e64 s[8:9], s48, v21
                                        ; implicit-def: $vgpr21
	s_and_saveexec_b64 s[36:37], s[8:9]
	s_xor_b64 s[8:9], exec, s[36:37]
; %bb.111:                              ;   in Loop: Header=BB300_13 Depth=1
	v_bfe_u32 v21, v24, 16, 1
	v_add3_u32 v21, v24, v21, s14
                                        ; implicit-def: $vgpr24
; %bb.112:                              ;   in Loop: Header=BB300_13 Depth=1
	s_andn2_saveexec_b64 s[36:37], s[8:9]
; %bb.113:                              ;   in Loop: Header=BB300_13 Depth=1
	v_or_b32_e32 v21, 0x10000, v24
	v_cmp_eq_u32_sdwa s[8:9], v24, v5 src0_sel:WORD_0 src1_sel:DWORD
	s_nop 1
	v_cndmask_b32_e64 v21, v21, v24, s[8:9]
; %bb.114:                              ;   in Loop: Header=BB300_13 Depth=1
	s_or_b64 exec, exec, s[36:37]
	s_waitcnt lgkmcnt(0)
	v_lshl_add_u64 v[28:29], v[4:5], 1, s[22:23]
	global_store_short_d16_hi v[28:29], v21, off
	s_or_b64 exec, exec, s[34:35]
	s_and_saveexec_b64 s[34:35], s[4:5]
	s_cbranch_execz .LBB300_73
.LBB300_115:                            ;   in Loop: Header=BB300_13 Depth=1
	v_cvt_f32_i32_e32 v19, v19
	v_add_f32_e32 v19, v20, v19
	v_lshlrev_b32_e32 v20, 16, v31
	v_add_f32_e32 v20, v19, v20
	v_and_b32_e32 v19, 0x7f800000, v20
	v_cmp_ne_u32_e64 s[8:9], s48, v19
                                        ; implicit-def: $vgpr19
	s_and_saveexec_b64 s[36:37], s[8:9]
	s_xor_b64 s[8:9], exec, s[36:37]
; %bb.116:                              ;   in Loop: Header=BB300_13 Depth=1
	v_bfe_u32 v19, v20, 16, 1
	v_add3_u32 v19, v20, v19, s14
                                        ; implicit-def: $vgpr20
; %bb.117:                              ;   in Loop: Header=BB300_13 Depth=1
	s_andn2_saveexec_b64 s[36:37], s[8:9]
; %bb.118:                              ;   in Loop: Header=BB300_13 Depth=1
	v_or_b32_e32 v19, 0x10000, v20
	v_cmp_eq_u32_sdwa s[8:9], v20, v5 src0_sel:WORD_0 src1_sel:DWORD
	s_nop 1
	v_cndmask_b32_e64 v19, v19, v20, s[8:9]
; %bb.119:                              ;   in Loop: Header=BB300_13 Depth=1
	s_or_b64 exec, exec, s[36:37]
	v_add_u32_e32 v20, 1, v4
	v_mov_b32_e32 v21, v5
	s_waitcnt lgkmcnt(0)
	v_lshl_add_u64 v[20:21], v[20:21], 1, s[22:23]
	global_store_short_d16_hi v[20:21], v19, off
	s_or_b64 exec, exec, s[34:35]
	s_and_saveexec_b64 s[34:35], s[6:7]
	s_cbranch_execz .LBB300_74
.LBB300_120:                            ;   in Loop: Header=BB300_13 Depth=1
	v_cvt_f32_i32_e32 v17, v17
	v_add_f32_e32 v16, v16, v17
	v_lshlrev_b32_e32 v17, 16, v27
	v_add_f32_e32 v17, v16, v17
	v_and_b32_e32 v16, 0x7f800000, v17
	v_cmp_ne_u32_e64 s[8:9], s48, v16
                                        ; implicit-def: $vgpr16
	s_and_saveexec_b64 s[36:37], s[8:9]
	s_xor_b64 s[8:9], exec, s[36:37]
; %bb.121:                              ;   in Loop: Header=BB300_13 Depth=1
	v_bfe_u32 v16, v17, 16, 1
	v_add3_u32 v16, v17, v16, s14
                                        ; implicit-def: $vgpr17
; %bb.122:                              ;   in Loop: Header=BB300_13 Depth=1
	s_andn2_saveexec_b64 s[36:37], s[8:9]
; %bb.123:                              ;   in Loop: Header=BB300_13 Depth=1
	v_or_b32_e32 v16, 0x10000, v17
	v_cmp_eq_u32_sdwa s[8:9], v17, v5 src0_sel:WORD_0 src1_sel:DWORD
	s_nop 1
	v_cndmask_b32_e64 v16, v16, v17, s[8:9]
; %bb.124:                              ;   in Loop: Header=BB300_13 Depth=1
	s_or_b64 exec, exec, s[36:37]
	v_add_u32_e32 v20, 2, v4
	v_mov_b32_e32 v21, v5
	s_waitcnt lgkmcnt(0)
	v_lshl_add_u64 v[20:21], v[20:21], 1, s[22:23]
	global_store_short_d16_hi v[20:21], v16, off
	s_or_b64 exec, exec, s[34:35]
	v_add_u32_e32 v4, s15, v4
	s_and_saveexec_b64 s[34:35], vcc
	s_cbranch_execz .LBB300_75
.LBB300_125:                            ;   in Loop: Header=BB300_13 Depth=1
	v_cvt_f32_i32_e32 v15, v15
	v_add_f32_e32 v13, v13, v15
	v_lshlrev_b32_e32 v15, 16, v26
	v_add_f32_e32 v15, v13, v15
	v_and_b32_e32 v13, 0x7f800000, v15
	v_cmp_ne_u32_e64 s[8:9], s48, v13
                                        ; implicit-def: $vgpr13
	s_and_saveexec_b64 s[36:37], s[8:9]
	s_xor_b64 s[8:9], exec, s[36:37]
; %bb.126:                              ;   in Loop: Header=BB300_13 Depth=1
	v_bfe_u32 v13, v15, 16, 1
	v_add3_u32 v13, v15, v13, s14
                                        ; implicit-def: $vgpr15
; %bb.127:                              ;   in Loop: Header=BB300_13 Depth=1
	s_andn2_saveexec_b64 s[36:37], s[8:9]
; %bb.128:                              ;   in Loop: Header=BB300_13 Depth=1
	v_or_b32_e32 v13, 0x10000, v15
	v_cmp_eq_u32_sdwa s[8:9], v15, v5 src0_sel:WORD_0 src1_sel:DWORD
	s_nop 1
	v_cndmask_b32_e64 v13, v13, v15, s[8:9]
; %bb.129:                              ;   in Loop: Header=BB300_13 Depth=1
	s_or_b64 exec, exec, s[36:37]
	s_waitcnt lgkmcnt(0)
	v_lshl_add_u64 v[16:17], v[4:5], 1, s[22:23]
	global_store_short_d16_hi v[16:17], v13, off
	s_or_b64 exec, exec, s[34:35]
	s_and_saveexec_b64 s[34:35], s[4:5]
	s_cbranch_execz .LBB300_76
.LBB300_130:                            ;   in Loop: Header=BB300_13 Depth=1
	v_cvt_f32_i32_e32 v12, v12
	v_add_f32_e32 v6, v6, v12
	v_lshlrev_b32_e32 v12, 16, v25
	v_add_f32_e32 v12, v6, v12
	v_and_b32_e32 v6, 0x7f800000, v12
	v_cmp_ne_u32_e64 s[8:9], s48, v6
                                        ; implicit-def: $vgpr6
	s_and_saveexec_b64 s[36:37], s[8:9]
	s_xor_b64 s[8:9], exec, s[36:37]
; %bb.131:                              ;   in Loop: Header=BB300_13 Depth=1
	v_bfe_u32 v6, v12, 16, 1
	v_add3_u32 v6, v12, v6, s14
                                        ; implicit-def: $vgpr12
; %bb.132:                              ;   in Loop: Header=BB300_13 Depth=1
	s_andn2_saveexec_b64 s[36:37], s[8:9]
; %bb.133:                              ;   in Loop: Header=BB300_13 Depth=1
	v_or_b32_e32 v6, 0x10000, v12
	v_cmp_eq_u32_sdwa s[8:9], v12, v5 src0_sel:WORD_0 src1_sel:DWORD
	s_nop 1
	v_cndmask_b32_e64 v6, v6, v12, s[8:9]
; %bb.134:                              ;   in Loop: Header=BB300_13 Depth=1
	s_or_b64 exec, exec, s[36:37]
	v_add_u32_e32 v12, 1, v4
	v_mov_b32_e32 v13, v5
	s_waitcnt lgkmcnt(0)
	v_lshl_add_u64 v[12:13], v[12:13], 1, s[22:23]
	global_store_short_d16_hi v[12:13], v6, off
	s_or_b64 exec, exec, s[34:35]
	s_and_saveexec_b64 s[34:35], s[6:7]
	s_cbranch_execz .LBB300_77
.LBB300_135:                            ;   in Loop: Header=BB300_13 Depth=1
	v_cvt_f32_i32_e32 v6, v14
	v_add_f32_e32 v6, v10, v6
	v_lshlrev_b32_e32 v10, 16, v23
	v_add_f32_e32 v10, v6, v10
	v_and_b32_e32 v6, 0x7f800000, v10
	v_cmp_ne_u32_e64 s[8:9], s48, v6
                                        ; implicit-def: $vgpr6
	s_and_saveexec_b64 s[36:37], s[8:9]
	s_xor_b64 s[8:9], exec, s[36:37]
; %bb.136:                              ;   in Loop: Header=BB300_13 Depth=1
	v_bfe_u32 v6, v10, 16, 1
	v_add3_u32 v6, v10, v6, s14
                                        ; implicit-def: $vgpr10
; %bb.137:                              ;   in Loop: Header=BB300_13 Depth=1
	s_andn2_saveexec_b64 s[36:37], s[8:9]
; %bb.138:                              ;   in Loop: Header=BB300_13 Depth=1
	v_or_b32_e32 v6, 0x10000, v10
	v_cmp_eq_u32_sdwa s[8:9], v10, v5 src0_sel:WORD_0 src1_sel:DWORD
	s_nop 1
	v_cndmask_b32_e64 v6, v6, v10, s[8:9]
; %bb.139:                              ;   in Loop: Header=BB300_13 Depth=1
	s_or_b64 exec, exec, s[36:37]
	v_add_u32_e32 v12, 2, v4
	v_mov_b32_e32 v13, v5
	s_waitcnt lgkmcnt(0)
	v_lshl_add_u64 v[12:13], v[12:13], 1, s[22:23]
	global_store_short_d16_hi v[12:13], v6, off
	s_or_b64 exec, exec, s[34:35]
	v_add_u32_e32 v4, s15, v4
	s_and_saveexec_b64 s[8:9], vcc
	s_cbranch_execz .LBB300_78
.LBB300_140:                            ;   in Loop: Header=BB300_13 Depth=1
	v_cvt_f32_i32_e32 v6, v9
	v_add_f32_e32 v6, v8, v6
	v_lshlrev_b32_e32 v8, 16, v22
	v_add_f32_e32 v8, v6, v8
	v_and_b32_e32 v6, 0x7f800000, v8
	v_cmp_ne_u32_e32 vcc, s48, v6
                                        ; implicit-def: $vgpr6
	s_and_saveexec_b64 s[34:35], vcc
	s_xor_b64 s[34:35], exec, s[34:35]
; %bb.141:                              ;   in Loop: Header=BB300_13 Depth=1
	v_bfe_u32 v6, v8, 16, 1
	v_add3_u32 v6, v8, v6, s14
                                        ; implicit-def: $vgpr8
; %bb.142:                              ;   in Loop: Header=BB300_13 Depth=1
	s_andn2_saveexec_b64 s[34:35], s[34:35]
; %bb.143:                              ;   in Loop: Header=BB300_13 Depth=1
	v_or_b32_e32 v6, 0x10000, v8
	v_cmp_eq_u32_sdwa vcc, v8, v5 src0_sel:WORD_0 src1_sel:DWORD
	s_nop 1
	v_cndmask_b32_e32 v6, v6, v8, vcc
; %bb.144:                              ;   in Loop: Header=BB300_13 Depth=1
	s_or_b64 exec, exec, s[34:35]
	s_waitcnt lgkmcnt(0)
	v_lshl_add_u64 v[8:9], v[4:5], 1, s[22:23]
	global_store_short_d16_hi v[8:9], v6, off
	s_or_b64 exec, exec, s[8:9]
	s_and_saveexec_b64 s[8:9], s[4:5]
	s_cbranch_execz .LBB300_79
.LBB300_145:                            ;   in Loop: Header=BB300_13 Depth=1
	v_cvt_f32_i32_e32 v3, v3
	v_add_f32_e32 v2, v2, v3
	s_waitcnt vmcnt(1)
	v_lshlrev_b32_e32 v3, 16, v18
	v_add_f32_e32 v3, v2, v3
	v_and_b32_e32 v2, 0x7f800000, v3
	v_cmp_ne_u32_e32 vcc, s48, v2
                                        ; implicit-def: $vgpr2
	s_and_saveexec_b64 s[4:5], vcc
	s_xor_b64 s[4:5], exec, s[4:5]
; %bb.146:                              ;   in Loop: Header=BB300_13 Depth=1
	v_bfe_u32 v2, v3, 16, 1
	v_add3_u32 v2, v3, v2, s14
                                        ; implicit-def: $vgpr3
; %bb.147:                              ;   in Loop: Header=BB300_13 Depth=1
	s_andn2_saveexec_b64 s[4:5], s[4:5]
; %bb.148:                              ;   in Loop: Header=BB300_13 Depth=1
	v_or_b32_e32 v2, 0x10000, v3
	v_cmp_eq_u32_sdwa vcc, v3, v5 src0_sel:WORD_0 src1_sel:DWORD
	s_nop 1
	v_cndmask_b32_e32 v2, v2, v3, vcc
; %bb.149:                              ;   in Loop: Header=BB300_13 Depth=1
	s_or_b64 exec, exec, s[4:5]
	v_add_u32_e32 v8, 1, v4
	v_mov_b32_e32 v9, v5
	s_waitcnt lgkmcnt(0)
	v_lshl_add_u64 v[8:9], v[8:9], 1, s[22:23]
	global_store_short_d16_hi v[8:9], v2, off
	s_or_b64 exec, exec, s[8:9]
	s_and_b64 exec, exec, s[6:7]
	s_cbranch_execz .LBB300_155
.LBB300_150:                            ;   in Loop: Header=BB300_13 Depth=1
	v_cvt_f32_i32_e32 v1, v1
	v_add_f32_e32 v0, v0, v1
	s_waitcnt vmcnt(0)
	v_lshlrev_b32_e32 v1, 16, v11
	v_add_f32_e32 v1, v0, v1
	v_and_b32_e32 v0, 0x7f800000, v1
	v_cmp_ne_u32_e32 vcc, s48, v0
                                        ; implicit-def: $vgpr0
	s_and_saveexec_b64 s[4:5], vcc
	s_xor_b64 s[4:5], exec, s[4:5]
; %bb.151:                              ;   in Loop: Header=BB300_13 Depth=1
	v_bfe_u32 v0, v1, 16, 1
	v_add3_u32 v0, v1, v0, s14
                                        ; implicit-def: $vgpr1
; %bb.152:                              ;   in Loop: Header=BB300_13 Depth=1
	s_andn2_saveexec_b64 s[4:5], s[4:5]
; %bb.153:                              ;   in Loop: Header=BB300_13 Depth=1
	v_or_b32_e32 v0, 0x10000, v1
	v_cmp_eq_u32_sdwa vcc, v1, v5 src0_sel:WORD_0 src1_sel:DWORD
	s_nop 1
	v_cndmask_b32_e32 v0, v0, v1, vcc
; %bb.154:                              ;   in Loop: Header=BB300_13 Depth=1
	s_or_b64 exec, exec, s[4:5]
	v_add_u32_e32 v4, 2, v4
	s_waitcnt lgkmcnt(0)
	v_lshl_add_u64 v[2:3], v[4:5], 1, s[22:23]
	global_store_short_d16_hi v[2:3], v0, off
.LBB300_155:                            ;   in Loop: Header=BB300_13 Depth=1
	s_or_b64 exec, exec, s[30:31]
	s_waitcnt vmcnt(2)
	v_add_u32_e32 v64, s39, v64
	v_add_u32_e32 v0, 3, v64
	v_cmp_gt_u32_e32 vcc, s15, v64
	v_cmp_le_u32_e64 s[4:5], s15, v0
	s_and_b64 s[4:5], vcc, s[4:5]
	s_and_saveexec_b64 s[6:7], s[4:5]
	s_cbranch_execz .LBB300_12
; %bb.156:                              ;   in Loop: Header=BB300_13 Depth=1
	v_cmp_ne_u32_e32 vcc, s40, v64
	s_and_saveexec_b64 s[8:9], vcc
	s_cbranch_execz .LBB300_11
; %bb.157:                              ;   in Loop: Header=BB300_13 Depth=1
	v_subrev_u32_e32 v0, s40, v64
	v_cmp_lt_u32_e32 vcc, 1, v0
	s_mov_b64 s[30:31], 0
	s_mov_b64 s[34:35], 0
	v_cndmask_b32_e32 v0, 1, v0, vcc
.LBB300_158:                            ;   Parent Loop BB300_13 Depth=1
                                        ; =>  This Inner Loop Header: Depth=2
	s_cmp_lg_u32 s34, 2
	s_cselect_b64 vcc, -1, 0
	s_cmp_lg_u32 s34, 1
	v_cndmask_b32_e32 v62, 0, v62, vcc
	s_cselect_b64 vcc, -1, 0
	s_cmp_lg_u32 s34, 0
	v_cndmask_b32_e32 v61, 0, v61, vcc
	s_cselect_b64 vcc, -1, 0
	s_add_u32 s34, s34, 1
	s_addc_u32 s35, s35, 0
	v_cmp_eq_u32_e64 s[4:5], s34, v0
	s_or_b64 s[30:31], s[4:5], s[30:31]
	v_cndmask_b32_e32 v60, 0, v60, vcc
	s_andn2_b64 exec, exec, s[30:31]
	s_cbranch_execnz .LBB300_158
; %bb.159:                              ;   in Loop: Header=BB300_13 Depth=1
	s_or_b64 exec, exec, s[30:31]
	s_branch .LBB300_11
.LBB300_160:
	s_endpgm
	.section	.rodata,"a",@progbits
	.p2align	6, 0x0
	.amdhsa_kernel _Z12wvSplitK_hf_I14__hip_bfloat16Li64ELi3ELi16ELi8ELi2ELi5EEviiiiiiPKT_S3_S3_PS1_ii
		.amdhsa_group_segment_fixed_size 65536
		.amdhsa_private_segment_fixed_size 120
		.amdhsa_kernarg_size 64
		.amdhsa_user_sgpr_count 2
		.amdhsa_user_sgpr_dispatch_ptr 0
		.amdhsa_user_sgpr_queue_ptr 0
		.amdhsa_user_sgpr_kernarg_segment_ptr 1
		.amdhsa_user_sgpr_dispatch_id 0
		.amdhsa_user_sgpr_kernarg_preload_length 0
		.amdhsa_user_sgpr_kernarg_preload_offset 0
		.amdhsa_user_sgpr_private_segment_size 0
		.amdhsa_uses_dynamic_stack 0
		.amdhsa_enable_private_segment 1
		.amdhsa_system_sgpr_workgroup_id_x 1
		.amdhsa_system_sgpr_workgroup_id_y 0
		.amdhsa_system_sgpr_workgroup_id_z 0
		.amdhsa_system_sgpr_workgroup_info 0
		.amdhsa_system_vgpr_workitem_id 1
		.amdhsa_next_free_vgpr 128
		.amdhsa_next_free_sgpr 49
		.amdhsa_accum_offset 128
		.amdhsa_reserve_vcc 1
		.amdhsa_float_round_mode_32 0
		.amdhsa_float_round_mode_16_64 0
		.amdhsa_float_denorm_mode_32 3
		.amdhsa_float_denorm_mode_16_64 3
		.amdhsa_dx10_clamp 1
		.amdhsa_ieee_mode 1
		.amdhsa_fp16_overflow 0
		.amdhsa_tg_split 0
		.amdhsa_exception_fp_ieee_invalid_op 0
		.amdhsa_exception_fp_denorm_src 0
		.amdhsa_exception_fp_ieee_div_zero 0
		.amdhsa_exception_fp_ieee_overflow 0
		.amdhsa_exception_fp_ieee_underflow 0
		.amdhsa_exception_fp_ieee_inexact 0
		.amdhsa_exception_int_div_zero 0
	.end_amdhsa_kernel
	.section	.text._Z12wvSplitK_hf_I14__hip_bfloat16Li64ELi3ELi16ELi8ELi2ELi5EEviiiiiiPKT_S3_S3_PS1_ii,"axG",@progbits,_Z12wvSplitK_hf_I14__hip_bfloat16Li64ELi3ELi16ELi8ELi2ELi5EEviiiiiiPKT_S3_S3_PS1_ii,comdat
.Lfunc_end300:
	.size	_Z12wvSplitK_hf_I14__hip_bfloat16Li64ELi3ELi16ELi8ELi2ELi5EEviiiiiiPKT_S3_S3_PS1_ii, .Lfunc_end300-_Z12wvSplitK_hf_I14__hip_bfloat16Li64ELi3ELi16ELi8ELi2ELi5EEviiiiiiPKT_S3_S3_PS1_ii
                                        ; -- End function
	.section	.AMDGPU.csdata,"",@progbits
; Kernel info:
; codeLenInByte = 7992
; NumSgprs: 55
; NumVgprs: 128
; NumAgprs: 0
; TotalNumVgprs: 128
; ScratchSize: 120
; MemoryBound: 1
; FloatMode: 240
; IeeeMode: 1
; LDSByteSize: 65536 bytes/workgroup (compile time only)
; SGPRBlocks: 6
; VGPRBlocks: 15
; NumSGPRsForWavesPerEU: 55
; NumVGPRsForWavesPerEU: 128
; AccumOffset: 128
; Occupancy: 4
; WaveLimiterHint : 0
; COMPUTE_PGM_RSRC2:SCRATCH_EN: 1
; COMPUTE_PGM_RSRC2:USER_SGPR: 2
; COMPUTE_PGM_RSRC2:TRAP_HANDLER: 0
; COMPUTE_PGM_RSRC2:TGID_X_EN: 1
; COMPUTE_PGM_RSRC2:TGID_Y_EN: 0
; COMPUTE_PGM_RSRC2:TGID_Z_EN: 0
; COMPUTE_PGM_RSRC2:TIDIG_COMP_CNT: 1
; COMPUTE_PGM_RSRC3_GFX90A:ACCUM_OFFSET: 31
; COMPUTE_PGM_RSRC3_GFX90A:TG_SPLIT: 0
	.section	.text._Z16wvSplitK_hf_big_I14__hip_bfloat16Li64ELi3ELi16ELi8ELi2ELi5EEviiiiiiPKT_S3_S3_PS1_ii,"axG",@progbits,_Z16wvSplitK_hf_big_I14__hip_bfloat16Li64ELi3ELi16ELi8ELi2ELi5EEviiiiiiPKT_S3_S3_PS1_ii,comdat
	.protected	_Z16wvSplitK_hf_big_I14__hip_bfloat16Li64ELi3ELi16ELi8ELi2ELi5EEviiiiiiPKT_S3_S3_PS1_ii ; -- Begin function _Z16wvSplitK_hf_big_I14__hip_bfloat16Li64ELi3ELi16ELi8ELi2ELi5EEviiiiiiPKT_S3_S3_PS1_ii
	.globl	_Z16wvSplitK_hf_big_I14__hip_bfloat16Li64ELi3ELi16ELi8ELi2ELi5EEviiiiiiPKT_S3_S3_PS1_ii
	.p2align	8
	.type	_Z16wvSplitK_hf_big_I14__hip_bfloat16Li64ELi3ELi16ELi8ELi2ELi5EEviiiiiiPKT_S3_S3_PS1_ii,@function
_Z16wvSplitK_hf_big_I14__hip_bfloat16Li64ELi3ELi16ELi8ELi2ELi5EEviiiiiiPKT_S3_S3_PS1_ii: ; @_Z16wvSplitK_hf_big_I14__hip_bfloat16Li64ELi3ELi16ELi8ELi2ELi5EEviiiiiiPKT_S3_S3_PS1_ii
; %bb.0:
	s_load_dwordx2 s[8:9], s[0:1], 0x38
	v_bfe_u32 v4, v0, 10, 10
	s_waitcnt lgkmcnt(0)
	v_cmp_gt_u32_e32 vcc, s8, v4
	s_and_saveexec_b64 s[4:5], vcc
	s_cbranch_execz .LBB301_130
; %bb.1:
	s_load_dwordx4 s[20:23], s[0:1], 0x0
	s_mul_i32 s2, s2, s8
	v_add_u32_e32 v1, s2, v4
	v_lshl_add_u32 v6, v1, 1, v1
	s_mov_b32 s4, 1
	v_add_u32_e32 v1, 3, v6
	s_mov_b32 s6, s4
	s_waitcnt lgkmcnt(0)
	v_cmp_gt_u32_e32 vcc, s23, v6
	v_cmp_le_u32_e64 s[2:3], s23, v1
	s_mov_b32 s5, s4
	v_mov_b32_e32 v126, s6
	s_and_b64 s[10:11], vcc, s[2:3]
	v_mov_b32_e32 v125, s5
	v_mov_b32_e32 v124, s4
	s_and_saveexec_b64 s[2:3], s[10:11]
	s_cbranch_execz .LBB301_7
; %bb.2:
	s_add_i32 s7, s23, -3
	v_mov_b32_e32 v126, s6
	v_cmp_ne_u32_e32 vcc, s7, v6
	v_mov_b32_e32 v125, s5
	v_mov_b32_e32 v124, s4
	s_and_saveexec_b64 s[10:11], vcc
	s_cbranch_execz .LBB301_6
; %bb.3:
	v_subrev_u32_e32 v1, s7, v6
	v_cmp_lt_u32_e32 vcc, 1, v1
	s_mov_b64 s[12:13], 0
	s_mov_b64 s[14:15], 0
	v_cndmask_b32_e32 v2, 1, v1, vcc
	s_mov_b32 s5, s4
	s_mov_b32 s6, s4
.LBB301_4:                              ; =>This Inner Loop Header: Depth=1
	s_cmp_lg_u32 s14, 2
	s_cselect_b32 s6, s6, 0
	s_cmp_lg_u32 s14, 1
	s_cselect_b32 s5, s5, 0
	s_cmp_lg_u32 s14, 0
	s_cselect_b32 s4, s4, 0
	s_add_u32 s14, s14, 1
	s_addc_u32 s15, s15, 0
	v_cmp_eq_u32_e32 vcc, s14, v2
	v_mov_b32_e32 v126, s6
	s_or_b64 s[12:13], vcc, s[12:13]
	v_mov_b32_e32 v125, s5
	v_mov_b32_e32 v124, s4
	s_andn2_b64 exec, exec, s[12:13]
	s_cbranch_execnz .LBB301_4
; %bb.5:
	s_or_b64 exec, exec, s[12:13]
	v_mov_b32_e32 v6, s7
.LBB301_6:
	s_or_b64 exec, exec, s[10:11]
.LBB301_7:
	s_or_b64 exec, exec, s[2:3]
	s_mul_i32 s46, s8, 3
	s_abs_i32 s2, s46
	v_cvt_f32_u32_e32 v1, s2
	s_sub_i32 s5, 0, s2
	s_abs_i32 s4, s23
	s_ashr_i32 s3, s23, 31
	v_rcp_iflag_f32_e32 v1, v1
	s_nop 0
	v_mul_f32_e32 v1, 0x4f7ffffe, v1
	v_cvt_u32_f32_e32 v1, v1
	s_nop 0
	v_readfirstlane_b32 s6, v1
	s_mul_i32 s5, s5, s6
	s_mul_hi_u32 s5, s6, s5
	s_add_i32 s6, s6, s5
	s_mul_hi_u32 s5, s4, s6
	s_mul_i32 s5, s5, s2
	s_sub_i32 s4, s4, s5
	s_sub_i32 s5, s4, s2
	s_cmp_ge_u32 s4, s2
	s_cselect_b32 s4, s5, s4
	s_sub_i32 s5, s4, s2
	s_cmp_ge_u32 s4, s2
	s_cselect_b32 s2, s5, s4
	s_xor_b32 s2, s2, s3
	s_sub_i32 s2, s2, s3
	s_add_i32 s3, s46, s23
	s_sub_i32 s3, s3, s2
	s_cmp_eq_u32 s2, 0
	s_cselect_b32 s33, s23, s3
	v_cmp_gt_u32_e32 vcc, s33, v6
	s_and_b64 exec, exec, vcc
	s_cbranch_execz .LBB301_130
; %bb.8:
	s_load_dwordx8 s[12:19], s[0:1], 0x10
	s_min_u32 s42, s22, 0x1800
	s_cmp_lg_u32 s20, 0
	s_cselect_b64 s[2:3], -1, 0
	s_cmp_lg_u32 s22, 0
	s_cselect_b64 s[4:5], -1, 0
	s_lshl_b32 s43, s8, 9
	s_add_i32 s44, s20, -8
	s_add_i32 s45, s23, -1
	s_waitcnt lgkmcnt(0)
	s_cmp_lg_u64 s[18:19], 0
	s_cselect_b64 s[28:29], -1, 0
	s_abs_i32 s6, s13
	v_cvt_f32_u32_e32 v1, s12
	v_cvt_f32_u32_e32 v2, s6
	s_sub_i32 s7, 0, s12
	s_mul_i32 s46, s46, s9
	v_rcp_iflag_f32_e32 v1, v1
	v_rcp_iflag_f32_e32 v2, v2
	s_add_i32 s13, s23, -3
	v_and_b32_e32 v0, 0x3ff, v0
	v_mul_f32_e32 v1, 0x4f7ffffe, v1
	v_mul_f32_e32 v2, 0x4f7ffffe, v2
	v_cvt_u32_f32_e32 v1, v1
	v_cvt_u32_f32_e32 v2, v2
	s_load_dwordx2 s[24:25], s[0:1], 0x30
	v_lshlrev_b32_e32 v5, 3, v0
	v_mul_lo_u32 v3, s7, v1
	s_sub_i32 s7, 0, s6
	v_readfirstlane_b32 s9, v2
	s_mul_i32 s7, s7, s9
	s_mul_hi_u32 s7, s9, s7
	s_add_i32 s9, s9, s7
	s_sub_i32 s7, 1, s6
	s_cmp_lt_u32 s6, 2
	s_cselect_b32 s7, s7, 1
	s_sub_i32 s10, s7, s6
	s_cmp_ge_u32 s7, s6
	s_cselect_b32 s47, s10, s7
	s_lshr_b32 s7, s9, 31
	s_mul_i32 s7, s7, s6
	s_sub_i32 s7, 2, s7
	s_sub_i32 s10, s7, s6
	s_cmp_ge_u32 s7, s6
	s_cselect_b32 s7, s10, s7
	s_sub_i32 s10, s7, s6
	s_cmp_ge_u32 s7, s6
	s_cselect_b32 s48, s10, s7
	s_mul_hi_u32 s7, s9, 3
	s_mul_i32 s7, s7, s6
	s_sub_i32 s7, 3, s7
	s_sub_i32 s10, s7, s6
	s_cmp_ge_u32 s7, s6
	s_cselect_b32 s7, s10, s7
	s_sub_i32 s10, s7, s6
	s_cmp_ge_u32 s7, s6
	s_cselect_b32 s49, s10, s7
	s_lshr_b32 s7, s9, 30
	s_mul_i32 s7, s7, s6
	v_cmp_eq_u32_e64 s[0:1], 63, v0
	s_sub_i32 s7, 4, s7
	v_lshlrev_b32_e32 v0, 4, v0
	s_sub_i32 s9, s7, s6
	v_lshl_add_u32 v0, v4, 10, v0
	v_lshl_add_u32 v2, v4, 9, v5
	s_cmp_ge_u32 s7, s6
	scratch_store_dword off, v0, off offset:60 ; 4-byte Folded Spill
	v_lshl_add_u32 v0, s22, 1, v2
	s_cselect_b32 s7, s9, s7
	scratch_store_dword off, v0, off offset:64 ; 4-byte Folded Spill
	v_lshl_add_u32 v0, s22, 2, v2
	s_sub_i32 s9, s7, s6
	scratch_store_dword off, v0, off offset:76 ; 4-byte Folded Spill
	v_add_u32_e32 v0, s22, v2
	v_mul_hi_u32 v3, v1, v3
	s_cmp_ge_u32 s7, s6
	scratch_store_dword off, v0, off offset:80 ; 4-byte Folded Spill
	v_cndmask_b32_e64 v0, 0, 1, s[2:3]
	v_add_u32_e32 v1, v1, v3
	s_cselect_b32 s50, s9, s7
	s_waitcnt lgkmcnt(0)
	s_add_u32 s30, s24, 2
	v_cmp_ne_u32_e64 s[2:3], 1, v0
	v_cndmask_b32_e64 v0, 0, 1, s[4:5]
	s_mov_b64 s[26:27], 0
	scratch_store_dword off, v1, off offset:92 ; 4-byte Folded Spill
	v_mov_b32_e32 v1, 0
	s_mul_i32 s47, s47, s12
	s_mul_i32 s48, s48, s12
	;; [unrolled: 1-line block ×4, first 2 shown]
	s_addc_u32 s31, s25, 0
	s_lshl_b32 s51, s42, 3
	s_lshl_b32 s52, s8, 10
	s_mul_i32 s53, s42, 6
	s_lshl_b32 s54, s42, 2
	s_lshl_b32 s55, s42, 1
	scratch_store_dword off, v5, off offset:56 ; 4-byte Folded Spill
	v_mad_u64_u32 v[4:5], s[6:7], s22, 3, v[2:3]
	s_mov_b32 s56, 0x7f800000
	s_movk_i32 s57, 0x7fff
	v_cmp_ne_u32_e64 s[4:5], 1, v0
	scratch_store_dwordx2 off, v[4:5], off offset:68 ; 8-byte Folded Spill
	s_branch .LBB301_12
.LBB301_9:                              ;   in Loop: Header=BB301_12 Depth=1
	s_or_b64 exec, exec, s[10:11]
	v_mov_b32_e32 v50, s13
.LBB301_10:                             ;   in Loop: Header=BB301_12 Depth=1
	s_or_b64 exec, exec, s[8:9]
	scratch_store_dwordx2 off, v[50:51], off offset:84 ; 8-byte Folded Spill
.LBB301_11:                             ;   in Loop: Header=BB301_12 Depth=1
	s_or_b64 exec, exec, s[34:35]
	scratch_load_dwordx2 v[6:7], off, off offset:84 ; 8-byte Folded Reload
	s_waitcnt vmcnt(0)
	v_cmp_le_u32_e32 vcc, s33, v6
	s_or_b64 s[26:27], vcc, s[26:27]
	s_andn2_b64 exec, exec, s[26:27]
	s_cbranch_execz .LBB301_130
.LBB301_12:                             ; =>This Loop Header: Depth=1
                                        ;     Child Loop BB301_17 Depth 2
                                        ;       Child Loop BB301_22 Depth 3
                                        ;     Child Loop BB301_128 Depth 2
	s_and_b64 vcc, exec, s[2:3]
	v_mov_b32_e32 v87, v1
	v_mov_b32_e32 v86, v1
	v_mov_b32_e32 v85, v1
	v_mov_b32_e32 v84, v1
	v_mov_b32_e32 v91, v1
	v_mov_b32_e32 v90, v1
	v_mov_b32_e32 v89, v1
	v_mov_b32_e32 v88, v1
	v_mov_b32_e32 v11, v1
	v_mov_b32_e32 v10, v1
	v_mov_b32_e32 v9, v1
	v_mov_b32_e32 v8, v1
	v_mov_b32_e32 v15, v1
	v_mov_b32_e32 v14, v1
	v_mov_b32_e32 v13, v1
	v_mov_b32_e32 v12, v1
	v_mov_b32_e32 v19, v1
	v_mov_b32_e32 v18, v1
	v_mov_b32_e32 v17, v1
	v_mov_b32_e32 v16, v1
	v_mov_b32_e32 v23, v1
	v_mov_b32_e32 v22, v1
	v_mov_b32_e32 v21, v1
	v_mov_b32_e32 v20, v1
	v_mov_b32_e32 v59, v1
	v_mov_b32_e32 v58, v1
	v_mov_b32_e32 v57, v1
	v_mov_b32_e32 v56, v1
	v_mov_b32_e32 v55, v1
	v_mov_b32_e32 v54, v1
	v_mov_b32_e32 v53, v1
	v_mov_b32_e32 v52, v1
	v_mov_b32_e32 v51, v1
	v_mov_b32_e32 v50, v1
	v_mov_b32_e32 v49, v1
	v_mov_b32_e32 v48, v1
	v_mov_b32_e32 v47, v1
	v_mov_b32_e32 v46, v1
	v_mov_b32_e32 v45, v1
	v_mov_b32_e32 v44, v1
	v_mov_b32_e32 v43, v1
	v_mov_b32_e32 v42, v1
	v_mov_b32_e32 v41, v1
	v_mov_b32_e32 v40, v1
	v_mov_b32_e32 v39, v1
	v_mov_b32_e32 v38, v1
	v_mov_b32_e32 v37, v1
	v_mov_b32_e32 v36, v1
	v_mov_b32_e32 v35, v1
	v_mov_b32_e32 v34, v1
	v_mov_b32_e32 v33, v1
	v_mov_b32_e32 v32, v1
	v_mov_b32_e32 v31, v1
	v_mov_b32_e32 v30, v1
	v_mov_b32_e32 v29, v1
	v_mov_b32_e32 v28, v1
	v_mov_b32_e32 v27, v1
	v_mov_b32_e32 v26, v1
	v_mov_b32_e32 v25, v1
	v_mov_b32_e32 v24, v1
	scratch_store_dwordx2 off, v[6:7], off offset:84 ; 8-byte Folded Spill
	s_cbranch_vccnz .LBB301_29
; %bb.13:                               ;   in Loop: Header=BB301_12 Depth=1
	scratch_load_dwordx2 v[4:5], off, off offset:84 ; 8-byte Folded Reload
	s_waitcnt vmcnt(0)
	v_mov_b32_e32 v5, v1
	v_mov_b32_e32 v7, v1
	;; [unrolled: 1-line block ×3, first 2 shown]
	s_mov_b32 s36, 0
	s_mov_b32 s37, 0
	v_mov_b32_e32 v25, v24
	v_mov_b32_e32 v26, v24
	v_mov_b32_e32 v27, v24
	v_mov_b32_e32 v28, v24
	v_mov_b32_e32 v29, v24
	v_mov_b32_e32 v30, v24
	v_mov_b32_e32 v31, v24
	v_mov_b32_e32 v32, v24
	v_mov_b32_e32 v33, v24
	v_mov_b32_e32 v34, v24
	v_mov_b32_e32 v35, v24
	v_mov_b32_e32 v36, v24
	v_mov_b32_e32 v37, v24
	v_mov_b32_e32 v38, v24
	v_mov_b32_e32 v39, v24
	v_mov_b32_e32 v40, v24
	v_mov_b32_e32 v41, v24
	v_mov_b32_e32 v42, v24
	v_mov_b32_e32 v43, v24
	v_mov_b32_e32 v44, v24
	v_mov_b32_e32 v45, v24
	v_mov_b32_e32 v46, v24
	v_mov_b32_e32 v47, v24
	v_mov_b32_e32 v48, v24
	v_mov_b32_e32 v49, v24
	v_mov_b32_e32 v50, v24
	v_mov_b32_e32 v51, v24
	v_mov_b32_e32 v52, v24
	v_mov_b32_e32 v53, v24
	v_mov_b32_e32 v54, v24
	v_mov_b32_e32 v55, v24
	v_mov_b32_e32 v56, v24
	v_mov_b32_e32 v57, v24
	v_mov_b32_e32 v58, v24
	v_mov_b32_e32 v59, v24
	v_mov_b32_e32 v20, v24
	v_mov_b32_e32 v21, v24
	v_mov_b32_e32 v22, v24
	v_mov_b32_e32 v23, v24
	v_mov_b32_e32 v16, v24
	v_mov_b32_e32 v17, v24
	v_mov_b32_e32 v18, v24
	v_mov_b32_e32 v19, v24
	v_mov_b32_e32 v12, v24
	v_mov_b32_e32 v13, v24
	v_mov_b32_e32 v14, v24
	v_mov_b32_e32 v15, v24
	v_mov_b32_e32 v10, v24
	v_mov_b32_e32 v11, v24
	v_mov_b32_e32 v88, v24
	v_mov_b32_e32 v89, v24
	v_mov_b32_e32 v90, v24
	v_mov_b32_e32 v91, v24
	v_mov_b32_e32 v84, v24
	v_mov_b32_e32 v85, v24
	v_mov_b32_e32 v86, v24
	v_mov_b32_e32 v87, v24
	v_mov_b32_e32 v6, v4
	v_add_u32_e32 v3, 1, v6
	v_min_u32_e32 v3, s45, v3
	v_min_u32_e32 v0, s45, v6
	v_mul_lo_u32 v4, v3, s21
	v_add_u32_e32 v3, 2, v6
	v_mul_lo_u32 v0, v0, s21
	v_min_u32_e32 v3, s45, v3
	v_cmp_gt_u32_e64 s[6:7], s23, v6
	v_mul_lo_u32 v6, v3, s21
	v_lshlrev_b64 v[8:9], 1, v[0:1]
	v_lshlrev_b64 v[4:5], 1, v[4:5]
	scratch_store_dwordx2 off, v[8:9], off offset:32 ; 8-byte Folded Spill
	scratch_store_dwordx2 off, v[4:5], off offset:40 ; 8-byte Folded Spill
	v_lshlrev_b64 v[4:5], 1, v[6:7]
	v_mov_b32_e32 v8, v24
	v_mov_b32_e32 v9, v24
	scratch_store_dwordx2 off, v[4:5], off offset:48 ; 8-byte Folded Spill
	s_branch .LBB301_17
.LBB301_14:                             ;   in Loop: Header=BB301_17 Depth=2
	s_or_b64 exec, exec, s[34:35]
.LBB301_15:                             ;   in Loop: Header=BB301_17 Depth=2
	s_or_b64 exec, exec, s[10:11]
	s_waitcnt lgkmcnt(4)
	v_mfma_f32_4x4x4_16b_bf16 v[4:7], v[120:121], v[76:77], v[56:59]
	s_nop 0
	scratch_load_dwordx4 v[56:59], off, off offset:16 ; 16-byte Folded Reload
	v_mfma_f32_4x4x4_16b_bf16 v[52:55], v[120:121], v[72:73], v[52:55]
	s_waitcnt lgkmcnt(3)
	v_mfma_f32_4x4x4_16b_bf16 v[40:43], v[116:117], v[72:73], v[40:43]
	s_waitcnt lgkmcnt(2)
	;; [unrolled: 2-line block ×3, first 2 shown]
	v_mfma_f32_4x4x4_16b_bf16 v[16:19], v[108:109], v[72:73], v[16:19]
	v_mfma_f32_4x4x4_16b_bf16 v[52:55], v[122:123], v[74:75], v[52:55]
	;; [unrolled: 1-line block ×6, first 2 shown]
	s_waitcnt vmcnt(4)
	v_mfma_f32_4x4x4_16b_bf16 v[48:51], v[120:121], v[80:81], v[48:51]
	v_mfma_f32_4x4x4_16b_bf16 v[44:47], v[116:117], v[76:77], v[44:47]
	;; [unrolled: 1-line block ×4, first 2 shown]
	s_waitcnt lgkmcnt(0)
	v_mfma_f32_4x4x4_16b_bf16 v[8:11], v[100:101], v[76:77], v[8:11]
	s_waitcnt vmcnt(3)
	v_mfma_f32_4x4x4_16b_bf16 v[4:7], v[104:105], v[60:61], v[4:7]
	v_mfma_f32_4x4x4_16b_bf16 v[48:51], v[122:123], v[82:83], v[48:51]
	;; [unrolled: 1-line block ×8, first 2 shown]
	s_nop 0
	v_mfma_f32_4x4x4_16b_bf16 v[36:39], v[118:119], v[82:83], v[36:39]
	v_mfma_f32_4x4x4_16b_bf16 v[24:27], v[114:115], v[82:83], v[24:27]
	;; [unrolled: 1-line block ×3, first 2 shown]
	s_waitcnt vmcnt(0)
	v_mfma_f32_4x4x4_16b_bf16 v[56:59], v[100:101], v[72:73], v[56:59]
	s_nop 1
	v_mfma_f32_4x4x4_16b_bf16 v[72:75], v[102:103], v[74:75], v[56:59]
	s_nop 1
	scratch_load_dwordx4 v[56:59], off, off ; 16-byte Folded Reload
	v_mfma_f32_4x4x4_16b_bf16 v[12:15], v[110:111], v[82:83], v[12:15]
	s_waitcnt vmcnt(0)
	v_mfma_f32_4x4x4_16b_bf16 v[56:59], v[100:101], v[80:81], v[56:59]
	s_nop 1
	v_mfma_f32_4x4x4_16b_bf16 v[76:79], v[102:103], v[82:83], v[56:59]
	v_mfma_f32_4x4x4_16b_bf16 v[56:59], v[106:107], v[62:63], v[4:7]
	;; [unrolled: 1-line block ×3, first 2 shown]
	s_nop 1
	v_mfma_f32_4x4x4_16b_bf16 v[52:55], v[106:107], v[70:71], v[4:7]
	v_mfma_f32_4x4x4_16b_bf16 v[4:7], v[104:105], v[64:65], v[48:51]
	s_nop 1
	v_mfma_f32_4x4x4_16b_bf16 v[48:51], v[106:107], v[66:67], v[4:7]
	v_mfma_f32_4x4x4_16b_bf16 v[4:7], v[96:97], v[60:61], v[44:47]
	;; [unrolled: 3-line block ×13, first 2 shown]
	s_nop 1
	v_mfma_f32_4x4x4_16b_bf16 v[84:87], v[86:87], v[66:67], v[4:7]
.LBB301_16:                             ;   in Loop: Header=BB301_17 Depth=2
	s_or_b64 exec, exec, s[8:9]
	s_addk_i32 s37, 0x400
	s_cmp_ge_u32 s37, s20
	s_cbranch_scc1 .LBB301_29
.LBB301_17:                             ;   Parent Loop BB301_12 Depth=1
                                        ; =>  This Loop Header: Depth=2
                                        ;       Child Loop BB301_22 Depth 3
	s_cmp_eq_u32 s37, 0
	s_cselect_b64 s[8:9], -1, 0
	s_add_i32 s10, s36, s42
	s_cmp_eq_u32 s37, s10
	s_cselect_b64 s[34:35], -1, 0
	s_or_b64 s[34:35], s[8:9], s[34:35]
	s_andn2_b64 vcc, exec, s[34:35]
	s_cbranch_vccz .LBB301_19
; %bb.18:                               ;   in Loop: Header=BB301_17 Depth=2
	s_and_saveexec_b64 s[8:9], s[6:7]
	s_cbranch_execz .LBB301_16
	s_branch .LBB301_26
.LBB301_19:                             ;   in Loop: Header=BB301_17 Depth=2
	s_and_b64 s[8:9], s[8:9], exec
	s_cselect_b32 s36, s36, s10
	s_and_b64 vcc, exec, s[4:5]
	s_barrier
	s_cbranch_vccnz .LBB301_25
; %bb.20:                               ;   in Loop: Header=BB301_17 Depth=2
	scratch_load_dword v0, off, off offset:64 ; 4-byte Folded Reload
	scratch_load_dwordx2 v[4:5], off, off offset:68 ; 8-byte Folded Reload
	scratch_load_dword v65, off, off offset:60 ; 4-byte Folded Reload
	v_add_u32_e32 v64, s36, v2
	s_mov_b32 s38, 0
	s_mov_b64 s[10:11], 0
                                        ; implicit-def: $sgpr34_sgpr35
	s_waitcnt vmcnt(2)
	v_add_u32_e32 v60, s36, v0
	scratch_load_dword v0, off, off offset:76 ; 4-byte Folded Reload
	s_waitcnt vmcnt(2)
	v_add_u32_e32 v61, s36, v4
	s_waitcnt vmcnt(0)
	v_add_u32_e32 v62, s36, v0
	scratch_load_dword v0, off, off offset:80 ; 4-byte Folded Reload
	s_waitcnt vmcnt(0)
	v_add_u32_e32 v63, s36, v0
	s_branch .LBB301_22
.LBB301_21:                             ;   in Loop: Header=BB301_22 Depth=3
	s_or_b64 exec, exec, s[8:9]
	s_and_b64 s[8:9], exec, s[34:35]
	s_or_b64 s[10:11], s[8:9], s[10:11]
	s_andn2_b64 exec, exec, s[10:11]
	s_cbranch_execz .LBB301_24
.LBB301_22:                             ;   Parent Loop BB301_12 Depth=1
                                        ;     Parent Loop BB301_17 Depth=2
                                        ; =>    This Inner Loop Header: Depth=3
	v_add_u32_e32 v3, s38, v2
	v_add_u32_e32 v0, s38, v64
	v_cmp_gt_u32_e32 vcc, s22, v0
	v_cmp_gt_u32_e64 s[8:9], s42, v3
	s_and_b64 s[40:41], s[8:9], vcc
	s_or_b64 s[34:35], s[34:35], exec
	s_and_saveexec_b64 s[8:9], s[40:41]
	s_cbranch_execz .LBB301_21
; %bb.23:                               ;   in Loop: Header=BB301_22 Depth=3
	v_lshl_add_u64 v[4:5], v[0:1], 1, s[16:17]
	v_add_u32_e32 v0, s38, v63
	v_lshl_add_u64 v[66:67], v[0:1], 1, s[16:17]
	v_add_u32_e32 v0, s38, v60
	;; [unrolled: 2-line block ×3, first 2 shown]
	v_lshl_add_u64 v[74:75], v[0:1], 1, s[16:17]
	global_load_dwordx4 v[4:7], v[4:5], off
	s_nop 0
	global_load_dwordx4 v[66:69], v[66:67], off
	s_nop 0
	;; [unrolled: 2-line block ×3, first 2 shown]
	global_load_dwordx4 v[74:77], v[74:75], off
	v_add_u32_e32 v0, s38, v62
	v_lshl_add_u64 v[78:79], v[0:1], 1, s[16:17]
	global_load_dwordx4 v[78:81], v[78:79], off
	s_add_i32 s38, s38, s43
	s_cmp_ge_u32 s38, s42
	s_cselect_b64 s[40:41], -1, 0
	s_andn2_b64 s[34:35], s[34:35], exec
	s_and_b64 s[40:41], s[40:41], exec
	v_add_u32_e32 v0, s55, v65
	v_add_u32_e32 v3, s54, v65
	;; [unrolled: 1-line block ×4, first 2 shown]
	s_or_b64 s[34:35], s[34:35], s[40:41]
	s_waitcnt vmcnt(4)
	ds_write_b128 v65, v[4:7]
	v_add_u32_e32 v65, s52, v65
	s_waitcnt vmcnt(3)
	ds_write2_b64 v0, v[66:67], v[68:69] offset1:1
	s_waitcnt vmcnt(2)
	ds_write2_b32 v3, v70, v71 offset1:1
	ds_write2_b32 v3, v72, v73 offset0:2 offset1:3
	s_waitcnt vmcnt(1)
	ds_write2_b64 v82, v[74:75], v[76:77] offset1:1
	s_waitcnt vmcnt(0)
	ds_write2_b64 v83, v[78:79], v[80:81] offset1:1
	s_branch .LBB301_21
.LBB301_24:                             ;   in Loop: Header=BB301_17 Depth=2
	s_or_b64 exec, exec, s[10:11]
.LBB301_25:                             ;   in Loop: Header=BB301_17 Depth=2
	s_waitcnt lgkmcnt(0)
	s_barrier
	s_and_saveexec_b64 s[8:9], s[6:7]
	s_cbranch_execz .LBB301_16
.LBB301_26:                             ;   in Loop: Header=BB301_17 Depth=2
	scratch_store_dwordx4 off, v[88:91], off offset:16 ; 16-byte Folded Spill
	scratch_store_dwordx4 off, v[84:87], off ; 16-byte Folded Spill
	scratch_load_dword v0, off, off offset:56 ; 4-byte Folded Reload
	scratch_load_dwordx2 v[64:65], off, off offset:40 ; 8-byte Folded Reload
	scratch_load_dwordx2 v[62:63], off, off offset:32 ; 8-byte Folded Reload
	v_mov_b32_e32 v86, 0
	v_mov_b32_e32 v87, 0
	;; [unrolled: 1-line block ×40, first 2 shown]
	s_waitcnt vmcnt(2)
	v_add_u32_e32 v3, s37, v0
	v_min_u32_e32 v0, s44, v3
	v_lshl_add_u64 v[4:5], v[0:1], 1, s[14:15]
	s_waitcnt vmcnt(0)
	v_lshl_add_u64 v[6:7], v[4:5], 0, v[62:63]
	v_lshl_add_u64 v[60:61], v[4:5], 0, v[64:65]
	global_load_dwordx4 v[76:79], v[6:7], off nt
	global_load_dwordx4 v[72:75], v[60:61], off nt
	scratch_load_dwordx2 v[66:67], off, off offset:48 ; 8-byte Folded Reload
	v_add_u32_e32 v127, 0x200, v3
	v_min_u32_e32 v0, s44, v127
	v_lshl_add_u64 v[6:7], v[0:1], 1, s[14:15]
	v_lshl_add_u64 v[60:61], v[6:7], 0, v[62:63]
	v_cmp_gt_u32_e32 vcc, s20, v3
	s_waitcnt vmcnt(0)
	v_lshl_add_u64 v[4:5], v[4:5], 0, v[66:67]
	global_load_dwordx4 v[80:83], v[4:5], off nt
	s_nop 0
	global_load_dwordx4 v[60:63], v[60:61], off nt
	v_lshl_add_u64 v[4:5], v[6:7], 0, v[64:65]
	v_lshl_add_u64 v[6:7], v[6:7], 0, v[66:67]
	global_load_dwordx4 v[68:71], v[4:5], off nt
	global_load_dwordx4 v[64:67], v[6:7], off nt
	s_and_saveexec_b64 s[10:11], vcc
	s_cbranch_execz .LBB301_15
; %bb.27:                               ;   in Loop: Header=BB301_17 Depth=2
	v_subrev_u32_e32 v0, s36, v3
	v_lshlrev_b32_e32 v6, 1, v0
	v_add_u32_e32 v5, s55, v6
	v_add_u32_e32 v4, s55, v5
	;; [unrolled: 1-line block ×4, first 2 shown]
	ds_read_b128 v[120:123], v6
	ds_read_b128 v[116:119], v5
	;; [unrolled: 1-line block ×5, first 2 shown]
	v_cmp_gt_u32_e32 vcc, s20, v127
	v_mov_b32_e32 v105, 0
	v_mov_b32_e32 v104, 0
	;; [unrolled: 1-line block ×20, first 2 shown]
	s_and_saveexec_b64 s[34:35], vcc
	s_cbranch_execz .LBB301_14
; %bb.28:                               ;   in Loop: Header=BB301_17 Depth=2
	ds_read_b128 v[104:107], v6 offset:1024
	ds_read_b128 v[96:99], v5 offset:1024
	;; [unrolled: 1-line block ×4, first 2 shown]
	ds_read2_b64 v[84:87], v0 offset0:128 offset1:129
	s_branch .LBB301_14
.LBB301_29:                             ;   in Loop: Header=BB301_12 Depth=1
	scratch_load_dwordx2 v[4:5], off, off offset:84 ; 8-byte Folded Reload
	s_waitcnt vmcnt(0)
	v_cmp_le_u32_e32 vcc, s23, v4
	s_and_saveexec_b64 s[6:7], vcc
	s_xor_b64 s[6:7], exec, s[6:7]
	s_cbranch_execz .LBB301_31
; %bb.30:                               ;   in Loop: Header=BB301_12 Depth=1
	scratch_load_dwordx2 v[4:5], off, off offset:84 ; 8-byte Folded Reload
                                        ; implicit-def: $vgpr87
                                        ; implicit-def: $vgpr91
                                        ; implicit-def: $vgpr11
                                        ; implicit-def: $vgpr15
                                        ; implicit-def: $vgpr19
                                        ; implicit-def: $vgpr23
                                        ; implicit-def: $vgpr59
                                        ; implicit-def: $vgpr55
                                        ; implicit-def: $vgpr51
                                        ; implicit-def: $vgpr47
                                        ; implicit-def: $vgpr43
                                        ; implicit-def: $vgpr39
                                        ; implicit-def: $vgpr35
                                        ; implicit-def: $vgpr31
                                        ; implicit-def: $vgpr27
	s_waitcnt vmcnt(0)
	v_add_u32_e32 v4, s46, v4
	scratch_store_dwordx2 off, v[4:5], off offset:84 ; 8-byte Folded Spill
.LBB301_31:                             ;   in Loop: Header=BB301_12 Depth=1
	s_andn2_saveexec_b64 s[34:35], s[6:7]
	s_cbranch_execz .LBB301_11
; %bb.32:                               ;   in Loop: Header=BB301_12 Depth=1
	v_cvt_i32_f32_e32 v0, v57
	v_cvt_i32_f32_e32 v3, v58
	;; [unrolled: 1-line block ×4, first 2 shown]
	v_cvt_f32_i32_dpp v0, v0 row_shl:1 row_mask:0xf bank_mask:0xf bound_ctrl:1
	v_cvt_f32_i32_dpp v3, v3 row_shl:2 row_mask:0xf bank_mask:0xf bound_ctrl:1
	;; [unrolled: 1-line block ×3, first 2 shown]
	v_cvt_i32_f32_e32 v6, v54
	v_add_f32_e32 v0, v56, v0
	v_add_f32_e32 v0, v0, v3
	;; [unrolled: 1-line block ×3, first 2 shown]
	v_cvt_i32_f32_e32 v3, v0
	v_cvt_i32_f32_e32 v4, v55
	v_cvt_f32_i32_dpp v5, v5 row_shl:1 row_mask:0xf bank_mask:0xf bound_ctrl:1
	v_cvt_f32_i32_dpp v6, v6 row_shl:2 row_mask:0xf bank_mask:0xf bound_ctrl:1
	;; [unrolled: 1-line block ×4, first 2 shown]
	v_add_f32_e32 v5, v52, v5
	v_add_f32_e32 v5, v5, v6
	;; [unrolled: 1-line block ×3, first 2 shown]
	v_cvt_i32_f32_e32 v3, v0
	v_add_f32_e32 v4, v5, v4
	v_cvt_i32_f32_e32 v5, v4
	v_cvt_i32_f32_e32 v7, v49
	v_cvt_f32_i32_dpp v3, v3 row_shl:8 row_mask:0xf bank_mask:0xf bound_ctrl:1
	v_cvt_i32_f32_e32 v6, v50
	v_cvt_f32_i32_dpp v5, v5 row_shl:4 row_mask:0xf bank_mask:0xf bound_ctrl:1
	v_cvt_i32_f32_e32 v49, v51
	v_add_f32_e32 v0, v0, v3
	v_cvt_i32_f32_e32 v0, v0
	v_add_f32_e32 v4, v4, v5
	v_cvt_i32_f32_e32 v5, v4
	v_cvt_f32_i32_dpp v3, v7 row_shl:1 row_mask:0xf bank_mask:0xf bound_ctrl:1
	v_cvt_f32_i32_dpp v0, v0 row_shr:15 row_mask:0xf bank_mask:0xf bound_ctrl:1
	v_cvt_f32_i32_dpp v6, v6 row_shl:2 row_mask:0xf bank_mask:0xf bound_ctrl:1
	v_cvt_f32_i32_dpp v7, v49 row_shl:3 row_mask:0xf bank_mask:0xf bound_ctrl:1
	;; [unrolled: 1-line block ×3, first 2 shown]
	v_cvt_i32_f32_e32 v49, v0
	v_add_f32_e32 v3, v48, v3
	v_add_f32_e32 v3, v3, v6
	;; [unrolled: 1-line block ×3, first 2 shown]
	v_cvt_f32_i32_dpp v5, v49 row_bcast:15 row_mask:0xf bank_mask:0xf bound_ctrl:1
	v_cvt_i32_f32_e32 v4, v4
	v_add_f32_e32 v3, v3, v7
	v_cvt_i32_f32_e32 v6, v3
	v_add_f32_e32 v48, v0, v5
	v_cvt_f32_i32_dpp v0, v4 row_shr:15 row_mask:0xf bank_mask:0xf bound_ctrl:1
	v_cvt_i32_f32_e32 v4, v48
	v_cvt_f32_i32_dpp v5, v6 row_shl:4 row_mask:0xf bank_mask:0xf bound_ctrl:1
	v_cvt_i32_f32_e32 v7, v47
	v_cvt_i32_f32_e32 v6, v0
	v_mov_b32_dpp v49, v4 row_bcast:31 row_mask:0xf bank_mask:0xf bound_ctrl:1
	v_cvt_i32_f32_e32 v4, v45
	v_add_f32_e32 v3, v3, v5
	v_cvt_i32_f32_e32 v5, v46
	v_cvt_f32_i32_dpp v7, v7 row_shl:3 row_mask:0xf bank_mask:0xf bound_ctrl:1
	v_cvt_f32_i32_dpp v4, v4 row_shl:1 row_mask:0xf bank_mask:0xf bound_ctrl:1
	v_cvt_f32_i32_dpp v6, v6 row_bcast:15 row_mask:0xf bank_mask:0xf bound_ctrl:1
	v_cvt_f32_i32_dpp v5, v5 row_shl:2 row_mask:0xf bank_mask:0xf bound_ctrl:1
	v_cvt_i32_f32_e32 v45, v3
	v_add_f32_e32 v4, v44, v4
	v_add_f32_e32 v44, v0, v6
	;; [unrolled: 1-line block ×4, first 2 shown]
	v_cvt_i32_f32_e32 v5, v4
	v_cvt_i32_f32_e32 v6, v42
	;; [unrolled: 1-line block ×3, first 2 shown]
	v_cvt_f32_i32_dpp v45, v45 row_shl:8 row_mask:0xf bank_mask:0xf bound_ctrl:1
	v_cvt_f32_i32_dpp v5, v5 row_shl:4 row_mask:0xf bank_mask:0xf bound_ctrl:1
	;; [unrolled: 1-line block ×4, first 2 shown]
	v_add_f32_e32 v3, v3, v45
	v_add_f32_e32 v4, v4, v5
	v_cvt_i32_f32_e32 v5, v41
	v_cvt_i32_f32_e32 v3, v3
	;; [unrolled: 1-line block ×4, first 2 shown]
	v_cvt_f32_i32_dpp v5, v5 row_shl:1 row_mask:0xf bank_mask:0xf bound_ctrl:1
	v_cvt_f32_i32_dpp v3, v3 row_shr:15 row_mask:0xf bank_mask:0xf bound_ctrl:1
	v_cvt_f32_i32_dpp v41, v41 row_shl:8 row_mask:0xf bank_mask:0xf bound_ctrl:1
	v_add_f32_e32 v5, v40, v5
	v_add_f32_e32 v5, v5, v6
	;; [unrolled: 1-line block ×3, first 2 shown]
	v_cvt_i32_f32_e32 v6, v5
	v_cvt_i32_f32_e32 v7, v3
	v_add_f32_e32 v4, v4, v41
	v_mov_b32_dpp v41, v0 row_bcast:31 row_mask:0xf bank_mask:0xf bound_ctrl:1
	v_cvt_f32_i32_dpp v6, v6 row_shl:4 row_mask:0xf bank_mask:0xf bound_ctrl:1
	v_cvt_f32_i32_dpp v0, v7 row_bcast:15 row_mask:0xf bank_mask:0xf bound_ctrl:1
	v_cvt_i32_f32_e32 v7, v37
	v_cvt_i32_f32_e32 v37, v38
	v_add_f32_e32 v5, v5, v6
	v_cvt_i32_f32_e32 v6, v5
	v_cvt_i32_f32_e32 v38, v39
	v_add_f32_e32 v40, v3, v0
	v_cvt_i32_f32_e32 v0, v40
	v_cvt_f32_i32_dpp v6, v6 row_shl:8 row_mask:0xf bank_mask:0xf bound_ctrl:1
	v_cvt_i32_f32_e32 v4, v4
	v_add_f32_e32 v5, v5, v6
	v_cvt_f32_i32_dpp v6, v7 row_shl:1 row_mask:0xf bank_mask:0xf bound_ctrl:1
	v_cvt_f32_i32_dpp v7, v37 row_shl:2 row_mask:0xf bank_mask:0xf bound_ctrl:1
	;; [unrolled: 1-line block ×3, first 2 shown]
	v_cvt_i32_f32_e32 v5, v5
	v_add_f32_e32 v6, v36, v6
	v_add_f32_e32 v6, v6, v7
	;; [unrolled: 1-line block ×3, first 2 shown]
	v_cvt_i32_f32_e32 v7, v6
	v_mov_b32_dpp v37, v0 row_bcast:31 row_mask:0xf bank_mask:0xf bound_ctrl:1
	v_cvt_f32_i32_dpp v0, v5 row_shr:15 row_mask:0xf bank_mask:0xf bound_ctrl:1
	v_cvt_f32_i32_dpp v4, v4 row_shr:15 row_mask:0xf bank_mask:0xf bound_ctrl:1
	v_cvt_f32_i32_dpp v5, v7 row_shl:4 row_mask:0xf bank_mask:0xf bound_ctrl:1
	v_cvt_i32_f32_e32 v7, v34
	v_cvt_i32_f32_e32 v3, v4
	v_add_f32_e32 v5, v6, v5
	v_cvt_i32_f32_e32 v6, v33
	v_cvt_i32_f32_e32 v33, v35
	v_cvt_f32_i32_dpp v3, v3 row_bcast:15 row_mask:0xf bank_mask:0xf bound_ctrl:1
	v_cvt_i32_f32_e32 v34, v5
	v_cvt_f32_i32_dpp v6, v6 row_shl:1 row_mask:0xf bank_mask:0xf bound_ctrl:1
	v_cvt_f32_i32_dpp v7, v7 row_shl:2 row_mask:0xf bank_mask:0xf bound_ctrl:1
	;; [unrolled: 1-line block ×3, first 2 shown]
	v_add_f32_e32 v36, v4, v3
	v_add_f32_e32 v6, v32, v6
	v_cvt_i32_f32_e32 v4, v0
	v_cvt_f32_i32_dpp v34, v34 row_shl:8 row_mask:0xf bank_mask:0xf bound_ctrl:1
	v_add_f32_e32 v6, v6, v7
	v_add_f32_e32 v6, v6, v33
	v_cvt_i32_f32_e32 v7, v6
	v_cvt_f32_i32_dpp v4, v4 row_bcast:15 row_mask:0xf bank_mask:0xf bound_ctrl:1
	v_add_f32_e32 v5, v5, v34
	v_cvt_i32_f32_e32 v5, v5
	v_cvt_i32_f32_e32 v3, v36
	v_cvt_f32_i32_dpp v7, v7 row_shl:4 row_mask:0xf bank_mask:0xf bound_ctrl:1
	v_add_f32_e32 v32, v0, v4
	v_cvt_i32_f32_e32 v4, v29
	v_cvt_f32_i32_dpp v0, v5 row_shr:15 row_mask:0xf bank_mask:0xf bound_ctrl:1
	v_cvt_i32_f32_e32 v5, v30
	v_mov_b32_dpp v33, v3 row_bcast:31 row_mask:0xf bank_mask:0xf bound_ctrl:1
	v_add_f32_e32 v3, v6, v7
	v_cvt_i32_f32_e32 v6, v31
	v_cvt_f32_i32_dpp v4, v4 row_shl:1 row_mask:0xf bank_mask:0xf bound_ctrl:1
	v_cvt_f32_i32_dpp v5, v5 row_shl:2 row_mask:0xf bank_mask:0xf bound_ctrl:1
	v_cvt_i32_f32_e32 v7, v3
	v_cvt_f32_i32_dpp v6, v6 row_shl:3 row_mask:0xf bank_mask:0xf bound_ctrl:1
	v_add_f32_e32 v4, v28, v4
	v_add_f32_e32 v4, v4, v5
	v_cvt_f32_i32_dpp v7, v7 row_shl:8 row_mask:0xf bank_mask:0xf bound_ctrl:1
	v_add_f32_e32 v4, v4, v6
	v_cvt_i32_f32_e32 v5, v4
	v_cvt_i32_f32_e32 v6, v0
	v_add_f32_e32 v3, v3, v7
	v_cvt_i32_f32_e32 v3, v3
	v_cvt_f32_i32_dpp v5, v5 row_shl:4 row_mask:0xf bank_mask:0xf bound_ctrl:1
	v_cvt_f32_i32_dpp v6, v6 row_bcast:15 row_mask:0xf bank_mask:0xf bound_ctrl:1
	v_cvt_i32_f32_e32 v7, v32
	v_cvt_f32_i32_dpp v3, v3 row_shr:15 row_mask:0xf bank_mask:0xf bound_ctrl:1
	v_add_f32_e32 v4, v4, v5
	v_cvt_i32_f32_e32 v5, v4
	v_add_f32_e32 v28, v0, v6
	v_cvt_i32_f32_e32 v0, v28
	v_cvt_i32_f32_e32 v6, v3
	v_cvt_f32_i32_dpp v5, v5 row_shl:8 row_mask:0xf bank_mask:0xf bound_ctrl:1
	v_mov_b32_dpp v30, v7 row_bcast:31 row_mask:0xf bank_mask:0xf bound_ctrl:1
	v_mov_b32_dpp v29, v0 row_bcast:31 row_mask:0xf bank_mask:0xf bound_ctrl:1
	v_cvt_f32_i32_dpp v0, v6 row_bcast:15 row_mask:0xf bank_mask:0xf bound_ctrl:1
	v_add_f32_e32 v4, v4, v5
	v_cvt_i32_f32_e32 v5, v25
	v_cvt_i32_f32_e32 v6, v26
	;; [unrolled: 1-line block ×4, first 2 shown]
	v_cvt_f32_i32_dpp v5, v5 row_shl:1 row_mask:0xf bank_mask:0xf bound_ctrl:1
	v_cvt_f32_i32_dpp v6, v6 row_shl:2 row_mask:0xf bank_mask:0xf bound_ctrl:1
	;; [unrolled: 1-line block ×3, first 2 shown]
	v_cvt_f32_i32_dpp v4, v4 row_shr:15 row_mask:0xf bank_mask:0xf bound_ctrl:1
	v_add_f32_e32 v5, v24, v5
	v_add_f32_e32 v5, v5, v6
	v_add_f32_e32 v5, v5, v7
	v_cvt_i32_f32_e32 v6, v5
	v_cvt_i32_f32_e32 v7, v21
	v_cvt_i32_f32_e32 v21, v22
	v_cvt_i32_f32_e32 v22, v23
	v_cvt_f32_i32_dpp v6, v6 row_shl:4 row_mask:0xf bank_mask:0xf bound_ctrl:1
	v_add_f32_e32 v24, v3, v0
	v_cvt_i32_f32_e32 v3, v4
	v_cvt_i32_f32_e32 v0, v24
	v_add_f32_e32 v5, v5, v6
	v_cvt_f32_i32_dpp v6, v7 row_shl:1 row_mask:0xf bank_mask:0xf bound_ctrl:1
	v_cvt_f32_i32_dpp v7, v21 row_shl:2 row_mask:0xf bank_mask:0xf bound_ctrl:1
	;; [unrolled: 1-line block ×3, first 2 shown]
	v_cvt_i32_f32_e32 v22, v5
	v_add_f32_e32 v6, v20, v6
	v_add_f32_e32 v6, v6, v7
	;; [unrolled: 1-line block ×3, first 2 shown]
	v_cvt_i32_f32_e32 v7, v6
	v_cvt_f32_i32_dpp v3, v3 row_bcast:15 row_mask:0xf bank_mask:0xf bound_ctrl:1
	v_cvt_f32_i32_dpp v21, v22 row_shl:8 row_mask:0xf bank_mask:0xf bound_ctrl:1
	v_mov_b32_dpp v22, v0 row_bcast:31 row_mask:0xf bank_mask:0xf bound_ctrl:1
	v_cvt_f32_i32_dpp v0, v7 row_shl:4 row_mask:0xf bank_mask:0xf bound_ctrl:1
	v_add_f32_e32 v20, v4, v3
	v_cvt_i32_f32_e32 v4, v17
	v_add_f32_e32 v3, v5, v21
	v_cvt_i32_f32_e32 v5, v18
	;; [unrolled: 2-line block ×3, first 2 shown]
	v_cvt_f32_i32_dpp v4, v4 row_shl:1 row_mask:0xf bank_mask:0xf bound_ctrl:1
	v_cvt_f32_i32_dpp v5, v5 row_shl:2 row_mask:0xf bank_mask:0xf bound_ctrl:1
	v_cvt_i32_f32_e32 v3, v3
	v_cvt_f32_i32_dpp v6, v6 row_shl:3 row_mask:0xf bank_mask:0xf bound_ctrl:1
	v_add_f32_e32 v4, v16, v4
	v_add_f32_e32 v4, v4, v5
	v_cvt_i32_f32_e32 v7, v0
	v_add_f32_e32 v4, v4, v6
	v_cvt_i32_f32_e32 v5, v4
	v_cvt_f32_i32_dpp v3, v3 row_shr:15 row_mask:0xf bank_mask:0xf bound_ctrl:1
	v_cvt_f32_i32_dpp v7, v7 row_shl:8 row_mask:0xf bank_mask:0xf bound_ctrl:1
	v_cvt_i32_f32_e32 v6, v20
	v_cvt_f32_i32_dpp v5, v5 row_shl:4 row_mask:0xf bank_mask:0xf bound_ctrl:1
	v_add_f32_e32 v0, v0, v7
	v_cvt_i32_f32_e32 v7, v3
	v_add_f32_e32 v4, v4, v5
	v_cvt_i32_f32_e32 v5, v4
	v_cvt_i32_f32_e32 v0, v0
	v_cvt_f32_i32_dpp v7, v7 row_bcast:15 row_mask:0xf bank_mask:0xf bound_ctrl:1
	v_mov_b32_dpp v21, v6 row_bcast:31 row_mask:0xf bank_mask:0xf bound_ctrl:1
	v_cvt_f32_i32_dpp v5, v5 row_shl:8 row_mask:0xf bank_mask:0xf bound_ctrl:1
	v_cvt_f32_i32_dpp v0, v0 row_shr:15 row_mask:0xf bank_mask:0xf bound_ctrl:1
	v_add_f32_e32 v16, v3, v7
	v_cvt_i32_f32_e32 v7, v14
	v_add_f32_e32 v4, v4, v5
	v_cvt_i32_f32_e32 v5, v13
	v_cvt_i32_f32_e32 v4, v4
	;; [unrolled: 1-line block ×3, first 2 shown]
	v_cvt_f32_i32_dpp v7, v7 row_shl:2 row_mask:0xf bank_mask:0xf bound_ctrl:1
	v_cvt_f32_i32_dpp v5, v5 row_shl:1 row_mask:0xf bank_mask:0xf bound_ctrl:1
	v_cvt_f32_i32_dpp v4, v4 row_shr:15 row_mask:0xf bank_mask:0xf bound_ctrl:1
	v_cvt_f32_i32_dpp v13, v13 row_shl:3 row_mask:0xf bank_mask:0xf bound_ctrl:1
	v_cvt_i32_f32_e32 v6, v0
	v_add_f32_e32 v5, v12, v5
	v_add_f32_e32 v5, v5, v7
	v_cvt_i32_f32_e32 v3, v16
	v_cvt_i32_f32_e32 v14, v4
	v_add_f32_e32 v5, v5, v13
	v_cvt_f32_i32_dpp v6, v6 row_bcast:15 row_mask:0xf bank_mask:0xf bound_ctrl:1
	v_cvt_i32_f32_e32 v7, v5
	v_mov_b32_dpp v18, v3 row_bcast:31 row_mask:0xf bank_mask:0xf bound_ctrl:1
	v_cvt_f32_i32_dpp v3, v14 row_bcast:15 row_mask:0xf bank_mask:0xf bound_ctrl:1
	v_add_f32_e32 v13, v0, v6
	v_cvt_f32_i32_dpp v0, v7 row_shl:4 row_mask:0xf bank_mask:0xf bound_ctrl:1
	v_cvt_i32_f32_e32 v7, v11
	v_add_f32_e32 v12, v4, v3
	v_cvt_i32_f32_e32 v4, v9
	v_add_f32_e32 v0, v5, v0
	v_cvt_i32_f32_e32 v5, v10
	v_cvt_f32_i32_dpp v7, v7 row_shl:3 row_mask:0xf bank_mask:0xf bound_ctrl:1
	v_cvt_f32_i32_dpp v4, v4 row_shl:1 row_mask:0xf bank_mask:0xf bound_ctrl:1
	v_cvt_i32_f32_e32 v3, v12
	v_cvt_f32_i32_dpp v5, v5 row_shl:2 row_mask:0xf bank_mask:0xf bound_ctrl:1
	v_cvt_i32_f32_e32 v6, v13
	v_add_f32_e32 v4, v8, v4
	v_mov_b32_dpp v10, v3 row_bcast:31 row_mask:0xf bank_mask:0xf bound_ctrl:1
	v_add_f32_e32 v4, v4, v5
	v_add_f32_e32 v4, v4, v7
	v_cvt_i32_f32_e32 v5, v4
	v_mov_b32_dpp v17, v6 row_bcast:31 row_mask:0xf bank_mask:0xf bound_ctrl:1
	v_cvt_i32_f32_e32 v6, v90
	v_cvt_i32_f32_e32 v9, v0
	v_cvt_f32_i32_dpp v3, v5 row_shl:4 row_mask:0xf bank_mask:0xf bound_ctrl:1
	v_cvt_i32_f32_e32 v5, v89
	v_cvt_i32_f32_e32 v8, v86
	v_cvt_f32_i32_dpp v9, v9 row_shl:8 row_mask:0xf bank_mask:0xf bound_ctrl:1
	v_add_f32_e32 v3, v4, v3
	v_cvt_f32_i32_dpp v4, v5 row_shl:1 row_mask:0xf bank_mask:0xf bound_ctrl:1
	v_cvt_f32_i32_dpp v5, v6 row_shl:2 row_mask:0xf bank_mask:0xf bound_ctrl:1
	v_cvt_i32_f32_e32 v6, v91
	v_add_f32_e32 v0, v0, v9
	v_add_f32_e32 v4, v88, v4
	;; [unrolled: 1-line block ×3, first 2 shown]
	v_cvt_f32_i32_dpp v5, v6 row_shl:3 row_mask:0xf bank_mask:0xf bound_ctrl:1
	v_cvt_i32_f32_e32 v6, v85
	v_cvt_i32_f32_e32 v9, v87
	;; [unrolled: 1-line block ×3, first 2 shown]
	v_add_f32_e32 v4, v4, v5
	v_cvt_f32_i32_dpp v5, v6 row_shl:1 row_mask:0xf bank_mask:0xf bound_ctrl:1
	v_cvt_f32_i32_dpp v6, v8 row_shl:2 row_mask:0xf bank_mask:0xf bound_ctrl:1
	;; [unrolled: 1-line block ×3, first 2 shown]
	v_cvt_i32_f32_e32 v9, v4
	v_add_f32_e32 v5, v84, v5
	v_add_f32_e32 v5, v5, v6
	;; [unrolled: 1-line block ×3, first 2 shown]
	v_cvt_i32_f32_e32 v6, v5
	v_cvt_f32_i32_dpp v8, v9 row_shl:4 row_mask:0xf bank_mask:0xf bound_ctrl:1
	v_cvt_f32_i32_dpp v7, v7 row_shl:8 row_mask:0xf bank_mask:0xf bound_ctrl:1
	v_cvt_i32_f32_e32 v0, v0
	v_cvt_f32_i32_dpp v6, v6 row_shl:4 row_mask:0xf bank_mask:0xf bound_ctrl:1
	v_add_f32_e32 v4, v4, v8
	v_add_f32_e32 v3, v3, v7
	v_cvt_i32_f32_e32 v7, v4
	v_add_f32_e32 v5, v5, v6
	v_cvt_i32_f32_e32 v6, v5
	v_cvt_f32_i32_dpp v0, v0 row_shr:15 row_mask:0xf bank_mask:0xf bound_ctrl:1
	v_cvt_f32_i32_dpp v7, v7 row_shl:8 row_mask:0xf bank_mask:0xf bound_ctrl:1
	v_cvt_i32_f32_e32 v3, v3
	v_cvt_f32_i32_dpp v6, v6 row_shl:8 row_mask:0xf bank_mask:0xf bound_ctrl:1
	v_cvt_i32_f32_e32 v8, v0
	v_add_f32_e32 v4, v4, v7
	v_cvt_f32_i32_dpp v3, v3 row_shr:15 row_mask:0xf bank_mask:0xf bound_ctrl:1
	v_add_f32_e32 v5, v5, v6
	v_cvt_i32_f32_e32 v4, v4
	v_cvt_i32_f32_e32 v5, v5
	v_cvt_f32_i32_dpp v6, v8 row_bcast:15 row_mask:0xf bank_mask:0xf bound_ctrl:1
	v_cvt_i32_f32_e32 v7, v3
	v_cvt_f32_i32_dpp v4, v4 row_shr:15 row_mask:0xf bank_mask:0xf bound_ctrl:1
	v_cvt_f32_i32_dpp v5, v5 row_shr:15 row_mask:0xf bank_mask:0xf bound_ctrl:1
	v_add_f32_e32 v11, v0, v6
	v_cvt_f32_i32_dpp v6, v7 row_bcast:15 row_mask:0xf bank_mask:0xf bound_ctrl:1
	v_cvt_i32_f32_e32 v0, v4
	v_cvt_i32_f32_e32 v7, v5
	;; [unrolled: 1-line block ×3, first 2 shown]
	v_add_f32_e32 v8, v3, v6
	v_cvt_f32_i32_dpp v0, v0 row_bcast:15 row_mask:0xf bank_mask:0xf bound_ctrl:1
	v_cvt_f32_i32_dpp v3, v7 row_bcast:15 row_mask:0xf bank_mask:0xf bound_ctrl:1
	v_cvt_i32_f32_e32 v7, v8
	v_mov_b32_dpp v15, v9 row_bcast:31 row_mask:0xf bank_mask:0xf bound_ctrl:1
	v_add_f32_e32 v6, v4, v0
	v_add_f32_e32 v4, v5, v3
	v_cvt_i32_f32_e32 v0, v6
	v_cvt_i32_f32_e32 v3, v4
	v_mov_b32_dpp v9, v7 row_bcast:31 row_mask:0xf bank_mask:0xf bound_ctrl:1
	v_mov_b32_dpp v7, v0 row_bcast:31 row_mask:0xf bank_mask:0xf bound_ctrl:1
	;; [unrolled: 1-line block ×3, first 2 shown]
	s_mov_b64 s[36:37], exec
	scratch_load_dwordx2 v[50:51], off, off offset:84 ; 8-byte Folded Reload
	s_and_b64 s[6:7], s[36:37], s[0:1]
	s_mov_b64 exec, s[6:7]
	s_cbranch_execz .LBB301_125
; %bb.33:                               ;   in Loop: Header=BB301_12 Depth=1
	s_andn2_b64 vcc, exec, s[28:29]
	v_mov_b32_e32 v46, 0
	s_waitcnt vmcnt(0)
	v_add_u32_e32 v0, 2, v50
	v_mov_b32_e32 v45, 0
	v_mov_b32_e32 v43, 0
	;; [unrolled: 1-line block ×14, first 2 shown]
	s_cbranch_vccnz .LBB301_35
; %bb.34:                               ;   in Loop: Header=BB301_12 Depth=1
	scratch_load_dword v19, off, off offset:92 ; 4-byte Folded Reload
	v_mov_b32_e32 v43, v1
	v_mov_b32_e32 v27, v1
	;; [unrolled: 1-line block ×4, first 2 shown]
	s_waitcnt vmcnt(0)
	v_mul_hi_u32 v3, v50, v19
	v_mul_lo_u32 v3, v3, s12
	v_sub_u32_e32 v3, v50, v3
	v_subrev_u32_e32 v14, s12, v3
	v_cmp_le_u32_e32 vcc, s12, v3
	s_nop 1
	v_cndmask_b32_e32 v3, v3, v14, vcc
	v_subrev_u32_e32 v14, s12, v3
	v_cmp_le_u32_e32 vcc, s12, v3
	s_nop 1
	v_cndmask_b32_e32 v26, v3, v14, vcc
	v_add_u32_e32 v3, 1, v50
	v_mul_hi_u32 v14, v3, v19
	v_mul_lo_u32 v14, v14, s12
	v_sub_u32_e32 v3, v3, v14
	v_subrev_u32_e32 v14, s12, v3
	v_cmp_le_u32_e32 vcc, s12, v3
	v_add_u32_e32 v42, s47, v26
	v_lshl_add_u64 v[56:57], v[42:43], 1, s[18:19]
	v_cndmask_b32_e32 v3, v3, v14, vcc
	v_subrev_u32_e32 v14, s12, v3
	v_cmp_le_u32_e32 vcc, s12, v3
	v_lshl_add_u64 v[34:35], v[26:27], 1, s[18:19]
	s_nop 0
	v_cndmask_b32_e32 v50, v3, v14, vcc
	v_mul_hi_u32 v3, v0, v19
	v_mul_lo_u32 v3, v3, s12
	v_sub_u32_e32 v3, v0, v3
	v_subrev_u32_e32 v14, s12, v3
	v_cmp_le_u32_e32 vcc, s12, v3
	v_add_u32_e32 v42, s47, v50
	v_lshl_add_u64 v[58:59], v[42:43], 1, s[18:19]
	v_cndmask_b32_e32 v3, v3, v14, vcc
	v_subrev_u32_e32 v14, s12, v3
	v_cmp_le_u32_e32 vcc, s12, v3
	v_lshl_add_u64 v[38:39], v[50:51], 1, s[18:19]
	s_nop 0
	v_cndmask_b32_e32 v52, v3, v14, vcc
	v_add_u32_e32 v42, s47, v52
	v_lshl_add_u64 v[60:61], v[42:43], 1, s[18:19]
	v_add_u32_e32 v42, s48, v26
	v_lshl_add_u64 v[62:63], v[42:43], 1, s[18:19]
	;; [unrolled: 2-line block ×3, first 2 shown]
	v_lshl_add_u64 v[64:65], v[42:43], 1, s[18:19]
	global_load_ushort v46, v[34:35], off
	global_load_ushort v45, v[38:39], off
	;; [unrolled: 1-line block ×3, first 2 shown]
                                        ; kill: killed $vgpr38_vgpr39
                                        ; kill: killed $vgpr54_vgpr55
	global_load_ushort v42, v[56:57], off
	s_nop 0
	global_load_ushort v39, v[58:59], off
	global_load_ushort v38, v[60:61], off
	;; [unrolled: 1-line block ×3, first 2 shown]
                                        ; kill: killed $vgpr62_vgpr63
                                        ; kill: killed $vgpr56_vgpr57
                                        ; kill: killed $vgpr58_vgpr59
                                        ; kill: killed $vgpr60_vgpr61
	global_load_ushort v34, v[64:65], off
	v_add_u32_e32 v56, s49, v26
	v_add_u32_e32 v26, s50, v26
	v_add_u32_e32 v54, s48, v52
	v_mov_b32_e32 v55, v1
	v_lshl_add_u64 v[62:63], v[26:27], 1, s[18:19]
	v_add_u32_e32 v26, s50, v50
	v_lshl_add_u64 v[54:55], v[54:55], 1, s[18:19]
	v_mov_b32_e32 v57, v1
	v_add_u32_e32 v58, s49, v50
	v_mov_b32_e32 v59, v1
	v_add_u32_e32 v60, s49, v52
	v_mov_b32_e32 v61, v1
	v_lshl_add_u64 v[50:51], v[26:27], 1, s[18:19]
	v_add_u32_e32 v26, s50, v52
	v_lshl_add_u64 v[56:57], v[56:57], 1, s[18:19]
	v_lshl_add_u64 v[58:59], v[58:59], 1, s[18:19]
	;; [unrolled: 1-line block ×4, first 2 shown]
	global_load_ushort v31, v[54:55], off
	global_load_ushort v27, v[56:57], off
	;; [unrolled: 1-line block ×6, first 2 shown]
                                        ; kill: killed $vgpr62_vgpr63
                                        ; kill: killed $vgpr50_vgpr51
	s_nop 0
	scratch_load_dwordx2 v[50:51], off, off offset:84 ; 8-byte Folded Reload
	global_load_ushort v14, v[52:53], off
.LBB301_35:                             ;   in Loop: Header=BB301_12 Depth=1
	v_cmp_ne_u32_e32 vcc, 0, v124
	s_and_saveexec_b64 s[8:9], vcc
	s_cbranch_execnz .LBB301_50
; %bb.36:                               ;   in Loop: Header=BB301_12 Depth=1
	s_or_b64 exec, exec, s[8:9]
	v_cmp_ne_u32_e64 s[6:7], 0, v125
	s_and_saveexec_b64 s[10:11], s[6:7]
	s_cbranch_execnz .LBB301_55
.LBB301_37:                             ;   in Loop: Header=BB301_12 Depth=1
	s_or_b64 exec, exec, s[10:11]
	v_cmp_ne_u32_e64 s[8:9], 0, v126
	s_and_saveexec_b64 s[38:39], s[8:9]
	s_cbranch_execnz .LBB301_60
.LBB301_38:                             ;   in Loop: Header=BB301_12 Depth=1
	s_or_b64 exec, exec, s[38:39]
	s_waitcnt vmcnt(1)
	v_add_u32_e32 v0, s23, v50
	s_and_saveexec_b64 s[38:39], vcc
	s_cbranch_execnz .LBB301_65
.LBB301_39:                             ;   in Loop: Header=BB301_12 Depth=1
	s_or_b64 exec, exec, s[38:39]
	s_and_saveexec_b64 s[38:39], s[6:7]
	s_cbranch_execnz .LBB301_70
.LBB301_40:                             ;   in Loop: Header=BB301_12 Depth=1
	s_or_b64 exec, exec, s[38:39]
	s_and_saveexec_b64 s[38:39], s[8:9]
	s_cbranch_execnz .LBB301_75
.LBB301_41:                             ;   in Loop: Header=BB301_12 Depth=1
	s_or_b64 exec, exec, s[38:39]
	v_add_u32_e32 v0, s23, v0
	s_and_saveexec_b64 s[38:39], vcc
	s_cbranch_execnz .LBB301_80
.LBB301_42:                             ;   in Loop: Header=BB301_12 Depth=1
	s_or_b64 exec, exec, s[38:39]
	s_and_saveexec_b64 s[38:39], s[6:7]
	s_cbranch_execnz .LBB301_85
.LBB301_43:                             ;   in Loop: Header=BB301_12 Depth=1
	s_or_b64 exec, exec, s[38:39]
	s_and_saveexec_b64 s[38:39], s[8:9]
	s_cbranch_execnz .LBB301_90
.LBB301_44:                             ;   in Loop: Header=BB301_12 Depth=1
	s_or_b64 exec, exec, s[38:39]
	v_add_u32_e32 v0, s23, v0
	s_and_saveexec_b64 s[38:39], vcc
	s_cbranch_execnz .LBB301_95
.LBB301_45:                             ;   in Loop: Header=BB301_12 Depth=1
	s_or_b64 exec, exec, s[38:39]
	s_and_saveexec_b64 s[38:39], s[6:7]
	s_cbranch_execnz .LBB301_100
.LBB301_46:                             ;   in Loop: Header=BB301_12 Depth=1
	s_or_b64 exec, exec, s[38:39]
	s_and_saveexec_b64 s[38:39], s[8:9]
	s_cbranch_execnz .LBB301_105
.LBB301_47:                             ;   in Loop: Header=BB301_12 Depth=1
	s_or_b64 exec, exec, s[38:39]
	v_add_u32_e32 v0, s23, v0
	s_and_saveexec_b64 s[10:11], vcc
	s_cbranch_execnz .LBB301_110
.LBB301_48:                             ;   in Loop: Header=BB301_12 Depth=1
	s_or_b64 exec, exec, s[10:11]
	s_and_saveexec_b64 s[10:11], s[6:7]
	s_cbranch_execnz .LBB301_115
.LBB301_49:                             ;   in Loop: Header=BB301_12 Depth=1
	s_or_b64 exec, exec, s[10:11]
	s_and_b64 exec, exec, s[8:9]
	s_cbranch_execnz .LBB301_120
	s_branch .LBB301_125
.LBB301_50:                             ;   in Loop: Header=BB301_12 Depth=1
	v_cvt_f32_i32_e32 v3, v49
	s_waitcnt vmcnt(15)
	v_lshlrev_b32_e32 v46, 16, v46
	v_add_f32_e32 v3, v48, v3
	v_add_f32_e32 v46, v3, v46
	v_and_b32_e32 v3, 0x7f800000, v46
	v_cmp_ne_u32_e64 s[6:7], s56, v3
                                        ; implicit-def: $vgpr3
	s_and_saveexec_b64 s[10:11], s[6:7]
	s_xor_b64 s[6:7], exec, s[10:11]
; %bb.51:                               ;   in Loop: Header=BB301_12 Depth=1
	v_bfe_u32 v3, v46, 16, 1
	v_add3_u32 v3, v46, v3, s57
                                        ; implicit-def: $vgpr46
; %bb.52:                               ;   in Loop: Header=BB301_12 Depth=1
	s_andn2_saveexec_b64 s[10:11], s[6:7]
; %bb.53:                               ;   in Loop: Header=BB301_12 Depth=1
	v_or_b32_e32 v3, 0x10000, v46
	v_cmp_eq_u32_sdwa s[6:7], v46, v1 src0_sel:WORD_0 src1_sel:DWORD
	s_nop 1
	v_cndmask_b32_e64 v3, v3, v46, s[6:7]
; %bb.54:                               ;   in Loop: Header=BB301_12 Depth=1
	s_or_b64 exec, exec, s[10:11]
	s_waitcnt vmcnt(1)
	v_mov_b32_e32 v51, v1
	v_lshl_add_u64 v[46:47], v[50:51], 1, s[24:25]
	global_store_short_d16_hi v[46:47], v3, off
	s_or_b64 exec, exec, s[8:9]
	v_cmp_ne_u32_e64 s[6:7], 0, v125
	s_and_saveexec_b64 s[10:11], s[6:7]
	s_cbranch_execz .LBB301_37
.LBB301_55:                             ;   in Loop: Header=BB301_12 Depth=1
	v_cvt_f32_i32_e32 v3, v41
	s_waitcnt vmcnt(14)
	v_lshlrev_b32_e32 v41, 16, v45
	v_add_f32_e32 v3, v44, v3
	v_add_f32_e32 v41, v3, v41
	v_and_b32_e32 v3, 0x7f800000, v41
	v_cmp_ne_u32_e64 s[8:9], s56, v3
                                        ; implicit-def: $vgpr3
	s_and_saveexec_b64 s[38:39], s[8:9]
	s_xor_b64 s[8:9], exec, s[38:39]
; %bb.56:                               ;   in Loop: Header=BB301_12 Depth=1
	v_bfe_u32 v3, v41, 16, 1
	v_add3_u32 v3, v41, v3, s57
                                        ; implicit-def: $vgpr41
; %bb.57:                               ;   in Loop: Header=BB301_12 Depth=1
	s_andn2_saveexec_b64 s[38:39], s[8:9]
; %bb.58:                               ;   in Loop: Header=BB301_12 Depth=1
	v_or_b32_e32 v3, 0x10000, v41
	v_cmp_eq_u32_sdwa s[8:9], v41, v1 src0_sel:WORD_0 src1_sel:DWORD
	s_nop 1
	v_cndmask_b32_e64 v3, v3, v41, s[8:9]
; %bb.59:                               ;   in Loop: Header=BB301_12 Depth=1
	s_or_b64 exec, exec, s[38:39]
	s_waitcnt vmcnt(1)
	v_mov_b32_e32 v51, v1
	v_lshl_add_u64 v[44:45], v[50:51], 1, s[30:31]
	global_store_short_d16_hi v[44:45], v3, off
	s_or_b64 exec, exec, s[10:11]
	v_cmp_ne_u32_e64 s[8:9], 0, v126
	s_and_saveexec_b64 s[38:39], s[8:9]
	s_cbranch_execz .LBB301_38
.LBB301_60:                             ;   in Loop: Header=BB301_12 Depth=1
	v_cvt_f32_i32_e32 v3, v37
	s_waitcnt vmcnt(13)
	v_lshlrev_b32_e32 v37, 16, v43
	v_add_f32_e32 v3, v40, v3
	v_add_f32_e32 v37, v3, v37
	v_and_b32_e32 v3, 0x7f800000, v37
	v_cmp_ne_u32_e64 s[10:11], s56, v3
                                        ; implicit-def: $vgpr3
	s_and_saveexec_b64 s[40:41], s[10:11]
	s_xor_b64 s[10:11], exec, s[40:41]
; %bb.61:                               ;   in Loop: Header=BB301_12 Depth=1
	v_bfe_u32 v3, v37, 16, 1
	v_add3_u32 v3, v37, v3, s57
                                        ; implicit-def: $vgpr37
; %bb.62:                               ;   in Loop: Header=BB301_12 Depth=1
	s_andn2_saveexec_b64 s[40:41], s[10:11]
; %bb.63:                               ;   in Loop: Header=BB301_12 Depth=1
	v_or_b32_e32 v3, 0x10000, v37
	v_cmp_eq_u32_sdwa s[10:11], v37, v1 src0_sel:WORD_0 src1_sel:DWORD
	s_nop 1
	v_cndmask_b32_e64 v3, v3, v37, s[10:11]
; %bb.64:                               ;   in Loop: Header=BB301_12 Depth=1
	s_or_b64 exec, exec, s[40:41]
	v_lshl_add_u64 v[40:41], v[0:1], 1, s[24:25]
	global_store_short_d16_hi v[40:41], v3, off
	s_or_b64 exec, exec, s[38:39]
	s_waitcnt vmcnt(2)
	v_add_u32_e32 v0, s23, v50
	s_and_saveexec_b64 s[38:39], vcc
	s_cbranch_execz .LBB301_39
.LBB301_65:                             ;   in Loop: Header=BB301_12 Depth=1
	v_cvt_f32_i32_e32 v3, v33
	v_lshlrev_b32_e32 v33, 16, v42
	v_add_f32_e32 v3, v36, v3
	v_add_f32_e32 v33, v3, v33
	v_and_b32_e32 v3, 0x7f800000, v33
	v_cmp_ne_u32_e64 s[10:11], s56, v3
                                        ; implicit-def: $vgpr3
	s_and_saveexec_b64 s[40:41], s[10:11]
	s_xor_b64 s[10:11], exec, s[40:41]
; %bb.66:                               ;   in Loop: Header=BB301_12 Depth=1
	v_bfe_u32 v3, v33, 16, 1
	v_add3_u32 v3, v33, v3, s57
                                        ; implicit-def: $vgpr33
; %bb.67:                               ;   in Loop: Header=BB301_12 Depth=1
	s_andn2_saveexec_b64 s[40:41], s[10:11]
; %bb.68:                               ;   in Loop: Header=BB301_12 Depth=1
	v_or_b32_e32 v3, 0x10000, v33
	v_cmp_eq_u32_sdwa s[10:11], v33, v1 src0_sel:WORD_0 src1_sel:DWORD
	s_nop 1
	v_cndmask_b32_e64 v3, v3, v33, s[10:11]
; %bb.69:                               ;   in Loop: Header=BB301_12 Depth=1
	s_or_b64 exec, exec, s[40:41]
	v_lshl_add_u64 v[36:37], v[0:1], 1, s[24:25]
	global_store_short_d16_hi v[36:37], v3, off
	s_or_b64 exec, exec, s[38:39]
	s_and_saveexec_b64 s[38:39], s[6:7]
	s_cbranch_execz .LBB301_40
.LBB301_70:                             ;   in Loop: Header=BB301_12 Depth=1
	v_cvt_f32_i32_e32 v3, v30
	v_lshlrev_b32_e32 v30, 16, v39
	v_add_f32_e32 v3, v32, v3
	v_add_f32_e32 v30, v3, v30
	v_and_b32_e32 v3, 0x7f800000, v30
	v_cmp_ne_u32_e64 s[10:11], s56, v3
                                        ; implicit-def: $vgpr3
	s_and_saveexec_b64 s[40:41], s[10:11]
	s_xor_b64 s[10:11], exec, s[40:41]
; %bb.71:                               ;   in Loop: Header=BB301_12 Depth=1
	v_bfe_u32 v3, v30, 16, 1
	v_add3_u32 v3, v30, v3, s57
                                        ; implicit-def: $vgpr30
; %bb.72:                               ;   in Loop: Header=BB301_12 Depth=1
	s_andn2_saveexec_b64 s[40:41], s[10:11]
; %bb.73:                               ;   in Loop: Header=BB301_12 Depth=1
	v_or_b32_e32 v3, 0x10000, v30
	v_cmp_eq_u32_sdwa s[10:11], v30, v1 src0_sel:WORD_0 src1_sel:DWORD
	s_nop 1
	v_cndmask_b32_e64 v3, v3, v30, s[10:11]
; %bb.74:                               ;   in Loop: Header=BB301_12 Depth=1
	s_or_b64 exec, exec, s[40:41]
	v_add_u32_e32 v32, 1, v0
	v_mov_b32_e32 v33, v1
	v_lshl_add_u64 v[32:33], v[32:33], 1, s[24:25]
	global_store_short_d16_hi v[32:33], v3, off
	s_or_b64 exec, exec, s[38:39]
	s_and_saveexec_b64 s[38:39], s[8:9]
	s_cbranch_execz .LBB301_41
.LBB301_75:                             ;   in Loop: Header=BB301_12 Depth=1
	v_cvt_f32_i32_e32 v3, v29
	v_add_f32_e32 v3, v28, v3
	v_lshlrev_b32_e32 v28, 16, v38
	v_add_f32_e32 v28, v3, v28
	v_and_b32_e32 v3, 0x7f800000, v28
	v_cmp_ne_u32_e64 s[10:11], s56, v3
                                        ; implicit-def: $vgpr3
	s_and_saveexec_b64 s[40:41], s[10:11]
	s_xor_b64 s[10:11], exec, s[40:41]
; %bb.76:                               ;   in Loop: Header=BB301_12 Depth=1
	v_bfe_u32 v3, v28, 16, 1
	v_add3_u32 v3, v28, v3, s57
                                        ; implicit-def: $vgpr28
; %bb.77:                               ;   in Loop: Header=BB301_12 Depth=1
	s_andn2_saveexec_b64 s[40:41], s[10:11]
; %bb.78:                               ;   in Loop: Header=BB301_12 Depth=1
	v_or_b32_e32 v3, 0x10000, v28
	v_cmp_eq_u32_sdwa s[10:11], v28, v1 src0_sel:WORD_0 src1_sel:DWORD
	s_nop 1
	v_cndmask_b32_e64 v3, v3, v28, s[10:11]
; %bb.79:                               ;   in Loop: Header=BB301_12 Depth=1
	s_or_b64 exec, exec, s[40:41]
	v_add_u32_e32 v28, 2, v0
	v_mov_b32_e32 v29, v1
	v_lshl_add_u64 v[28:29], v[28:29], 1, s[24:25]
	global_store_short_d16_hi v[28:29], v3, off
	s_or_b64 exec, exec, s[38:39]
	v_add_u32_e32 v0, s23, v0
	s_and_saveexec_b64 s[38:39], vcc
	s_cbranch_execz .LBB301_42
.LBB301_80:                             ;   in Loop: Header=BB301_12 Depth=1
	v_cvt_f32_i32_e32 v3, v22
	v_lshlrev_b32_e32 v22, 16, v35
	v_add_f32_e32 v3, v24, v3
	v_add_f32_e32 v22, v3, v22
	v_and_b32_e32 v3, 0x7f800000, v22
	v_cmp_ne_u32_e64 s[10:11], s56, v3
                                        ; implicit-def: $vgpr3
	s_and_saveexec_b64 s[40:41], s[10:11]
	s_xor_b64 s[10:11], exec, s[40:41]
; %bb.81:                               ;   in Loop: Header=BB301_12 Depth=1
	v_bfe_u32 v3, v22, 16, 1
	v_add3_u32 v3, v22, v3, s57
                                        ; implicit-def: $vgpr22
; %bb.82:                               ;   in Loop: Header=BB301_12 Depth=1
	s_andn2_saveexec_b64 s[40:41], s[10:11]
; %bb.83:                               ;   in Loop: Header=BB301_12 Depth=1
	v_or_b32_e32 v3, 0x10000, v22
	v_cmp_eq_u32_sdwa s[10:11], v22, v1 src0_sel:WORD_0 src1_sel:DWORD
	s_nop 1
	v_cndmask_b32_e64 v3, v3, v22, s[10:11]
; %bb.84:                               ;   in Loop: Header=BB301_12 Depth=1
	s_or_b64 exec, exec, s[40:41]
	v_lshl_add_u64 v[28:29], v[0:1], 1, s[24:25]
	global_store_short_d16_hi v[28:29], v3, off
	s_or_b64 exec, exec, s[38:39]
	s_and_saveexec_b64 s[38:39], s[6:7]
	s_cbranch_execz .LBB301_43
.LBB301_85:                             ;   in Loop: Header=BB301_12 Depth=1
	v_cvt_f32_i32_e32 v3, v21
	v_add_f32_e32 v3, v20, v3
	v_lshlrev_b32_e32 v20, 16, v34
	v_add_f32_e32 v20, v3, v20
	v_and_b32_e32 v3, 0x7f800000, v20
	v_cmp_ne_u32_e64 s[10:11], s56, v3
                                        ; implicit-def: $vgpr3
	s_and_saveexec_b64 s[40:41], s[10:11]
	s_xor_b64 s[10:11], exec, s[40:41]
; %bb.86:                               ;   in Loop: Header=BB301_12 Depth=1
	v_bfe_u32 v3, v20, 16, 1
	v_add3_u32 v3, v20, v3, s57
                                        ; implicit-def: $vgpr20
; %bb.87:                               ;   in Loop: Header=BB301_12 Depth=1
	s_andn2_saveexec_b64 s[40:41], s[10:11]
; %bb.88:                               ;   in Loop: Header=BB301_12 Depth=1
	v_or_b32_e32 v3, 0x10000, v20
	v_cmp_eq_u32_sdwa s[10:11], v20, v1 src0_sel:WORD_0 src1_sel:DWORD
	s_nop 1
	v_cndmask_b32_e64 v3, v3, v20, s[10:11]
; %bb.89:                               ;   in Loop: Header=BB301_12 Depth=1
	s_or_b64 exec, exec, s[40:41]
	v_add_u32_e32 v20, 1, v0
	v_mov_b32_e32 v21, v1
	v_lshl_add_u64 v[20:21], v[20:21], 1, s[24:25]
	global_store_short_d16_hi v[20:21], v3, off
	s_or_b64 exec, exec, s[38:39]
	s_and_saveexec_b64 s[38:39], s[8:9]
	s_cbranch_execz .LBB301_44
.LBB301_90:                             ;   in Loop: Header=BB301_12 Depth=1
	v_cvt_f32_i32_e32 v3, v18
	v_add_f32_e32 v3, v16, v3
	v_lshlrev_b32_e32 v16, 16, v31
	v_add_f32_e32 v16, v3, v16
	v_and_b32_e32 v3, 0x7f800000, v16
	v_cmp_ne_u32_e64 s[10:11], s56, v3
                                        ; implicit-def: $vgpr3
	s_and_saveexec_b64 s[40:41], s[10:11]
	s_xor_b64 s[10:11], exec, s[40:41]
; %bb.91:                               ;   in Loop: Header=BB301_12 Depth=1
	v_bfe_u32 v3, v16, 16, 1
	v_add3_u32 v3, v16, v3, s57
                                        ; implicit-def: $vgpr16
; %bb.92:                               ;   in Loop: Header=BB301_12 Depth=1
	s_andn2_saveexec_b64 s[40:41], s[10:11]
; %bb.93:                               ;   in Loop: Header=BB301_12 Depth=1
	v_or_b32_e32 v3, 0x10000, v16
	v_cmp_eq_u32_sdwa s[10:11], v16, v1 src0_sel:WORD_0 src1_sel:DWORD
	s_nop 1
	v_cndmask_b32_e64 v3, v3, v16, s[10:11]
; %bb.94:                               ;   in Loop: Header=BB301_12 Depth=1
	s_or_b64 exec, exec, s[40:41]
	v_add_u32_e32 v20, 2, v0
	v_mov_b32_e32 v21, v1
	v_lshl_add_u64 v[20:21], v[20:21], 1, s[24:25]
	global_store_short_d16_hi v[20:21], v3, off
	s_or_b64 exec, exec, s[38:39]
	v_add_u32_e32 v0, s23, v0
	s_and_saveexec_b64 s[38:39], vcc
	s_cbranch_execz .LBB301_45
.LBB301_95:                             ;   in Loop: Header=BB301_12 Depth=1
	v_cvt_f32_i32_e32 v3, v17
	v_add_f32_e32 v3, v13, v3
	v_lshlrev_b32_e32 v13, 16, v27
	v_add_f32_e32 v13, v3, v13
	v_and_b32_e32 v3, 0x7f800000, v13
	v_cmp_ne_u32_e64 s[10:11], s56, v3
                                        ; implicit-def: $vgpr3
	s_and_saveexec_b64 s[40:41], s[10:11]
	s_xor_b64 s[10:11], exec, s[40:41]
; %bb.96:                               ;   in Loop: Header=BB301_12 Depth=1
	v_bfe_u32 v3, v13, 16, 1
	v_add3_u32 v3, v13, v3, s57
                                        ; implicit-def: $vgpr13
; %bb.97:                               ;   in Loop: Header=BB301_12 Depth=1
	s_andn2_saveexec_b64 s[40:41], s[10:11]
; %bb.98:                               ;   in Loop: Header=BB301_12 Depth=1
	v_or_b32_e32 v3, 0x10000, v13
	v_cmp_eq_u32_sdwa s[10:11], v13, v1 src0_sel:WORD_0 src1_sel:DWORD
	s_nop 1
	v_cndmask_b32_e64 v3, v3, v13, s[10:11]
; %bb.99:                               ;   in Loop: Header=BB301_12 Depth=1
	s_or_b64 exec, exec, s[40:41]
	v_lshl_add_u64 v[16:17], v[0:1], 1, s[24:25]
	global_store_short_d16_hi v[16:17], v3, off
	s_or_b64 exec, exec, s[38:39]
	s_and_saveexec_b64 s[38:39], s[6:7]
	s_cbranch_execz .LBB301_46
.LBB301_100:                            ;   in Loop: Header=BB301_12 Depth=1
	v_cvt_f32_i32_e32 v3, v10
	v_lshlrev_b32_e32 v10, 16, v26
	v_add_f32_e32 v3, v12, v3
	v_add_f32_e32 v10, v3, v10
	v_and_b32_e32 v3, 0x7f800000, v10
	v_cmp_ne_u32_e64 s[10:11], s56, v3
                                        ; implicit-def: $vgpr3
	s_and_saveexec_b64 s[40:41], s[10:11]
	s_xor_b64 s[10:11], exec, s[40:41]
; %bb.101:                              ;   in Loop: Header=BB301_12 Depth=1
	v_bfe_u32 v3, v10, 16, 1
	v_add3_u32 v3, v10, v3, s57
                                        ; implicit-def: $vgpr10
; %bb.102:                              ;   in Loop: Header=BB301_12 Depth=1
	s_andn2_saveexec_b64 s[40:41], s[10:11]
; %bb.103:                              ;   in Loop: Header=BB301_12 Depth=1
	v_or_b32_e32 v3, 0x10000, v10
	v_cmp_eq_u32_sdwa s[10:11], v10, v1 src0_sel:WORD_0 src1_sel:DWORD
	s_nop 1
	v_cndmask_b32_e64 v3, v3, v10, s[10:11]
; %bb.104:                              ;   in Loop: Header=BB301_12 Depth=1
	s_or_b64 exec, exec, s[40:41]
	v_add_u32_e32 v12, 1, v0
	v_mov_b32_e32 v13, v1
	v_lshl_add_u64 v[12:13], v[12:13], 1, s[24:25]
	global_store_short_d16_hi v[12:13], v3, off
	s_or_b64 exec, exec, s[38:39]
	s_and_saveexec_b64 s[38:39], s[8:9]
	s_cbranch_execz .LBB301_47
.LBB301_105:                            ;   in Loop: Header=BB301_12 Depth=1
	v_cvt_f32_i32_e32 v3, v15
	v_lshlrev_b32_e32 v10, 16, v25
	v_add_f32_e32 v3, v11, v3
	v_add_f32_e32 v10, v3, v10
	v_and_b32_e32 v3, 0x7f800000, v10
	v_cmp_ne_u32_e64 s[10:11], s56, v3
                                        ; implicit-def: $vgpr3
	s_and_saveexec_b64 s[40:41], s[10:11]
	s_xor_b64 s[10:11], exec, s[40:41]
; %bb.106:                              ;   in Loop: Header=BB301_12 Depth=1
	v_bfe_u32 v3, v10, 16, 1
	v_add3_u32 v3, v10, v3, s57
                                        ; implicit-def: $vgpr10
; %bb.107:                              ;   in Loop: Header=BB301_12 Depth=1
	s_andn2_saveexec_b64 s[40:41], s[10:11]
; %bb.108:                              ;   in Loop: Header=BB301_12 Depth=1
	v_or_b32_e32 v3, 0x10000, v10
	v_cmp_eq_u32_sdwa s[10:11], v10, v1 src0_sel:WORD_0 src1_sel:DWORD
	s_nop 1
	v_cndmask_b32_e64 v3, v3, v10, s[10:11]
; %bb.109:                              ;   in Loop: Header=BB301_12 Depth=1
	s_or_b64 exec, exec, s[40:41]
	v_add_u32_e32 v10, 2, v0
	v_mov_b32_e32 v11, v1
	v_lshl_add_u64 v[10:11], v[10:11], 1, s[24:25]
	global_store_short_d16_hi v[10:11], v3, off
	s_or_b64 exec, exec, s[38:39]
	v_add_u32_e32 v0, s23, v0
	s_and_saveexec_b64 s[10:11], vcc
	s_cbranch_execz .LBB301_48
.LBB301_110:                            ;   in Loop: Header=BB301_12 Depth=1
	v_cvt_f32_i32_e32 v3, v9
	v_add_f32_e32 v3, v8, v3
	v_lshlrev_b32_e32 v8, 16, v23
	v_add_f32_e32 v8, v3, v8
	v_and_b32_e32 v3, 0x7f800000, v8
	v_cmp_ne_u32_e32 vcc, s56, v3
                                        ; implicit-def: $vgpr3
	s_and_saveexec_b64 s[38:39], vcc
	s_xor_b64 s[38:39], exec, s[38:39]
; %bb.111:                              ;   in Loop: Header=BB301_12 Depth=1
	v_bfe_u32 v3, v8, 16, 1
	v_add3_u32 v3, v8, v3, s57
                                        ; implicit-def: $vgpr8
; %bb.112:                              ;   in Loop: Header=BB301_12 Depth=1
	s_andn2_saveexec_b64 s[38:39], s[38:39]
; %bb.113:                              ;   in Loop: Header=BB301_12 Depth=1
	v_or_b32_e32 v3, 0x10000, v8
	v_cmp_eq_u32_sdwa vcc, v8, v1 src0_sel:WORD_0 src1_sel:DWORD
	s_nop 1
	v_cndmask_b32_e32 v3, v3, v8, vcc
; %bb.114:                              ;   in Loop: Header=BB301_12 Depth=1
	s_or_b64 exec, exec, s[38:39]
	v_lshl_add_u64 v[8:9], v[0:1], 1, s[24:25]
	global_store_short_d16_hi v[8:9], v3, off
	s_or_b64 exec, exec, s[10:11]
	s_and_saveexec_b64 s[10:11], s[6:7]
	s_cbranch_execz .LBB301_49
.LBB301_115:                            ;   in Loop: Header=BB301_12 Depth=1
	v_cvt_f32_i32_e32 v3, v7
	v_add_f32_e32 v3, v6, v3
	v_lshlrev_b32_e32 v6, 16, v19
	v_add_f32_e32 v6, v3, v6
	v_and_b32_e32 v3, 0x7f800000, v6
	v_cmp_ne_u32_e32 vcc, s56, v3
                                        ; implicit-def: $vgpr3
	s_and_saveexec_b64 s[6:7], vcc
	s_xor_b64 s[6:7], exec, s[6:7]
; %bb.116:                              ;   in Loop: Header=BB301_12 Depth=1
	v_bfe_u32 v3, v6, 16, 1
	v_add3_u32 v3, v6, v3, s57
                                        ; implicit-def: $vgpr6
; %bb.117:                              ;   in Loop: Header=BB301_12 Depth=1
	s_andn2_saveexec_b64 s[6:7], s[6:7]
; %bb.118:                              ;   in Loop: Header=BB301_12 Depth=1
	v_or_b32_e32 v3, 0x10000, v6
	v_cmp_eq_u32_sdwa vcc, v6, v1 src0_sel:WORD_0 src1_sel:DWORD
	s_nop 1
	v_cndmask_b32_e32 v3, v3, v6, vcc
; %bb.119:                              ;   in Loop: Header=BB301_12 Depth=1
	s_or_b64 exec, exec, s[6:7]
	v_add_u32_e32 v6, 1, v0
	v_mov_b32_e32 v7, v1
	v_lshl_add_u64 v[6:7], v[6:7], 1, s[24:25]
	global_store_short_d16_hi v[6:7], v3, off
	s_or_b64 exec, exec, s[10:11]
	s_and_b64 exec, exec, s[8:9]
	s_cbranch_execz .LBB301_125
.LBB301_120:                            ;   in Loop: Header=BB301_12 Depth=1
	v_cvt_f32_i32_e32 v3, v5
	v_add_f32_e32 v3, v4, v3
	s_waitcnt vmcnt(0)
	v_lshlrev_b32_e32 v4, 16, v14
	v_add_f32_e32 v4, v3, v4
	v_and_b32_e32 v3, 0x7f800000, v4
	v_cmp_ne_u32_e32 vcc, s56, v3
                                        ; implicit-def: $vgpr3
	s_and_saveexec_b64 s[6:7], vcc
	s_xor_b64 s[6:7], exec, s[6:7]
; %bb.121:                              ;   in Loop: Header=BB301_12 Depth=1
	v_bfe_u32 v3, v4, 16, 1
	v_add3_u32 v3, v4, v3, s57
                                        ; implicit-def: $vgpr4
; %bb.122:                              ;   in Loop: Header=BB301_12 Depth=1
	s_andn2_saveexec_b64 s[6:7], s[6:7]
; %bb.123:                              ;   in Loop: Header=BB301_12 Depth=1
	v_or_b32_e32 v3, 0x10000, v4
	v_cmp_eq_u32_sdwa vcc, v4, v1 src0_sel:WORD_0 src1_sel:DWORD
	s_nop 1
	v_cndmask_b32_e32 v3, v3, v4, vcc
; %bb.124:                              ;   in Loop: Header=BB301_12 Depth=1
	s_or_b64 exec, exec, s[6:7]
	v_add_u32_e32 v0, 2, v0
	v_lshl_add_u64 v[4:5], v[0:1], 1, s[24:25]
	global_store_short_d16_hi v[4:5], v3, off
.LBB301_125:                            ;   in Loop: Header=BB301_12 Depth=1
	s_or_b64 exec, exec, s[36:37]
	s_waitcnt vmcnt(0)
	v_add_u32_e32 v50, s46, v50
	v_add_u32_e32 v0, 3, v50
	v_cmp_gt_u32_e32 vcc, s23, v50
	v_cmp_le_u32_e64 s[6:7], s23, v0
	s_and_b64 s[6:7], vcc, s[6:7]
	s_and_saveexec_b64 s[8:9], s[6:7]
	s_cbranch_execz .LBB301_10
; %bb.126:                              ;   in Loop: Header=BB301_12 Depth=1
	v_cmp_ne_u32_e32 vcc, s13, v50
	s_and_saveexec_b64 s[10:11], vcc
	s_cbranch_execz .LBB301_9
; %bb.127:                              ;   in Loop: Header=BB301_12 Depth=1
	v_subrev_u32_e32 v0, s13, v50
	v_cmp_lt_u32_e32 vcc, 1, v0
	s_mov_b64 s[36:37], 0
	s_mov_b64 s[38:39], 0
	v_cndmask_b32_e32 v0, 1, v0, vcc
.LBB301_128:                            ;   Parent Loop BB301_12 Depth=1
                                        ; =>  This Inner Loop Header: Depth=2
	s_cmp_lg_u32 s38, 2
	s_cselect_b64 vcc, -1, 0
	s_cmp_lg_u32 s38, 1
	v_cndmask_b32_e32 v126, 0, v126, vcc
	s_cselect_b64 vcc, -1, 0
	s_cmp_lg_u32 s38, 0
	v_cndmask_b32_e32 v125, 0, v125, vcc
	s_cselect_b64 vcc, -1, 0
	s_add_u32 s38, s38, 1
	s_addc_u32 s39, s39, 0
	v_cmp_eq_u32_e64 s[6:7], s38, v0
	s_or_b64 s[36:37], s[6:7], s[36:37]
	v_cndmask_b32_e32 v124, 0, v124, vcc
	s_andn2_b64 exec, exec, s[36:37]
	s_cbranch_execnz .LBB301_128
; %bb.129:                              ;   in Loop: Header=BB301_12 Depth=1
	s_or_b64 exec, exec, s[36:37]
	s_branch .LBB301_9
.LBB301_130:
	s_endpgm
	.section	.rodata,"a",@progbits
	.p2align	6, 0x0
	.amdhsa_kernel _Z16wvSplitK_hf_big_I14__hip_bfloat16Li64ELi3ELi16ELi8ELi2ELi5EEviiiiiiPKT_S3_S3_PS1_ii
		.amdhsa_group_segment_fixed_size 65536
		.amdhsa_private_segment_fixed_size 100
		.amdhsa_kernarg_size 64
		.amdhsa_user_sgpr_count 2
		.amdhsa_user_sgpr_dispatch_ptr 0
		.amdhsa_user_sgpr_queue_ptr 0
		.amdhsa_user_sgpr_kernarg_segment_ptr 1
		.amdhsa_user_sgpr_dispatch_id 0
		.amdhsa_user_sgpr_kernarg_preload_length 0
		.amdhsa_user_sgpr_kernarg_preload_offset 0
		.amdhsa_user_sgpr_private_segment_size 0
		.amdhsa_uses_dynamic_stack 0
		.amdhsa_enable_private_segment 1
		.amdhsa_system_sgpr_workgroup_id_x 1
		.amdhsa_system_sgpr_workgroup_id_y 0
		.amdhsa_system_sgpr_workgroup_id_z 0
		.amdhsa_system_sgpr_workgroup_info 0
		.amdhsa_system_vgpr_workitem_id 1
		.amdhsa_next_free_vgpr 128
		.amdhsa_next_free_sgpr 58
		.amdhsa_accum_offset 128
		.amdhsa_reserve_vcc 1
		.amdhsa_float_round_mode_32 0
		.amdhsa_float_round_mode_16_64 0
		.amdhsa_float_denorm_mode_32 3
		.amdhsa_float_denorm_mode_16_64 3
		.amdhsa_dx10_clamp 1
		.amdhsa_ieee_mode 1
		.amdhsa_fp16_overflow 0
		.amdhsa_tg_split 0
		.amdhsa_exception_fp_ieee_invalid_op 0
		.amdhsa_exception_fp_denorm_src 0
		.amdhsa_exception_fp_ieee_div_zero 0
		.amdhsa_exception_fp_ieee_overflow 0
		.amdhsa_exception_fp_ieee_underflow 0
		.amdhsa_exception_fp_ieee_inexact 0
		.amdhsa_exception_int_div_zero 0
	.end_amdhsa_kernel
	.section	.text._Z16wvSplitK_hf_big_I14__hip_bfloat16Li64ELi3ELi16ELi8ELi2ELi5EEviiiiiiPKT_S3_S3_PS1_ii,"axG",@progbits,_Z16wvSplitK_hf_big_I14__hip_bfloat16Li64ELi3ELi16ELi8ELi2ELi5EEviiiiiiPKT_S3_S3_PS1_ii,comdat
.Lfunc_end301:
	.size	_Z16wvSplitK_hf_big_I14__hip_bfloat16Li64ELi3ELi16ELi8ELi2ELi5EEviiiiiiPKT_S3_S3_PS1_ii, .Lfunc_end301-_Z16wvSplitK_hf_big_I14__hip_bfloat16Li64ELi3ELi16ELi8ELi2ELi5EEviiiiiiPKT_S3_S3_PS1_ii
                                        ; -- End function
	.section	.AMDGPU.csdata,"",@progbits
; Kernel info:
; codeLenInByte = 7956
; NumSgprs: 64
; NumVgprs: 128
; NumAgprs: 0
; TotalNumVgprs: 128
; ScratchSize: 100
; MemoryBound: 0
; FloatMode: 240
; IeeeMode: 1
; LDSByteSize: 65536 bytes/workgroup (compile time only)
; SGPRBlocks: 7
; VGPRBlocks: 15
; NumSGPRsForWavesPerEU: 64
; NumVGPRsForWavesPerEU: 128
; AccumOffset: 128
; Occupancy: 4
; WaveLimiterHint : 0
; COMPUTE_PGM_RSRC2:SCRATCH_EN: 1
; COMPUTE_PGM_RSRC2:USER_SGPR: 2
; COMPUTE_PGM_RSRC2:TRAP_HANDLER: 0
; COMPUTE_PGM_RSRC2:TGID_X_EN: 1
; COMPUTE_PGM_RSRC2:TGID_Y_EN: 0
; COMPUTE_PGM_RSRC2:TGID_Z_EN: 0
; COMPUTE_PGM_RSRC2:TIDIG_COMP_CNT: 1
; COMPUTE_PGM_RSRC3_GFX90A:ACCUM_OFFSET: 31
; COMPUTE_PGM_RSRC3_GFX90A:TG_SPLIT: 0
	.section	.text._Z16wvSplitK_hf_sml_I14__hip_bfloat16Li64ELi4ELi16ELi8ELi1ELi5EEviiiiiiPKT_S3_S3_PS1_ii,"axG",@progbits,_Z16wvSplitK_hf_sml_I14__hip_bfloat16Li64ELi4ELi16ELi8ELi1ELi5EEviiiiiiPKT_S3_S3_PS1_ii,comdat
	.protected	_Z16wvSplitK_hf_sml_I14__hip_bfloat16Li64ELi4ELi16ELi8ELi1ELi5EEviiiiiiPKT_S3_S3_PS1_ii ; -- Begin function _Z16wvSplitK_hf_sml_I14__hip_bfloat16Li64ELi4ELi16ELi8ELi1ELi5EEviiiiiiPKT_S3_S3_PS1_ii
	.globl	_Z16wvSplitK_hf_sml_I14__hip_bfloat16Li64ELi4ELi16ELi8ELi1ELi5EEviiiiiiPKT_S3_S3_PS1_ii
	.p2align	8
	.type	_Z16wvSplitK_hf_sml_I14__hip_bfloat16Li64ELi4ELi16ELi8ELi1ELi5EEviiiiiiPKT_S3_S3_PS1_ii,@function
_Z16wvSplitK_hf_sml_I14__hip_bfloat16Li64ELi4ELi16ELi8ELi1ELi5EEviiiiiiPKT_S3_S3_PS1_ii: ; @_Z16wvSplitK_hf_sml_I14__hip_bfloat16Li64ELi4ELi16ELi8ELi1ELi5EEviiiiiiPKT_S3_S3_PS1_ii
; %bb.0:
	s_load_dwordx4 s[4:7], s[0:1], 0x0
	s_load_dwordx2 s[8:9], s[0:1], 0x10
	s_load_dwordx2 s[10:11], s[0:1], 0x28
	v_and_b32_e32 v2, 0x3ff, v0
	v_bfe_u32 v3, v0, 10, 10
	v_lshlrev_b32_e32 v0, 3, v2
	s_waitcnt lgkmcnt(0)
	s_mul_i32 s3, s6, 5
	v_lshl_add_u32 v4, v3, 9, v0
	s_min_u32 s3, s3, 0x8000
	v_cmp_gt_u32_e32 vcc, s3, v4
	scratch_store_dword off, v0, off        ; 4-byte Folded Spill
	s_and_saveexec_b64 s[12:13], vcc
	s_cbranch_execz .LBB302_3
; %bb.1:
	s_load_dwordx2 s[14:15], s[0:1], 0x20
	v_mov_b32_e32 v7, 0
	v_lshlrev_b32_e32 v6, 10, v3
	v_lshlrev_b32_e32 v8, 4, v2
	v_mov_b32_e32 v9, v7
	v_lshl_add_u64 v[0:1], v[6:7], 0, v[8:9]
	s_waitcnt lgkmcnt(0)
	v_lshl_add_u64 v[0:1], s[14:15], 0, v[0:1]
	v_add_u32_e32 v5, v6, v8
	s_mov_b64 s[14:15], 0
	s_mov_b64 s[16:17], 0x4000
.LBB302_2:                              ; =>This Inner Loop Header: Depth=1
	global_load_dwordx4 v[6:9], v[0:1], off
	v_add_u32_e32 v4, 0x2000, v4
	v_cmp_le_u32_e32 vcc, s3, v4
	v_lshl_add_u64 v[0:1], v[0:1], 0, s[16:17]
	s_or_b64 s[14:15], vcc, s[14:15]
	s_waitcnt vmcnt(0)
	ds_write_b128 v5, v[6:9]
	v_add_u32_e32 v5, 0x4000, v5
	s_andn2_b64 exec, exec, s[14:15]
	s_cbranch_execnz .LBB302_2
.LBB302_3:
	s_or_b64 exec, exec, s[12:13]
	s_load_dwordx2 s[16:17], s[0:1], 0x38
	s_waitcnt lgkmcnt(0)
	s_barrier
	v_cmp_gt_u32_e32 vcc, s16, v3
	s_and_saveexec_b64 s[12:13], vcc
	s_cbranch_execz .LBB302_96
; %bb.4:
	s_mul_i32 s2, s2, s16
	v_add_lshl_u32 v112, s2, v3, 2
	v_cmp_gt_u32_e32 vcc, s7, v112
	s_and_b64 exec, exec, vcc
	s_cbranch_execz .LBB302_96
; %bb.5:
	s_cmp_lg_u32 s4, 0
	s_cselect_b64 s[2:3], -1, 0
	s_add_i32 s24, s4, -8
	s_add_i32 s25, s7, -1
	s_cmp_lg_u64 s[10:11], 0
	s_cselect_b64 s[18:19], -1, 0
	s_abs_i32 s21, s9
	v_cvt_f32_u32_e32 v0, s8
	v_cvt_f32_u32_e32 v1, s21
	s_mul_i32 s20, s16, s17
	s_lshl_b32 s9, s20, 2
	v_rcp_iflag_f32_e32 v0, v0
	v_rcp_iflag_f32_e32 v1, v1
	s_sub_i32 s20, 0, s8
	s_load_dwordx2 s[12:13], s[0:1], 0x18
	s_load_dwordx2 s[14:15], s[0:1], 0x30
	v_mul_f32_e32 v0, 0x4f7ffffe, v0
	v_mul_f32_e32 v1, 0x4f7ffffe, v1
	v_cvt_u32_f32_e32 v0, v0
	v_cvt_u32_f32_e32 v1, v1
	v_cmp_eq_u32_e64 s[0:1], 63, v2
	s_mov_b64 s[16:17], 0
	v_mul_lo_u32 v3, s20, v0
	s_sub_i32 s20, 0, s21
	v_readfirstlane_b32 s22, v1
	s_mul_i32 s20, s20, s22
	s_mul_hi_u32 s20, s22, s20
	s_add_i32 s22, s22, s20
	s_sub_i32 s20, 1, s21
	s_cmp_lt_u32 s21, 2
	s_cselect_b32 s20, s20, 1
	s_sub_i32 s23, s20, s21
	s_cmp_ge_u32 s20, s21
	s_cselect_b32 s26, s23, s20
	s_lshr_b32 s20, s22, 31
	s_mul_i32 s20, s20, s21
	s_sub_i32 s20, 2, s20
	s_sub_i32 s23, s20, s21
	s_cmp_ge_u32 s20, s21
	s_cselect_b32 s20, s23, s20
	s_sub_i32 s23, s20, s21
	s_cmp_ge_u32 s20, s21
	s_cselect_b32 s27, s23, s20
	s_mul_hi_u32 s20, s22, 3
	s_mul_i32 s20, s20, s21
	s_sub_i32 s20, 3, s20
	s_sub_i32 s23, s20, s21
	s_cmp_ge_u32 s20, s21
	s_cselect_b32 s20, s23, s20
	s_sub_i32 s23, s20, s21
	s_cmp_ge_u32 s20, s21
	s_cselect_b32 s28, s23, s20
	s_lshr_b32 s20, s22, 30
	s_mul_i32 s20, s20, s21
	s_sub_i32 s20, 4, s20
	s_sub_i32 s22, s20, s21
	s_cmp_ge_u32 s20, s21
	v_mul_hi_u32 v3, v0, v3
	s_cselect_b32 s20, s22, s20
	v_add_u32_e32 v0, v0, v3
	s_sub_i32 s22, s20, s21
	scratch_store_dword off, v0, off offset:8 ; 4-byte Folded Spill
	s_cmp_ge_u32 s20, s21
	v_lshlrev_b32_e32 v0, 4, v2
	s_cselect_b32 s29, s22, s20
	scratch_store_dword off, v0, off offset:4 ; 4-byte Folded Spill
	v_cndmask_b32_e64 v0, 0, 1, s[2:3]
	v_mov_b32_e32 v115, 0
	s_mul_i32 s26, s26, s8
	s_mul_i32 s27, s27, s8
	;; [unrolled: 1-line block ×4, first 2 shown]
	s_lshl_b32 s30, s6, 3
	s_mul_i32 s31, s6, 6
	s_lshl_b32 s33, s6, 2
	s_lshl_b32 s6, s6, 1
	v_cmp_ne_u32_e64 s[2:3], 1, v0
	s_mov_b32 s34, 0x7f800000
	s_movk_i32 s35, 0x7fff
	s_branch .LBB302_8
.LBB302_6:                              ;   in Loop: Header=BB302_8 Depth=1
	s_or_b64 exec, exec, s[22:23]
	global_store_short_d16_hi v[0:1], v3, off offset:6
.LBB302_7:                              ;   in Loop: Header=BB302_8 Depth=1
	s_or_b64 exec, exec, s[20:21]
	v_add_u32_e32 v112, s9, v112
	v_cmp_le_u32_e32 vcc, s7, v112
	s_or_b64 s[16:17], vcc, s[16:17]
	s_andn2_b64 exec, exec, s[16:17]
	s_cbranch_execz .LBB302_96
.LBB302_8:                              ; =>This Loop Header: Depth=1
                                        ;     Child Loop BB302_11 Depth 2
	s_and_b64 vcc, exec, s[2:3]
	v_mov_b32_e32 v11, v115
	v_mov_b32_e32 v10, v115
	v_mov_b32_e32 v9, v115
	v_mov_b32_e32 v8, v115
	v_mov_b32_e32 v3, v115
	v_mov_b32_e32 v2, v115
	v_mov_b32_e32 v1, v115
	v_mov_b32_e32 v0, v115
	v_mov_b32_e32 v7, v115
	v_mov_b32_e32 v6, v115
	v_mov_b32_e32 v5, v115
	v_mov_b32_e32 v4, v115
	v_mov_b32_e32 v15, v115
	v_mov_b32_e32 v14, v115
	v_mov_b32_e32 v13, v115
	v_mov_b32_e32 v12, v115
	v_mov_b32_e32 v79, v115
	v_mov_b32_e32 v78, v115
	v_mov_b32_e32 v77, v115
	v_mov_b32_e32 v76, v115
	v_mov_b32_e32 v75, v115
	v_mov_b32_e32 v74, v115
	v_mov_b32_e32 v73, v115
	v_mov_b32_e32 v72, v115
	v_mov_b32_e32 v71, v115
	v_mov_b32_e32 v70, v115
	v_mov_b32_e32 v69, v115
	v_mov_b32_e32 v68, v115
	v_mov_b32_e32 v67, v115
	v_mov_b32_e32 v66, v115
	v_mov_b32_e32 v65, v115
	v_mov_b32_e32 v64, v115
	v_mov_b32_e32 v63, v115
	v_mov_b32_e32 v62, v115
	v_mov_b32_e32 v61, v115
	v_mov_b32_e32 v60, v115
	v_mov_b32_e32 v59, v115
	v_mov_b32_e32 v58, v115
	v_mov_b32_e32 v57, v115
	v_mov_b32_e32 v56, v115
	v_mov_b32_e32 v55, v115
	v_mov_b32_e32 v54, v115
	v_mov_b32_e32 v53, v115
	v_mov_b32_e32 v52, v115
	v_mov_b32_e32 v51, v115
	v_mov_b32_e32 v50, v115
	v_mov_b32_e32 v49, v115
	v_mov_b32_e32 v48, v115
	v_mov_b32_e32 v47, v115
	v_mov_b32_e32 v46, v115
	v_mov_b32_e32 v45, v115
	v_mov_b32_e32 v44, v115
	v_mov_b32_e32 v43, v115
	v_mov_b32_e32 v42, v115
	v_mov_b32_e32 v41, v115
	v_mov_b32_e32 v40, v115
	v_mov_b32_e32 v39, v115
	v_mov_b32_e32 v38, v115
	v_mov_b32_e32 v37, v115
	v_mov_b32_e32 v36, v115
	v_mov_b32_e32 v35, v115
	v_mov_b32_e32 v34, v115
	v_mov_b32_e32 v33, v115
	v_mov_b32_e32 v32, v115
	v_mov_b32_e32 v31, v115
	v_mov_b32_e32 v30, v115
	v_mov_b32_e32 v29, v115
	v_mov_b32_e32 v28, v115
	v_mov_b32_e32 v27, v115
	v_mov_b32_e32 v26, v115
	v_mov_b32_e32 v25, v115
	v_mov_b32_e32 v24, v115
	v_mov_b32_e32 v23, v115
	v_mov_b32_e32 v22, v115
	v_mov_b32_e32 v21, v115
	v_mov_b32_e32 v20, v115
	v_mov_b32_e32 v19, v115
	v_mov_b32_e32 v18, v115
	v_mov_b32_e32 v17, v115
	v_mov_b32_e32 v16, v115
	s_cbranch_vccnz .LBB302_13
; %bb.9:                                ;   in Loop: Header=BB302_8 Depth=1
	scratch_load_dword v113, off, off offset:4 ; 4-byte Folded Reload
	v_min_u32_e32 v0, s25, v112
	v_mul_lo_u32 v116, v0, s5
	v_or_b32_e32 v0, 1, v112
	v_min_u32_e32 v0, s25, v0
	v_mul_lo_u32 v118, v0, s5
	v_or_b32_e32 v0, 2, v112
	;; [unrolled: 3-line block ×3, first 2 shown]
	v_min_u32_e32 v0, s25, v0
	v_mov_b32_e32 v16, 0
	v_mov_b32_e32 v117, v115
	;; [unrolled: 1-line block ×4, first 2 shown]
	v_mul_lo_u32 v122, v0, s5
	v_mov_b32_e32 v123, v115
	s_mov_b32 s22, 0
	v_mov_b32_e32 v17, v16
	v_mov_b32_e32 v18, v16
	;; [unrolled: 1-line block ×79, first 2 shown]
	s_branch .LBB302_11
.LBB302_10:                             ;   in Loop: Header=BB302_11 Depth=2
	s_or_b64 exec, exec, s[20:21]
	s_waitcnt vmcnt(3) lgkmcnt(1)
	v_mfma_f32_4x4x4_16b_bf16 v[76:79], v[108:109], v[92:93], v[76:79]
	s_addk_i32 s22, 0x200
	s_waitcnt vmcnt(2)
	v_mfma_f32_4x4x4_16b_bf16 v[72:75], v[108:109], v[88:89], v[72:75]
	v_add_u32_e32 v113, 0x400, v113
	s_waitcnt vmcnt(1)
	v_mfma_f32_4x4x4_16b_bf16 v[68:71], v[108:109], v[96:97], v[68:71]
	s_cmp_ge_u32 s22, s4
	s_waitcnt vmcnt(0)
	v_mfma_f32_4x4x4_16b_bf16 v[64:67], v[108:109], v[80:81], v[64:67]
	v_mfma_f32_4x4x4_16b_bf16 v[60:63], v[104:105], v[92:93], v[60:63]
	;; [unrolled: 1-line block ×13, first 2 shown]
	s_waitcnt lgkmcnt(0)
	v_mfma_f32_4x4x4_16b_bf16 v[12:15], v[84:85], v[92:93], v[12:15]
	v_mfma_f32_4x4x4_16b_bf16 v[4:7], v[84:85], v[88:89], v[4:7]
	;; [unrolled: 1-line block ×24, first 2 shown]
	s_cbranch_scc1 .LBB302_13
.LBB302_11:                             ;   Parent Loop BB302_8 Depth=1
                                        ; =>  This Inner Loop Header: Depth=2
	scratch_load_dword v80, off, off        ; 4-byte Folded Reload
	v_mov_b32_e32 v87, 0
	v_mov_b32_e32 v102, 0
	;; [unrolled: 1-line block ×17, first 2 shown]
	s_waitcnt vmcnt(0)
	v_add_u32_e32 v86, s22, v80
	v_min_u32_e32 v114, s24, v86
	s_waitcnt lgkmcnt(0)
	v_lshl_add_u64 v[80:81], v[114:115], 1, s[12:13]
	v_lshl_add_u64 v[82:83], v[116:117], 1, v[80:81]
	;; [unrolled: 1-line block ×3, first 2 shown]
	global_load_dwordx4 v[92:95], v[82:83], off nt
	global_load_dwordx4 v[88:91], v[84:85], off nt
	v_lshl_add_u64 v[82:83], v[120:121], 1, v[80:81]
	v_lshl_add_u64 v[80:81], v[122:123], 1, v[80:81]
	global_load_dwordx4 v[96:99], v[82:83], off nt
	s_nop 0
	global_load_dwordx4 v[80:83], v[80:81], off nt
	v_cmp_gt_u32_e32 vcc, s4, v86
	v_mov_b32_e32 v86, 0
	v_mov_b32_e32 v84, 0
	;; [unrolled: 1-line block ×3, first 2 shown]
	s_and_saveexec_b64 s[20:21], vcc
	s_cbranch_execz .LBB302_10
; %bb.12:                               ;   in Loop: Header=BB302_11 Depth=2
	v_add_u32_e32 v84, s6, v113
	v_add_u32_e32 v85, s33, v113
	ds_read_b128 v[104:107], v84
	ds_read2_b32 v[126:127], v85 offset1:1
	v_add_u32_e32 v84, s31, v113
	ds_read2_b32 v[124:125], v85 offset0:2 offset1:3
	ds_read_b128 v[100:103], v84
	v_add_u32_e32 v84, s30, v113
	ds_read_b128 v[108:111], v113
	ds_read2_b64 v[84:87], v84 offset1:1
	s_branch .LBB302_10
.LBB302_13:                             ;   in Loop: Header=BB302_8 Depth=1
	; sched_barrier mask(0x00000000)
	v_cvt_i32_f32_e32 v77, v77
	v_cvt_i32_f32_e32 v78, v78
	;; [unrolled: 1-line block ×4, first 2 shown]
	v_cvt_f32_i32_dpp v77, v77 row_shl:1 row_mask:0xf bank_mask:0xf bound_ctrl:1
	v_cvt_f32_i32_dpp v78, v78 row_shl:2 row_mask:0xf bank_mask:0xf bound_ctrl:1
	v_cvt_f32_i32_dpp v79, v79 row_shl:3 row_mask:0xf bank_mask:0xf bound_ctrl:1
	v_cvt_i32_f32_e32 v74, v74
	v_add_f32_e32 v76, v76, v77
	v_add_f32_e32 v76, v76, v78
	;; [unrolled: 1-line block ×3, first 2 shown]
	v_cvt_i32_f32_e32 v77, v76
	v_cvt_i32_f32_e32 v75, v75
	v_cvt_f32_i32_dpp v73, v73 row_shl:1 row_mask:0xf bank_mask:0xf bound_ctrl:1
	v_cvt_f32_i32_dpp v74, v74 row_shl:2 row_mask:0xf bank_mask:0xf bound_ctrl:1
	;; [unrolled: 1-line block ×4, first 2 shown]
	v_add_f32_e32 v72, v72, v73
	v_cvt_i32_f32_e32 v69, v69
	v_add_f32_e32 v73, v76, v77
	v_cvt_i32_f32_e32 v76, v73
	v_add_f32_e32 v72, v72, v74
	v_add_f32_e32 v72, v72, v75
	v_cvt_i32_f32_e32 v70, v70
	v_cvt_i32_f32_e32 v74, v72
	;; [unrolled: 1-line block ×3, first 2 shown]
	v_cvt_f32_i32_dpp v75, v76 row_shl:8 row_mask:0xf bank_mask:0xf bound_ctrl:1
	v_cvt_f32_i32_dpp v69, v69 row_shl:1 row_mask:0xf bank_mask:0xf bound_ctrl:1
	;; [unrolled: 1-line block ×5, first 2 shown]
	v_add_f32_e32 v73, v73, v75
	v_cvt_i32_f32_e32 v73, v73
	v_add_f32_e32 v68, v68, v69
	v_add_f32_e32 v68, v68, v70
	;; [unrolled: 1-line block ×4, first 2 shown]
	v_cvt_i32_f32_e32 v74, v72
	v_cvt_i32_f32_e32 v69, v68
	v_cvt_f32_i32_dpp v73, v73 row_shr:15 row_mask:0xf bank_mask:0xf bound_ctrl:1
	v_cvt_i32_f32_e32 v65, v65
	v_cvt_i32_f32_e32 v66, v66
	v_cvt_f32_i32_dpp v71, v74 row_shl:8 row_mask:0xf bank_mask:0xf bound_ctrl:1
	v_cvt_f32_i32_dpp v69, v69 row_shl:4 row_mask:0xf bank_mask:0xf bound_ctrl:1
	v_cvt_i32_f32_e32 v67, v67
	v_cvt_i32_f32_e32 v70, v73
	v_cvt_f32_i32_dpp v65, v65 row_shl:1 row_mask:0xf bank_mask:0xf bound_ctrl:1
	v_cvt_f32_i32_dpp v66, v66 row_shl:2 row_mask:0xf bank_mask:0xf bound_ctrl:1
	v_add_f32_e32 v71, v72, v71
	v_add_f32_e32 v69, v68, v69
	v_cvt_f32_i32_dpp v67, v67 row_shl:3 row_mask:0xf bank_mask:0xf bound_ctrl:1
	v_cvt_f32_i32_dpp v70, v70 row_bcast:15 row_mask:0xf bank_mask:0xf bound_ctrl:1
	v_cvt_i32_f32_e32 v71, v71
	v_cvt_i32_f32_e32 v72, v69
	v_add_f32_e32 v64, v64, v65
	v_add_f32_e32 v64, v64, v66
	;; [unrolled: 1-line block ×4, first 2 shown]
	v_cvt_f32_i32_dpp v70, v71 row_shr:15 row_mask:0xf bank_mask:0xf bound_ctrl:1
	v_cvt_f32_i32_dpp v71, v72 row_shl:8 row_mask:0xf bank_mask:0xf bound_ctrl:1
	v_cvt_i32_f32_e32 v65, v64
	v_cvt_i32_f32_e32 v61, v61
	;; [unrolled: 1-line block ×4, first 2 shown]
	v_add_f32_e32 v69, v69, v71
	v_cvt_f32_i32_dpp v71, v65 row_shl:4 row_mask:0xf bank_mask:0xf bound_ctrl:1
	v_cvt_i32_f32_e32 v66, v68
	v_cvt_i32_f32_e32 v67, v70
	v_cvt_f32_i32_dpp v61, v61 row_shl:1 row_mask:0xf bank_mask:0xf bound_ctrl:1
	v_cvt_f32_i32_dpp v62, v62 row_shl:2 row_mask:0xf bank_mask:0xf bound_ctrl:1
	;; [unrolled: 1-line block ×3, first 2 shown]
	v_add_f32_e32 v71, v64, v71
	v_mov_b32_dpp v65, v66 row_bcast:31 row_mask:0xf bank_mask:0xf bound_ctrl:1
	v_cvt_f32_i32_dpp v66, v67 row_bcast:15 row_mask:0xf bank_mask:0xf bound_ctrl:1
	v_cvt_i32_f32_e32 v72, v71
	v_add_f32_e32 v60, v60, v61
	v_add_f32_e32 v60, v60, v62
	v_cvt_i32_f32_e32 v57, v57
	v_add_f32_e32 v62, v60, v63
	v_cvt_i32_f32_e32 v58, v58
	v_cvt_i32_f32_e32 v63, v62
	v_cvt_i32_f32_e32 v59, v59
	v_add_f32_e32 v64, v70, v66
	v_cvt_f32_i32_dpp v70, v72 row_shl:8 row_mask:0xf bank_mask:0xf bound_ctrl:1
	v_cvt_i32_f32_e32 v69, v69
	v_cvt_f32_i32_dpp v57, v57 row_shl:1 row_mask:0xf bank_mask:0xf bound_ctrl:1
	v_cvt_f32_i32_dpp v58, v58 row_shl:2 row_mask:0xf bank_mask:0xf bound_ctrl:1
	;; [unrolled: 1-line block ×4, first 2 shown]
	v_add_f32_e32 v70, v71, v70
	v_cvt_f32_i32_dpp v69, v69 row_shr:15 row_mask:0xf bank_mask:0xf bound_ctrl:1
	v_cvt_i32_f32_e32 v66, v64
	v_cvt_i32_f32_e32 v70, v70
	v_add_f32_e32 v56, v56, v57
	v_add_f32_e32 v56, v56, v58
	;; [unrolled: 1-line block ×4, first 2 shown]
	v_cvt_i32_f32_e32 v63, v62
	v_cvt_i32_f32_e32 v57, v56
	;; [unrolled: 1-line block ×3, first 2 shown]
	v_mov_b32_dpp v61, v66 row_bcast:31 row_mask:0xf bank_mask:0xf bound_ctrl:1
	v_cvt_f32_i32_dpp v66, v70 row_shr:15 row_mask:0xf bank_mask:0xf bound_ctrl:1
	v_cvt_f32_i32_dpp v59, v63 row_shl:8 row_mask:0xf bank_mask:0xf bound_ctrl:1
	v_cvt_f32_i32_dpp v57, v57 row_shl:4 row_mask:0xf bank_mask:0xf bound_ctrl:1
	v_cvt_f32_i32_dpp v67, v67 row_bcast:15 row_mask:0xf bank_mask:0xf bound_ctrl:1
	v_cvt_i32_f32_e32 v58, v66
	v_add_f32_e32 v59, v62, v59
	v_add_f32_e32 v62, v56, v57
	v_add_f32_e32 v60, v69, v67
	v_cvt_f32_i32_dpp v58, v58 row_bcast:15 row_mask:0xf bank_mask:0xf bound_ctrl:1
	v_cvt_i32_f32_e32 v59, v59
	v_cvt_i32_f32_e32 v67, v62
	;; [unrolled: 1-line block ×4, first 2 shown]
	v_add_f32_e32 v56, v66, v58
	v_cvt_f32_i32_dpp v58, v59 row_shr:15 row_mask:0xf bank_mask:0xf bound_ctrl:1
	v_cvt_f32_i32_dpp v59, v67 row_shl:8 row_mask:0xf bank_mask:0xf bound_ctrl:1
	v_cvt_i32_f32_e32 v55, v55
	v_cvt_f32_i32_dpp v53, v53 row_shl:1 row_mask:0xf bank_mask:0xf bound_ctrl:1
	v_cvt_f32_i32_dpp v54, v54 row_shl:2 row_mask:0xf bank_mask:0xf bound_ctrl:1
	v_add_f32_e32 v59, v62, v59
	v_cvt_f32_i32_dpp v55, v55 row_shl:3 row_mask:0xf bank_mask:0xf bound_ctrl:1
	v_cvt_i32_f32_e32 v59, v59
	v_add_f32_e32 v52, v52, v53
	v_cvt_i32_f32_e32 v49, v49
	v_add_f32_e32 v52, v52, v54
	;; [unrolled: 2-line block ×3, first 2 shown]
	v_cvt_i32_f32_e32 v51, v51
	v_cvt_i32_f32_e32 v53, v52
	v_cvt_i32_f32_e32 v54, v56
	v_cvt_i32_f32_e32 v55, v58
	v_cvt_f32_i32_dpp v59, v59 row_shr:15 row_mask:0xf bank_mask:0xf bound_ctrl:1
	v_cvt_f32_i32_dpp v49, v49 row_shl:1 row_mask:0xf bank_mask:0xf bound_ctrl:1
	v_cvt_f32_i32_dpp v50, v50 row_shl:2 row_mask:0xf bank_mask:0xf bound_ctrl:1
	;; [unrolled: 1-line block ×4, first 2 shown]
	v_mov_b32_dpp v53, v54 row_bcast:31 row_mask:0xf bank_mask:0xf bound_ctrl:1
	v_cvt_f32_i32_dpp v54, v55 row_bcast:15 row_mask:0xf bank_mask:0xf bound_ctrl:1
	v_cvt_i32_f32_e32 v55, v59
	v_add_f32_e32 v48, v48, v49
	v_add_f32_e32 v48, v48, v50
	;; [unrolled: 1-line block ×3, first 2 shown]
	v_cvt_f32_i32_dpp v55, v55 row_bcast:15 row_mask:0xf bank_mask:0xf bound_ctrl:1
	v_cvt_i32_f32_e32 v49, v51
	v_cvt_i32_f32_e32 v63, v60
	;; [unrolled: 1-line block ×4, first 2 shown]
	v_add_f32_e32 v62, v52, v62
	v_add_f32_e32 v48, v59, v55
	v_cvt_f32_i32_dpp v59, v49 row_shl:4 row_mask:0xf bank_mask:0xf bound_ctrl:1
	v_cvt_i32_f32_e32 v47, v47
	v_mov_b32_dpp v57, v63 row_bcast:31 row_mask:0xf bank_mask:0xf bound_ctrl:1
	v_cvt_i32_f32_e32 v63, v62
	v_cvt_i32_f32_e32 v55, v48
	v_cvt_f32_i32_dpp v45, v45 row_shl:1 row_mask:0xf bank_mask:0xf bound_ctrl:1
	v_cvt_f32_i32_dpp v46, v46 row_shl:2 row_mask:0xf bank_mask:0xf bound_ctrl:1
	v_add_f32_e32 v51, v51, v59
	v_cvt_f32_i32_dpp v47, v47 row_shl:3 row_mask:0xf bank_mask:0xf bound_ctrl:1
	v_add_f32_e32 v52, v58, v54
	v_cvt_f32_i32_dpp v58, v63 row_shl:8 row_mask:0xf bank_mask:0xf bound_ctrl:1
	v_mov_b32_dpp v49, v55 row_bcast:31 row_mask:0xf bank_mask:0xf bound_ctrl:1
	v_cvt_i32_f32_e32 v55, v51
	v_add_f32_e32 v44, v44, v45
	v_add_f32_e32 v44, v44, v46
	;; [unrolled: 1-line block ×4, first 2 shown]
	v_cvt_f32_i32_dpp v55, v55 row_shl:8 row_mask:0xf bank_mask:0xf bound_ctrl:1
	v_cvt_i32_f32_e32 v44, v45
	v_cvt_i32_f32_e32 v58, v58
	;; [unrolled: 1-line block ×4, first 2 shown]
	v_add_f32_e32 v47, v51, v55
	v_cvt_f32_i32_dpp v51, v44 row_shl:4 row_mask:0xf bank_mask:0xf bound_ctrl:1
	v_cvt_i32_f32_e32 v43, v43
	v_cvt_i32_f32_e32 v54, v52
	v_cvt_f32_i32_dpp v58, v58 row_shr:15 row_mask:0xf bank_mask:0xf bound_ctrl:1
	v_cvt_f32_i32_dpp v41, v41 row_shl:1 row_mask:0xf bank_mask:0xf bound_ctrl:1
	v_cvt_f32_i32_dpp v42, v42 row_shl:2 row_mask:0xf bank_mask:0xf bound_ctrl:1
	v_add_f32_e32 v45, v45, v51
	v_cvt_f32_i32_dpp v43, v43 row_shl:3 row_mask:0xf bank_mask:0xf bound_ctrl:1
	v_mov_b32_dpp v50, v54 row_bcast:31 row_mask:0xf bank_mask:0xf bound_ctrl:1
	v_cvt_i32_f32_e32 v54, v58
	v_cvt_i32_f32_e32 v51, v45
	v_add_f32_e32 v40, v40, v41
	v_add_f32_e32 v40, v40, v42
	v_add_f32_e32 v40, v40, v43
	v_cvt_f32_i32_dpp v46, v54 row_bcast:15 row_mask:0xf bank_mask:0xf bound_ctrl:1
	v_cvt_f32_i32_dpp v51, v51 row_shl:8 row_mask:0xf bank_mask:0xf bound_ctrl:1
	v_cvt_i32_f32_e32 v41, v40
	v_cvt_i32_f32_e32 v47, v47
	v_add_f32_e32 v44, v58, v46
	v_add_f32_e32 v43, v45, v51
	v_cvt_f32_i32_dpp v45, v41 row_shl:4 row_mask:0xf bank_mask:0xf bound_ctrl:1
	v_cvt_i32_f32_e32 v46, v44
	v_cvt_f32_i32_dpp v47, v47 row_shr:15 row_mask:0xf bank_mask:0xf bound_ctrl:1
	v_cvt_i32_f32_e32 v37, v37
	v_add_f32_e32 v45, v40, v45
	v_cvt_i32_f32_e32 v38, v38
	v_cvt_i32_f32_e32 v42, v47
	v_mov_b32_dpp v41, v46 row_bcast:31 row_mask:0xf bank_mask:0xf bound_ctrl:1
	v_cvt_i32_f32_e32 v46, v45
	v_cvt_i32_f32_e32 v39, v39
	v_cvt_f32_i32_dpp v37, v37 row_shl:1 row_mask:0xf bank_mask:0xf bound_ctrl:1
	v_cvt_f32_i32_dpp v38, v38 row_shl:2 row_mask:0xf bank_mask:0xf bound_ctrl:1
	v_cvt_f32_i32_dpp v42, v42 row_bcast:15 row_mask:0xf bank_mask:0xf bound_ctrl:1
	v_cvt_f32_i32_dpp v46, v46 row_shl:8 row_mask:0xf bank_mask:0xf bound_ctrl:1
	v_cvt_f32_i32_dpp v39, v39 row_shl:3 row_mask:0xf bank_mask:0xf bound_ctrl:1
	v_cvt_i32_f32_e32 v43, v43
	v_add_f32_e32 v36, v36, v37
	v_add_f32_e32 v36, v36, v38
	;; [unrolled: 1-line block ×5, first 2 shown]
	v_cvt_i32_f32_e32 v42, v40
	v_cvt_i32_f32_e32 v45, v45
	;; [unrolled: 1-line block ×3, first 2 shown]
	v_cvt_f32_i32_dpp v43, v43 row_shr:15 row_mask:0xf bank_mask:0xf bound_ctrl:1
	v_cvt_i32_f32_e32 v33, v33
	v_cvt_i32_f32_e32 v34, v34
	v_mov_b32_dpp v37, v42 row_bcast:31 row_mask:0xf bank_mask:0xf bound_ctrl:1
	v_cvt_f32_i32_dpp v42, v45 row_shr:15 row_mask:0xf bank_mask:0xf bound_ctrl:1
	v_cvt_f32_i32_dpp v45, v36 row_shl:4 row_mask:0xf bank_mask:0xf bound_ctrl:1
	v_cvt_i32_f32_e32 v35, v35
	v_cvt_i32_f32_e32 v47, v43
	v_cvt_f32_i32_dpp v33, v33 row_shl:1 row_mask:0xf bank_mask:0xf bound_ctrl:1
	v_cvt_f32_i32_dpp v34, v34 row_shl:2 row_mask:0xf bank_mask:0xf bound_ctrl:1
	v_add_f32_e32 v38, v38, v45
	v_cvt_f32_i32_dpp v35, v35 row_shl:3 row_mask:0xf bank_mask:0xf bound_ctrl:1
	v_cvt_f32_i32_dpp v39, v47 row_bcast:15 row_mask:0xf bank_mask:0xf bound_ctrl:1
	v_cvt_i32_f32_e32 v45, v38
	v_add_f32_e32 v32, v32, v33
	v_add_f32_e32 v32, v32, v34
	;; [unrolled: 1-line block ×3, first 2 shown]
	v_cvt_i32_f32_e32 v29, v29
	v_add_f32_e32 v36, v43, v39
	v_cvt_i32_f32_e32 v43, v42
	v_cvt_f32_i32_dpp v45, v45 row_shl:8 row_mask:0xf bank_mask:0xf bound_ctrl:1
	v_cvt_i32_f32_e32 v32, v34
	v_cvt_i32_f32_e32 v30, v30
	;; [unrolled: 1-line block ×3, first 2 shown]
	v_cvt_f32_i32_dpp v29, v29 row_shl:1 row_mask:0xf bank_mask:0xf bound_ctrl:1
	v_cvt_f32_i32_dpp v35, v43 row_bcast:15 row_mask:0xf bank_mask:0xf bound_ctrl:1
	v_add_f32_e32 v33, v38, v45
	v_cvt_f32_i32_dpp v43, v32 row_shl:4 row_mask:0xf bank_mask:0xf bound_ctrl:1
	v_cvt_f32_i32_dpp v30, v30 row_shl:2 row_mask:0xf bank_mask:0xf bound_ctrl:1
	v_cvt_i32_f32_e32 v38, v33
	v_cvt_f32_i32_dpp v31, v31 row_shl:3 row_mask:0xf bank_mask:0xf bound_ctrl:1
	v_add_f32_e32 v28, v28, v29
	v_add_f32_e32 v34, v34, v43
	;; [unrolled: 1-line block ×4, first 2 shown]
	v_cvt_f32_i32_dpp v35, v38 row_shr:15 row_mask:0xf bank_mask:0xf bound_ctrl:1
	v_cvt_i32_f32_e32 v38, v34
	v_add_f32_e32 v28, v28, v31
	v_cvt_i32_f32_e32 v29, v28
	v_cvt_i32_f32_e32 v30, v35
	v_cvt_f32_i32_dpp v38, v38 row_shl:8 row_mask:0xf bank_mask:0xf bound_ctrl:1
	v_cvt_i32_f32_e32 v25, v25
	v_cvt_f32_i32_dpp v29, v29 row_shl:4 row_mask:0xf bank_mask:0xf bound_ctrl:1
	v_cvt_i32_f32_e32 v26, v26
	v_add_f32_e32 v31, v34, v38
	v_cvt_i32_f32_e32 v31, v31
	v_cvt_f32_i32_dpp v30, v30 row_bcast:15 row_mask:0xf bank_mask:0xf bound_ctrl:1
	v_add_f32_e32 v38, v28, v29
	v_cvt_i32_f32_e32 v27, v27
	v_cvt_i32_f32_e32 v29, v38
	v_cvt_f32_i32_dpp v25, v25 row_shl:1 row_mask:0xf bank_mask:0xf bound_ctrl:1
	v_cvt_f32_i32_dpp v26, v26 row_shl:2 row_mask:0xf bank_mask:0xf bound_ctrl:1
	v_cvt_i32_f32_e32 v39, v36
	v_cvt_f32_i32_dpp v31, v31 row_shr:15 row_mask:0xf bank_mask:0xf bound_ctrl:1
	v_add_f32_e32 v28, v35, v30
	v_cvt_f32_i32_dpp v27, v27 row_shl:3 row_mask:0xf bank_mask:0xf bound_ctrl:1
	v_cvt_i32_f32_e32 v35, v28
	v_cvt_f32_i32_dpp v42, v29 row_shl:8 row_mask:0xf bank_mask:0xf bound_ctrl:1
	v_add_f32_e32 v24, v24, v25
	v_cvt_i32_f32_e32 v21, v21
	v_add_f32_e32 v24, v24, v26
	v_cvt_i32_f32_e32 v22, v22
	v_mov_b32_dpp v33, v39 row_bcast:31 row_mask:0xf bank_mask:0xf bound_ctrl:1
	v_cvt_i32_f32_e32 v34, v32
	v_cvt_i32_f32_e32 v39, v31
	v_add_f32_e32 v25, v24, v27
	v_cvt_i32_f32_e32 v23, v23
	v_mov_b32_dpp v29, v35 row_bcast:31 row_mask:0xf bank_mask:0xf bound_ctrl:1
	v_add_f32_e32 v35, v38, v42
	v_cvt_i32_f32_e32 v26, v25
	v_cvt_i32_f32_e32 v35, v35
	v_cvt_f32_i32_dpp v21, v21 row_shl:1 row_mask:0xf bank_mask:0xf bound_ctrl:1
	v_cvt_f32_i32_dpp v22, v22 row_shl:2 row_mask:0xf bank_mask:0xf bound_ctrl:1
	v_mov_b32_dpp v30, v34 row_bcast:31 row_mask:0xf bank_mask:0xf bound_ctrl:1
	v_cvt_f32_i32_dpp v34, v39 row_bcast:15 row_mask:0xf bank_mask:0xf bound_ctrl:1
	v_cvt_f32_i32_dpp v23, v23 row_shl:3 row_mask:0xf bank_mask:0xf bound_ctrl:1
	v_cvt_f32_i32_dpp v26, v26 row_shl:4 row_mask:0xf bank_mask:0xf bound_ctrl:1
	v_cvt_f32_i32_dpp v35, v35 row_shr:15 row_mask:0xf bank_mask:0xf bound_ctrl:1
	v_add_f32_e32 v20, v20, v21
	v_add_f32_e32 v20, v20, v22
	v_cvt_i32_f32_e32 v17, v17
	v_add_f32_e32 v24, v31, v34
	v_add_f32_e32 v22, v20, v23
	v_cvt_i32_f32_e32 v18, v18
	v_cvt_i32_f32_e32 v27, v24
	v_add_f32_e32 v25, v25, v26
	v_cvt_i32_f32_e32 v20, v22
	v_cvt_i32_f32_e32 v19, v19
	;; [unrolled: 1-line block ×4, first 2 shown]
	v_cvt_f32_i32_dpp v17, v17 row_shl:1 row_mask:0xf bank_mask:0xf bound_ctrl:1
	v_cvt_f32_i32_dpp v18, v18 row_shl:2 row_mask:0xf bank_mask:0xf bound_ctrl:1
	v_mov_b32_dpp v21, v27 row_bcast:31 row_mask:0xf bank_mask:0xf bound_ctrl:1
	v_cvt_f32_i32_dpp v27, v20 row_shl:4 row_mask:0xf bank_mask:0xf bound_ctrl:1
	v_cvt_f32_i32_dpp v19, v19 row_shl:3 row_mask:0xf bank_mask:0xf bound_ctrl:1
	v_cvt_f32_i32_dpp v23, v31 row_bcast:15 row_mask:0xf bank_mask:0xf bound_ctrl:1
	v_cvt_f32_i32_dpp v26, v26 row_shl:8 row_mask:0xf bank_mask:0xf bound_ctrl:1
	v_add_f32_e32 v16, v16, v17
	v_add_f32_e32 v16, v16, v18
	;; [unrolled: 1-line block ×6, first 2 shown]
	v_cvt_i32_f32_e32 v25, v22
	v_cvt_i32_f32_e32 v17, v16
	;; [unrolled: 1-line block ×4, first 2 shown]
	v_cvt_f32_i32_dpp v25, v25 row_shl:8 row_mask:0xf bank_mask:0xf bound_ctrl:1
	v_cvt_f32_i32_dpp v17, v17 row_shl:4 row_mask:0xf bank_mask:0xf bound_ctrl:1
	v_cvt_f32_i32_dpp v18, v23 row_shr:15 row_mask:0xf bank_mask:0xf bound_ctrl:1
	v_cvt_i32_f32_e32 v1, v1
	v_add_f32_e32 v19, v22, v25
	v_add_f32_e32 v25, v16, v17
	v_cvt_i32_f32_e32 v19, v19
	v_cvt_i32_f32_e32 v23, v18
	;; [unrolled: 1-line block ×10, first 2 shown]
	v_cvt_f32_i32_dpp v19, v19 row_shr:15 row_mask:0xf bank_mask:0xf bound_ctrl:1
	v_cvt_f32_i32_dpp v23, v23 row_bcast:15 row_mask:0xf bank_mask:0xf bound_ctrl:1
	v_cvt_f32_i32_dpp v26, v16 row_shl:8 row_mask:0xf bank_mask:0xf bound_ctrl:1
	v_cvt_f32_i32_dpp v5, v5 row_shl:1 row_mask:0xf bank_mask:0xf bound_ctrl:1
	;; [unrolled: 1-line block ×6, first 2 shown]
	v_cvt_i32_f32_e32 v3, v3
	v_cvt_f32_i32_dpp v14, v14 row_shl:2 row_mask:0xf bank_mask:0xf bound_ctrl:1
	v_cvt_f32_i32_dpp v7, v7 row_shl:3 row_mask:0xf bank_mask:0xf bound_ctrl:1
	;; [unrolled: 1-line block ×3, first 2 shown]
	v_mov_b32_dpp v17, v22 row_bcast:31 row_mask:0xf bank_mask:0xf bound_ctrl:1
	v_cvt_i32_f32_e32 v22, v19
	v_add_f32_e32 v16, v18, v23
	v_add_f32_e32 v23, v25, v26
	;; [unrolled: 1-line block ×4, first 2 shown]
	v_cvt_i32_f32_e32 v23, v23
	v_add_f32_e32 v12, v12, v13
	v_add_f32_e32 v4, v4, v6
	;; [unrolled: 1-line block ×3, first 2 shown]
	v_cvt_f32_i32_dpp v1, v3 row_shl:3 row_mask:0xf bank_mask:0xf bound_ctrl:1
	v_cvt_i32_f32_e32 v2, v9
	v_add_f32_e32 v12, v12, v14
	v_add_f32_e32 v4, v4, v7
	v_cvt_i32_f32_e32 v3, v10
	v_add_f32_e32 v14, v12, v15
	v_cvt_i32_f32_e32 v5, v4
	v_cvt_i32_f32_e32 v9, v11
	v_cvt_f32_i32_dpp v22, v22 row_bcast:15 row_mask:0xf bank_mask:0xf bound_ctrl:1
	v_cvt_i32_f32_e32 v12, v14
	v_cvt_f32_i32_dpp v23, v23 row_shr:15 row_mask:0xf bank_mask:0xf bound_ctrl:1
	v_add_f32_e32 v0, v0, v1
	v_cvt_f32_i32_dpp v1, v2 row_shl:1 row_mask:0xf bank_mask:0xf bound_ctrl:1
	v_cvt_f32_i32_dpp v2, v3 row_shl:2 row_mask:0xf bank_mask:0xf bound_ctrl:1
	;; [unrolled: 1-line block ×4, first 2 shown]
	v_add_f32_e32 v13, v19, v22
	v_cvt_f32_i32_dpp v19, v12 row_shl:4 row_mask:0xf bank_mask:0xf bound_ctrl:1
	v_cvt_i32_f32_e32 v18, v16
	v_cvt_i32_f32_e32 v25, v23
	v_add_f32_e32 v1, v8, v1
	v_add_f32_e32 v1, v1, v2
	;; [unrolled: 1-line block ×5, first 2 shown]
	v_cvt_i32_f32_e32 v5, v4
	v_cvt_i32_f32_e32 v9, v0
	;; [unrolled: 1-line block ×3, first 2 shown]
	v_mov_b32_dpp v15, v18 row_bcast:31 row_mask:0xf bank_mask:0xf bound_ctrl:1
	v_cvt_f32_i32_dpp v18, v25 row_bcast:15 row_mask:0xf bank_mask:0xf bound_ctrl:1
	v_cvt_i32_f32_e32 v14, v19
	v_cvt_f32_i32_dpp v3, v5 row_shl:8 row_mask:0xf bank_mask:0xf bound_ctrl:1
	v_cvt_f32_i32_dpp v5, v9 row_shl:4 row_mask:0xf bank_mask:0xf bound_ctrl:1
	;; [unrolled: 1-line block ×3, first 2 shown]
	v_add_f32_e32 v12, v23, v18
	v_cvt_f32_i32_dpp v23, v14 row_shl:8 row_mask:0xf bank_mask:0xf bound_ctrl:1
	v_add_f32_e32 v0, v0, v5
	v_add_f32_e32 v1, v1, v2
	;; [unrolled: 1-line block ×4, first 2 shown]
	v_cvt_i32_f32_e32 v4, v0
	v_cvt_i32_f32_e32 v2, v1
	v_cvt_i32_f32_e32 v6, v6
	v_cvt_i32_f32_e32 v3, v3
	v_cvt_f32_i32_dpp v4, v4 row_shl:8 row_mask:0xf bank_mask:0xf bound_ctrl:1
	v_cvt_f32_i32_dpp v2, v2 row_shl:8 row_mask:0xf bank_mask:0xf bound_ctrl:1
	v_cvt_f32_i32_dpp v6, v6 row_shr:15 row_mask:0xf bank_mask:0xf bound_ctrl:1
	v_cvt_f32_i32_dpp v3, v3 row_shr:15 row_mask:0xf bank_mask:0xf bound_ctrl:1
	v_add_f32_e32 v0, v0, v4
	v_add_f32_e32 v1, v1, v2
	v_cvt_i32_f32_e32 v5, v6
	v_cvt_i32_f32_e32 v0, v0
	;; [unrolled: 1-line block ×4, first 2 shown]
	v_cvt_f32_i32_dpp v2, v5 row_bcast:15 row_mask:0xf bank_mask:0xf bound_ctrl:1
	v_cvt_f32_i32_dpp v0, v0 row_shr:15 row_mask:0xf bank_mask:0xf bound_ctrl:1
	v_cvt_f32_i32_dpp v1, v1 row_shr:15 row_mask:0xf bank_mask:0xf bound_ctrl:1
	v_cvt_f32_i32_dpp v4, v4 row_bcast:15 row_mask:0xf bank_mask:0xf bound_ctrl:1
	v_add_f32_e32 v9, v6, v2
	v_cvt_i32_f32_e32 v2, v0
	v_cvt_i32_f32_e32 v5, v1
	v_add_f32_e32 v6, v3, v4
	v_cvt_i32_f32_e32 v22, v13
	v_cvt_f32_i32_dpp v2, v2 row_bcast:15 row_mask:0xf bank_mask:0xf bound_ctrl:1
	v_cvt_f32_i32_dpp v3, v5 row_bcast:15 row_mask:0xf bank_mask:0xf bound_ctrl:1
	v_cvt_i32_f32_e32 v18, v12
	v_cvt_i32_f32_e32 v8, v9
	v_add_f32_e32 v4, v0, v2
	v_add_f32_e32 v2, v1, v3
	v_cvt_i32_f32_e32 v5, v6
	v_cvt_i32_f32_e32 v0, v4
	;; [unrolled: 1-line block ×3, first 2 shown]
	v_mov_b32_dpp v14, v22 row_bcast:31 row_mask:0xf bank_mask:0xf bound_ctrl:1
	v_mov_b32_dpp v7, v18 row_bcast:31 row_mask:0xf bank_mask:0xf bound_ctrl:1
	;; [unrolled: 1-line block ×6, first 2 shown]
	s_and_saveexec_b64 s[20:21], s[0:1]
	s_cbranch_execz .LBB302_7
; %bb.14:                               ;   in Loop: Header=BB302_8 Depth=1
	s_andn2_b64 vcc, exec, s[18:19]
	v_mov_b32_e32 v0, 0
	v_mov_b32_e32 v51, 0
	;; [unrolled: 1-line block ×20, first 2 shown]
	s_cbranch_vccnz .LBB302_16
; %bb.15:                               ;   in Loop: Header=BB302_8 Depth=1
	scratch_load_dword v25, off, off offset:8 ; 4-byte Folded Reload
	v_or_b32_e32 v11, 1, v112
	v_mov_b32_e32 v19, v115
	v_mov_b32_e32 v43, v115
	;; [unrolled: 1-line block ×5, first 2 shown]
	s_waitcnt vmcnt(0)
	v_mul_hi_u32 v0, v112, v25
	v_mul_lo_u32 v0, v0, s8
	v_sub_u32_e32 v0, v112, v0
	v_subrev_u32_e32 v1, s8, v0
	v_cmp_le_u32_e32 vcc, s8, v0
	v_mul_hi_u32 v18, v11, v25
	v_mul_lo_u32 v18, v18, s8
	v_cndmask_b32_e32 v0, v0, v1, vcc
	v_subrev_u32_e32 v1, s8, v0
	v_cmp_le_u32_e32 vcc, s8, v0
	v_sub_u32_e32 v11, v11, v18
	v_subrev_u32_e32 v18, s8, v11
	v_cndmask_b32_e32 v114, v0, v1, vcc
	v_cmp_le_u32_e32 vcc, s8, v11
	v_add_u32_e32 v38, s26, v114
	v_lshl_add_u64 v[0:1], v[114:115], 1, s[10:11]
	v_cndmask_b32_e32 v11, v11, v18, vcc
	v_subrev_u32_e32 v18, s8, v11
	v_cmp_le_u32_e32 vcc, s8, v11
	v_lshl_add_u64 v[38:39], v[38:39], 1, s[10:11]
	s_nop 0
	v_cndmask_b32_e32 v18, v11, v18, vcc
	v_or_b32_e32 v11, 2, v112
	v_lshl_add_u64 v[22:23], v[18:19], 1, s[10:11]
	v_mul_hi_u32 v19, v11, v25
	v_mul_lo_u32 v19, v19, s8
	v_sub_u32_e32 v11, v11, v19
	v_subrev_u32_e32 v19, s8, v11
	v_cmp_le_u32_e32 vcc, s8, v11
	v_add_u32_e32 v42, s26, v18
	v_lshl_add_u64 v[62:63], v[42:43], 1, s[10:11]
	v_cndmask_b32_e32 v11, v11, v19, vcc
	v_subrev_u32_e32 v19, s8, v11
	v_cmp_le_u32_e32 vcc, s8, v11
	s_nop 1
	v_cndmask_b32_e32 v54, v11, v19, vcc
	v_or_b32_e32 v11, 3, v112
	v_mul_hi_u32 v19, v11, v25
	v_mul_lo_u32 v19, v19, s8
	v_sub_u32_e32 v11, v11, v19
	v_subrev_u32_e32 v19, s8, v11
	v_cmp_le_u32_e32 vcc, s8, v11
	v_add_u32_e32 v42, s26, v54
	v_lshl_add_u64 v[66:67], v[42:43], 1, s[10:11]
	v_cndmask_b32_e32 v11, v11, v19, vcc
	v_subrev_u32_e32 v19, s8, v11
	v_cmp_le_u32_e32 vcc, s8, v11
	v_lshl_add_u64 v[26:27], v[54:55], 1, s[10:11]
	s_nop 0
	v_cndmask_b32_e32 v58, v11, v19, vcc
	v_lshl_add_u64 v[34:35], v[58:59], 1, s[10:11]
	v_add_u32_e32 v42, s26, v58
	v_lshl_add_u64 v[70:71], v[42:43], 1, s[10:11]
	global_load_ushort v0, v[0:1], off
	s_nop 0
	global_load_ushort v51, v[22:23], off
	global_load_ushort v47, v[26:27], off
	;; [unrolled: 1-line block ×4, first 2 shown]
                                        ; kill: killed $vgpr34_vgpr35
                                        ; kill: killed $vgpr38_vgpr39
	global_load_ushort v43, v[62:63], off
	global_load_ushort v42, v[66:67], off
	s_nop 0
	global_load_ushort v38, v[70:71], off
	v_add_u32_e32 v34, s27, v54
	v_mov_b32_e32 v35, v115
	v_lshl_add_u64 v[62:63], v[34:35], 1, s[10:11]
	v_add_u32_e32 v34, s27, v58
	v_lshl_add_u64 v[66:67], v[34:35], 1, s[10:11]
	v_add_u32_e32 v34, s28, v114
	;; [unrolled: 2-line block ×3, first 2 shown]
	v_add_u32_e32 v22, s27, v114
	v_mov_b32_e32 v23, v115
	v_add_u32_e32 v26, s27, v18
	v_mov_b32_e32 v27, v115
	v_lshl_add_u64 v[72:73], v[34:35], 1, s[10:11]
	v_add_u32_e32 v34, s28, v54
	v_lshl_add_u64 v[22:23], v[22:23], 1, s[10:11]
	v_lshl_add_u64 v[26:27], v[26:27], 1, s[10:11]
	;; [unrolled: 1-line block ×3, first 2 shown]
	v_add_u32_e32 v34, s28, v58
	v_lshl_add_u64 v[76:77], v[34:35], 1, s[10:11]
	global_load_ushort v39, v[22:23], off
	global_load_ushort v35, v[26:27], off
	;; [unrolled: 1-line block ×4, first 2 shown]
	s_nop 0
	global_load_ushort v27, v[70:71], off
	global_load_ushort v26, v[72:73], off
	;; [unrolled: 1-line block ×4, first 2 shown]
	v_add_u32_e32 v114, s29, v114
	v_lshl_add_u64 v[62:63], v[114:115], 1, s[10:11]
	v_add_u32_e32 v114, s29, v18
	v_lshl_add_u64 v[18:19], v[114:115], 1, s[10:11]
	;; [unrolled: 2-line block ×4, first 2 shown]
	global_load_ushort v22, v[62:63], off
	s_nop 0
	global_load_ushort v19, v[18:19], off
	s_nop 0
	global_load_ushort v18, v[54:55], off
	global_load_ushort v11, v[58:59], off
.LBB302_16:                             ;   in Loop: Header=BB302_8 Depth=1
	v_cvt_f32_i32_e32 v1, v65
	s_waitcnt vmcnt(19)
	v_lshlrev_b32_e32 v0, 16, v0
                                        ; implicit-def: $vgpr54
	v_add_f32_e32 v1, v68, v1
	v_add_f32_e32 v0, v1, v0
	v_and_b32_e32 v1, 0x7f800000, v0
	v_cmp_ne_u32_e32 vcc, s34, v1
	s_and_saveexec_b64 s[22:23], vcc
	s_xor_b64 s[22:23], exec, s[22:23]
; %bb.17:                               ;   in Loop: Header=BB302_8 Depth=1
	v_bfe_u32 v1, v0, 16, 1
	v_add3_u32 v54, v0, v1, s35
                                        ; implicit-def: $vgpr0
; %bb.18:                               ;   in Loop: Header=BB302_8 Depth=1
	s_andn2_saveexec_b64 s[22:23], s[22:23]
; %bb.19:                               ;   in Loop: Header=BB302_8 Depth=1
	v_or_b32_e32 v1, 0x10000, v0
	v_cmp_eq_u32_sdwa vcc, v0, v115 src0_sel:WORD_0 src1_sel:DWORD
	s_nop 1
	v_cndmask_b32_e32 v54, v1, v0, vcc
; %bb.20:                               ;   in Loop: Header=BB302_8 Depth=1
	s_or_b64 exec, exec, s[22:23]
	v_cvt_f32_i32_e32 v55, v61
	v_mov_b32_e32 v113, v115
	s_waitcnt lgkmcnt(0)
	v_lshl_add_u64 v[0:1], v[112:113], 1, s[14:15]
	global_store_short_d16_hi v[0:1], v54, off
	v_add_f32_e32 v54, v64, v55
	s_waitcnt vmcnt(19)
	v_lshlrev_b32_e32 v51, 16, v51
	v_add_f32_e32 v51, v54, v51
	v_and_b32_e32 v54, 0x7f800000, v51
	v_cmp_ne_u32_e32 vcc, s34, v54
                                        ; implicit-def: $vgpr54
	s_and_saveexec_b64 s[22:23], vcc
	s_xor_b64 s[22:23], exec, s[22:23]
; %bb.21:                               ;   in Loop: Header=BB302_8 Depth=1
	v_bfe_u32 v54, v51, 16, 1
	v_add3_u32 v54, v51, v54, s35
                                        ; implicit-def: $vgpr51
; %bb.22:                               ;   in Loop: Header=BB302_8 Depth=1
	s_andn2_saveexec_b64 s[22:23], s[22:23]
; %bb.23:                               ;   in Loop: Header=BB302_8 Depth=1
	v_or_b32_e32 v54, 0x10000, v51
	v_cmp_eq_u32_sdwa vcc, v51, v115 src0_sel:WORD_0 src1_sel:DWORD
	s_nop 1
	v_cndmask_b32_e32 v54, v54, v51, vcc
; %bb.24:                               ;   in Loop: Header=BB302_8 Depth=1
	s_or_b64 exec, exec, s[22:23]
	v_cvt_f32_i32_e32 v51, v57
	s_waitcnt vmcnt(18)
	v_lshlrev_b32_e32 v47, 16, v47
	global_store_short_d16_hi v[0:1], v54, off offset:2
	v_add_f32_e32 v51, v60, v51
	v_add_f32_e32 v47, v51, v47
	v_and_b32_e32 v51, 0x7f800000, v47
	v_cmp_ne_u32_e32 vcc, s34, v51
                                        ; implicit-def: $vgpr51
	s_and_saveexec_b64 s[22:23], vcc
	s_xor_b64 s[22:23], exec, s[22:23]
; %bb.25:                               ;   in Loop: Header=BB302_8 Depth=1
	v_bfe_u32 v51, v47, 16, 1
	v_add3_u32 v51, v47, v51, s35
                                        ; implicit-def: $vgpr47
; %bb.26:                               ;   in Loop: Header=BB302_8 Depth=1
	s_andn2_saveexec_b64 s[22:23], s[22:23]
; %bb.27:                               ;   in Loop: Header=BB302_8 Depth=1
	v_or_b32_e32 v51, 0x10000, v47
	v_cmp_eq_u32_sdwa vcc, v47, v115 src0_sel:WORD_0 src1_sel:DWORD
	s_nop 1
	v_cndmask_b32_e32 v51, v51, v47, vcc
; %bb.28:                               ;   in Loop: Header=BB302_8 Depth=1
	s_or_b64 exec, exec, s[22:23]
	v_cvt_f32_i32_e32 v47, v53
	s_waitcnt vmcnt(18)
	v_lshlrev_b32_e32 v46, 16, v46
	global_store_short_d16_hi v[0:1], v51, off offset:4
	v_add_f32_e32 v47, v56, v47
	v_add_f32_e32 v46, v47, v46
	v_and_b32_e32 v47, 0x7f800000, v46
	v_cmp_ne_u32_e32 vcc, s34, v47
                                        ; implicit-def: $vgpr47
	s_and_saveexec_b64 s[22:23], vcc
	s_xor_b64 s[22:23], exec, s[22:23]
; %bb.29:                               ;   in Loop: Header=BB302_8 Depth=1
	v_bfe_u32 v47, v46, 16, 1
	v_add3_u32 v47, v46, v47, s35
                                        ; implicit-def: $vgpr46
; %bb.30:                               ;   in Loop: Header=BB302_8 Depth=1
	s_andn2_saveexec_b64 s[22:23], s[22:23]
; %bb.31:                               ;   in Loop: Header=BB302_8 Depth=1
	v_or_b32_e32 v47, 0x10000, v46
	v_cmp_eq_u32_sdwa vcc, v46, v115 src0_sel:WORD_0 src1_sel:DWORD
	s_nop 1
	v_cndmask_b32_e32 v47, v47, v46, vcc
; %bb.32:                               ;   in Loop: Header=BB302_8 Depth=1
	s_or_b64 exec, exec, s[22:23]
	v_cvt_f32_i32_e32 v46, v50
	global_store_short_d16_hi v[0:1], v47, off offset:6
	s_waitcnt vmcnt(19)
	v_lshlrev_b32_e32 v1, 16, v45
	v_add_f32_e32 v0, v52, v46
	v_add_f32_e32 v1, v0, v1
	v_and_b32_e32 v0, 0x7f800000, v1
	v_cmp_ne_u32_e32 vcc, s34, v0
                                        ; implicit-def: $vgpr0
	s_and_saveexec_b64 s[22:23], vcc
	s_xor_b64 s[22:23], exec, s[22:23]
; %bb.33:                               ;   in Loop: Header=BB302_8 Depth=1
	v_bfe_u32 v0, v1, 16, 1
	v_add3_u32 v0, v1, v0, s35
                                        ; implicit-def: $vgpr1
; %bb.34:                               ;   in Loop: Header=BB302_8 Depth=1
	s_andn2_saveexec_b64 s[22:23], s[22:23]
; %bb.35:                               ;   in Loop: Header=BB302_8 Depth=1
	v_or_b32_e32 v0, 0x10000, v1
	v_cmp_eq_u32_sdwa vcc, v1, v115 src0_sel:WORD_0 src1_sel:DWORD
	s_nop 1
	v_cndmask_b32_e32 v0, v0, v1, vcc
; %bb.36:                               ;   in Loop: Header=BB302_8 Depth=1
	s_or_b64 exec, exec, s[22:23]
	v_cvt_f32_i32_e32 v1, v49
	v_add_u32_e32 v114, s7, v112
	v_lshl_add_u64 v[46:47], v[114:115], 1, s[14:15]
	global_store_short_d16_hi v[46:47], v0, off
	v_add_f32_e32 v0, v48, v1
	s_waitcnt vmcnt(19)
	v_lshlrev_b32_e32 v1, 16, v43
	v_add_f32_e32 v1, v0, v1
	v_and_b32_e32 v0, 0x7f800000, v1
	v_cmp_ne_u32_e32 vcc, s34, v0
                                        ; implicit-def: $vgpr0
	s_and_saveexec_b64 s[22:23], vcc
	s_xor_b64 s[22:23], exec, s[22:23]
; %bb.37:                               ;   in Loop: Header=BB302_8 Depth=1
	v_bfe_u32 v0, v1, 16, 1
	v_add3_u32 v0, v1, v0, s35
                                        ; implicit-def: $vgpr1
; %bb.38:                               ;   in Loop: Header=BB302_8 Depth=1
	s_andn2_saveexec_b64 s[22:23], s[22:23]
; %bb.39:                               ;   in Loop: Header=BB302_8 Depth=1
	v_or_b32_e32 v0, 0x10000, v1
	v_cmp_eq_u32_sdwa vcc, v1, v115 src0_sel:WORD_0 src1_sel:DWORD
	s_nop 1
	v_cndmask_b32_e32 v0, v0, v1, vcc
; %bb.40:                               ;   in Loop: Header=BB302_8 Depth=1
	s_or_b64 exec, exec, s[22:23]
	v_cvt_f32_i32_e32 v1, v41
	v_add_u32_e32 v46, 1, v114
	v_mov_b32_e32 v47, v115
	v_lshl_add_u64 v[46:47], v[46:47], 1, s[14:15]
	v_add_f32_e32 v1, v44, v1
	global_store_short_d16_hi v[46:47], v0, off
	s_waitcnt vmcnt(19)
	v_lshlrev_b32_e32 v0, 16, v42
	v_add_f32_e32 v1, v1, v0
	v_and_b32_e32 v0, 0x7f800000, v1
	v_cmp_ne_u32_e32 vcc, s34, v0
                                        ; implicit-def: $vgpr0
	s_and_saveexec_b64 s[22:23], vcc
	s_xor_b64 s[22:23], exec, s[22:23]
; %bb.41:                               ;   in Loop: Header=BB302_8 Depth=1
	v_bfe_u32 v0, v1, 16, 1
	v_add3_u32 v0, v1, v0, s35
                                        ; implicit-def: $vgpr1
; %bb.42:                               ;   in Loop: Header=BB302_8 Depth=1
	s_andn2_saveexec_b64 s[22:23], s[22:23]
; %bb.43:                               ;   in Loop: Header=BB302_8 Depth=1
	v_or_b32_e32 v0, 0x10000, v1
	v_cmp_eq_u32_sdwa vcc, v1, v115 src0_sel:WORD_0 src1_sel:DWORD
	s_nop 1
	v_cndmask_b32_e32 v0, v0, v1, vcc
; %bb.44:                               ;   in Loop: Header=BB302_8 Depth=1
	s_or_b64 exec, exec, s[22:23]
	v_cvt_f32_i32_e32 v1, v37
	v_add_u32_e32 v42, 2, v114
	v_mov_b32_e32 v43, v115
	v_lshl_add_u64 v[42:43], v[42:43], 1, s[14:15]
	v_add_f32_e32 v1, v40, v1
	global_store_short_d16_hi v[42:43], v0, off
	;; [unrolled: 27-line block ×3, first 2 shown]
	s_waitcnt vmcnt(19)
	v_lshlrev_b32_e32 v0, 16, v39
	v_add_f32_e32 v0, v1, v0
	v_and_b32_e32 v1, 0x7f800000, v0
	v_cmp_ne_u32_e32 vcc, s34, v1
                                        ; implicit-def: $vgpr33
	s_and_saveexec_b64 s[22:23], vcc
	s_xor_b64 s[22:23], exec, s[22:23]
; %bb.49:                               ;   in Loop: Header=BB302_8 Depth=1
	v_bfe_u32 v1, v0, 16, 1
	v_add3_u32 v33, v0, v1, s35
                                        ; implicit-def: $vgpr0
; %bb.50:                               ;   in Loop: Header=BB302_8 Depth=1
	s_andn2_saveexec_b64 s[22:23], s[22:23]
; %bb.51:                               ;   in Loop: Header=BB302_8 Depth=1
	v_or_b32_e32 v1, 0x10000, v0
	v_cmp_eq_u32_sdwa vcc, v0, v115 src0_sel:WORD_0 src1_sel:DWORD
	s_nop 1
	v_cndmask_b32_e32 v33, v1, v0, vcc
; %bb.52:                               ;   in Loop: Header=BB302_8 Depth=1
	s_or_b64 exec, exec, s[22:23]
	v_cvt_f32_i32_e32 v30, v30
	v_add_u32_e32 v114, s7, v114
	v_lshl_add_u64 v[0:1], v[114:115], 1, s[14:15]
	global_store_short_d16_hi v[0:1], v33, off
	v_add_f32_e32 v30, v32, v30
	s_waitcnt vmcnt(19)
	v_lshlrev_b32_e32 v32, 16, v35
	v_add_f32_e32 v30, v30, v32
	v_and_b32_e32 v32, 0x7f800000, v30
	v_cmp_ne_u32_e32 vcc, s34, v32
                                        ; implicit-def: $vgpr32
	s_and_saveexec_b64 s[22:23], vcc
	s_xor_b64 s[22:23], exec, s[22:23]
; %bb.53:                               ;   in Loop: Header=BB302_8 Depth=1
	v_bfe_u32 v32, v30, 16, 1
	v_add3_u32 v32, v30, v32, s35
                                        ; implicit-def: $vgpr30
; %bb.54:                               ;   in Loop: Header=BB302_8 Depth=1
	s_andn2_saveexec_b64 s[22:23], s[22:23]
; %bb.55:                               ;   in Loop: Header=BB302_8 Depth=1
	v_or_b32_e32 v32, 0x10000, v30
	v_cmp_eq_u32_sdwa vcc, v30, v115 src0_sel:WORD_0 src1_sel:DWORD
	s_nop 1
	v_cndmask_b32_e32 v32, v32, v30, vcc
; %bb.56:                               ;   in Loop: Header=BB302_8 Depth=1
	s_or_b64 exec, exec, s[22:23]
	v_cvt_f32_i32_e32 v29, v29
	global_store_short_d16_hi v[0:1], v32, off offset:2
	s_waitcnt vmcnt(19)
	v_lshlrev_b32_e32 v1, 16, v34
	v_add_f32_e32 v0, v28, v29
	v_add_f32_e32 v1, v0, v1
	v_and_b32_e32 v0, 0x7f800000, v1
	v_cmp_ne_u32_e32 vcc, s34, v0
                                        ; implicit-def: $vgpr0
	s_and_saveexec_b64 s[22:23], vcc
	s_xor_b64 s[22:23], exec, s[22:23]
; %bb.57:                               ;   in Loop: Header=BB302_8 Depth=1
	v_bfe_u32 v0, v1, 16, 1
	v_add3_u32 v0, v1, v0, s35
                                        ; implicit-def: $vgpr1
; %bb.58:                               ;   in Loop: Header=BB302_8 Depth=1
	s_andn2_saveexec_b64 s[22:23], s[22:23]
; %bb.59:                               ;   in Loop: Header=BB302_8 Depth=1
	v_or_b32_e32 v0, 0x10000, v1
	v_cmp_eq_u32_sdwa vcc, v1, v115 src0_sel:WORD_0 src1_sel:DWORD
	s_nop 1
	v_cndmask_b32_e32 v0, v0, v1, vcc
; %bb.60:                               ;   in Loop: Header=BB302_8 Depth=1
	s_or_b64 exec, exec, s[22:23]
	v_cvt_f32_i32_e32 v1, v21
	v_add_u32_e32 v28, 2, v114
	v_mov_b32_e32 v29, v115
	v_lshl_add_u64 v[28:29], v[28:29], 1, s[14:15]
	v_add_f32_e32 v1, v24, v1
	global_store_short_d16_hi v[28:29], v0, off
	s_waitcnt vmcnt(19)
	v_lshlrev_b32_e32 v0, 16, v31
	v_add_f32_e32 v1, v1, v0
	v_and_b32_e32 v0, 0x7f800000, v1
	v_cmp_ne_u32_e32 vcc, s34, v0
                                        ; implicit-def: $vgpr0
	s_and_saveexec_b64 s[22:23], vcc
	s_xor_b64 s[22:23], exec, s[22:23]
; %bb.61:                               ;   in Loop: Header=BB302_8 Depth=1
	v_bfe_u32 v0, v1, 16, 1
	v_add3_u32 v0, v1, v0, s35
                                        ; implicit-def: $vgpr1
; %bb.62:                               ;   in Loop: Header=BB302_8 Depth=1
	s_andn2_saveexec_b64 s[22:23], s[22:23]
; %bb.63:                               ;   in Loop: Header=BB302_8 Depth=1
	v_or_b32_e32 v0, 0x10000, v1
	v_cmp_eq_u32_sdwa vcc, v1, v115 src0_sel:WORD_0 src1_sel:DWORD
	s_nop 1
	v_cndmask_b32_e32 v0, v0, v1, vcc
; %bb.64:                               ;   in Loop: Header=BB302_8 Depth=1
	s_or_b64 exec, exec, s[22:23]
	v_cvt_f32_i32_e32 v1, v17
	v_add_u32_e32 v28, 3, v114
	v_mov_b32_e32 v29, v115
	v_lshl_add_u64 v[28:29], v[28:29], 1, s[14:15]
	v_add_f32_e32 v1, v20, v1
	global_store_short_d16_hi v[28:29], v0, off
	s_waitcnt vmcnt(19)
	v_lshlrev_b32_e32 v0, 16, v27
	v_add_f32_e32 v1, v1, v0
	v_and_b32_e32 v0, 0x7f800000, v1
	v_cmp_ne_u32_e32 vcc, s34, v0
                                        ; implicit-def: $vgpr0
	s_and_saveexec_b64 s[22:23], vcc
	s_xor_b64 s[22:23], exec, s[22:23]
; %bb.65:                               ;   in Loop: Header=BB302_8 Depth=1
	v_bfe_u32 v0, v1, 16, 1
	v_add3_u32 v0, v1, v0, s35
                                        ; implicit-def: $vgpr1
; %bb.66:                               ;   in Loop: Header=BB302_8 Depth=1
	s_andn2_saveexec_b64 s[22:23], s[22:23]
; %bb.67:                               ;   in Loop: Header=BB302_8 Depth=1
	v_or_b32_e32 v0, 0x10000, v1
	v_cmp_eq_u32_sdwa vcc, v1, v115 src0_sel:WORD_0 src1_sel:DWORD
	s_nop 1
	v_cndmask_b32_e32 v0, v0, v1, vcc
; %bb.68:                               ;   in Loop: Header=BB302_8 Depth=1
	s_or_b64 exec, exec, s[22:23]
	v_cvt_f32_i32_e32 v1, v15
	v_add_u32_e32 v114, s7, v114
	v_lshl_add_u64 v[20:21], v[114:115], 1, s[14:15]
	global_store_short_d16_hi v[20:21], v0, off
	v_add_f32_e32 v0, v16, v1
	s_waitcnt vmcnt(19)
	v_lshlrev_b32_e32 v1, 16, v26
	v_add_f32_e32 v1, v0, v1
	v_and_b32_e32 v0, 0x7f800000, v1
	v_cmp_ne_u32_e32 vcc, s34, v0
                                        ; implicit-def: $vgpr0
	s_and_saveexec_b64 s[22:23], vcc
	s_xor_b64 s[22:23], exec, s[22:23]
; %bb.69:                               ;   in Loop: Header=BB302_8 Depth=1
	v_bfe_u32 v0, v1, 16, 1
	v_add3_u32 v0, v1, v0, s35
                                        ; implicit-def: $vgpr1
; %bb.70:                               ;   in Loop: Header=BB302_8 Depth=1
	s_andn2_saveexec_b64 s[22:23], s[22:23]
; %bb.71:                               ;   in Loop: Header=BB302_8 Depth=1
	v_or_b32_e32 v0, 0x10000, v1
	v_cmp_eq_u32_sdwa vcc, v1, v115 src0_sel:WORD_0 src1_sel:DWORD
	s_nop 1
	v_cndmask_b32_e32 v0, v0, v1, vcc
; %bb.72:                               ;   in Loop: Header=BB302_8 Depth=1
	s_or_b64 exec, exec, s[22:23]
	v_cvt_f32_i32_e32 v1, v14
	v_add_u32_e32 v14, 1, v114
	v_mov_b32_e32 v15, v115
	v_lshl_add_u64 v[14:15], v[14:15], 1, s[14:15]
	v_add_f32_e32 v1, v13, v1
	global_store_short_d16_hi v[14:15], v0, off
	s_waitcnt vmcnt(19)
	v_lshlrev_b32_e32 v0, 16, v25
	v_add_f32_e32 v1, v1, v0
	v_and_b32_e32 v0, 0x7f800000, v1
	v_cmp_ne_u32_e32 vcc, s34, v0
                                        ; implicit-def: $vgpr0
	s_and_saveexec_b64 s[22:23], vcc
	s_xor_b64 s[22:23], exec, s[22:23]
; %bb.73:                               ;   in Loop: Header=BB302_8 Depth=1
	v_bfe_u32 v0, v1, 16, 1
	v_add3_u32 v0, v1, v0, s35
                                        ; implicit-def: $vgpr1
; %bb.74:                               ;   in Loop: Header=BB302_8 Depth=1
	s_andn2_saveexec_b64 s[22:23], s[22:23]
; %bb.75:                               ;   in Loop: Header=BB302_8 Depth=1
	v_or_b32_e32 v0, 0x10000, v1
	v_cmp_eq_u32_sdwa vcc, v1, v115 src0_sel:WORD_0 src1_sel:DWORD
	s_nop 1
	v_cndmask_b32_e32 v0, v0, v1, vcc
; %bb.76:                               ;   in Loop: Header=BB302_8 Depth=1
	s_or_b64 exec, exec, s[22:23]
	v_cvt_f32_i32_e32 v1, v7
	v_add_u32_e32 v14, 2, v114
	v_mov_b32_e32 v15, v115
	v_lshl_add_u64 v[14:15], v[14:15], 1, s[14:15]
	v_add_f32_e32 v1, v12, v1
	global_store_short_d16_hi v[14:15], v0, off
	;; [unrolled: 27-line block ×3, first 2 shown]
	s_waitcnt vmcnt(19)
	v_lshlrev_b32_e32 v0, 16, v22
	v_add_f32_e32 v0, v1, v0
	v_and_b32_e32 v1, 0x7f800000, v0
	v_cmp_ne_u32_e32 vcc, s34, v1
                                        ; implicit-def: $vgpr7
	s_and_saveexec_b64 s[22:23], vcc
	s_xor_b64 s[22:23], exec, s[22:23]
; %bb.81:                               ;   in Loop: Header=BB302_8 Depth=1
	v_bfe_u32 v1, v0, 16, 1
	v_add3_u32 v7, v0, v1, s35
                                        ; implicit-def: $vgpr0
; %bb.82:                               ;   in Loop: Header=BB302_8 Depth=1
	s_andn2_saveexec_b64 s[22:23], s[22:23]
; %bb.83:                               ;   in Loop: Header=BB302_8 Depth=1
	v_or_b32_e32 v1, 0x10000, v0
	v_cmp_eq_u32_sdwa vcc, v0, v115 src0_sel:WORD_0 src1_sel:DWORD
	s_nop 1
	v_cndmask_b32_e32 v7, v1, v0, vcc
; %bb.84:                               ;   in Loop: Header=BB302_8 Depth=1
	s_or_b64 exec, exec, s[22:23]
	v_cvt_f32_i32_e32 v8, v8
	v_add_u32_e32 v114, s7, v114
	v_lshl_add_u64 v[0:1], v[114:115], 1, s[14:15]
	global_store_short_d16_hi v[0:1], v7, off
	v_add_f32_e32 v6, v6, v8
	s_waitcnt vmcnt(19)
	v_lshlrev_b32_e32 v7, 16, v19
	v_add_f32_e32 v6, v6, v7
	v_and_b32_e32 v7, 0x7f800000, v6
	v_cmp_ne_u32_e32 vcc, s34, v7
                                        ; implicit-def: $vgpr7
	s_and_saveexec_b64 s[22:23], vcc
	s_xor_b64 s[22:23], exec, s[22:23]
; %bb.85:                               ;   in Loop: Header=BB302_8 Depth=1
	v_bfe_u32 v7, v6, 16, 1
	v_add3_u32 v7, v6, v7, s35
                                        ; implicit-def: $vgpr6
; %bb.86:                               ;   in Loop: Header=BB302_8 Depth=1
	s_andn2_saveexec_b64 s[22:23], s[22:23]
; %bb.87:                               ;   in Loop: Header=BB302_8 Depth=1
	v_or_b32_e32 v7, 0x10000, v6
	v_cmp_eq_u32_sdwa vcc, v6, v115 src0_sel:WORD_0 src1_sel:DWORD
	s_nop 1
	v_cndmask_b32_e32 v7, v7, v6, vcc
; %bb.88:                               ;   in Loop: Header=BB302_8 Depth=1
	s_or_b64 exec, exec, s[22:23]
	v_cvt_f32_i32_e32 v5, v5
	global_store_short_d16_hi v[0:1], v7, off offset:2
	v_add_f32_e32 v4, v4, v5
	s_waitcnt vmcnt(19)
	v_lshlrev_b32_e32 v5, 16, v18
	v_add_f32_e32 v4, v4, v5
	v_and_b32_e32 v5, 0x7f800000, v4
	v_cmp_ne_u32_e32 vcc, s34, v5
                                        ; implicit-def: $vgpr5
	s_and_saveexec_b64 s[22:23], vcc
	s_xor_b64 s[22:23], exec, s[22:23]
; %bb.89:                               ;   in Loop: Header=BB302_8 Depth=1
	v_bfe_u32 v5, v4, 16, 1
	v_add3_u32 v5, v4, v5, s35
                                        ; implicit-def: $vgpr4
; %bb.90:                               ;   in Loop: Header=BB302_8 Depth=1
	s_andn2_saveexec_b64 s[22:23], s[22:23]
; %bb.91:                               ;   in Loop: Header=BB302_8 Depth=1
	v_or_b32_e32 v5, 0x10000, v4
	v_cmp_eq_u32_sdwa vcc, v4, v115 src0_sel:WORD_0 src1_sel:DWORD
	s_nop 1
	v_cndmask_b32_e32 v5, v5, v4, vcc
; %bb.92:                               ;   in Loop: Header=BB302_8 Depth=1
	s_or_b64 exec, exec, s[22:23]
	v_cvt_f32_i32_e32 v3, v3
	global_store_short_d16_hi v[0:1], v5, off offset:4
	v_add_f32_e32 v2, v2, v3
	s_waitcnt vmcnt(19)
	v_lshlrev_b32_e32 v3, 16, v11
	v_add_f32_e32 v2, v2, v3
	v_and_b32_e32 v3, 0x7f800000, v2
	v_cmp_ne_u32_e32 vcc, s34, v3
                                        ; implicit-def: $vgpr3
	s_and_saveexec_b64 s[22:23], vcc
	s_xor_b64 s[22:23], exec, s[22:23]
; %bb.93:                               ;   in Loop: Header=BB302_8 Depth=1
	v_bfe_u32 v3, v2, 16, 1
	v_add3_u32 v3, v2, v3, s35
                                        ; implicit-def: $vgpr2
; %bb.94:                               ;   in Loop: Header=BB302_8 Depth=1
	s_andn2_saveexec_b64 s[22:23], s[22:23]
	s_cbranch_execz .LBB302_6
; %bb.95:                               ;   in Loop: Header=BB302_8 Depth=1
	v_or_b32_e32 v3, 0x10000, v2
	v_cmp_eq_u32_sdwa vcc, v2, v115 src0_sel:WORD_0 src1_sel:DWORD
	s_nop 1
	v_cndmask_b32_e32 v3, v3, v2, vcc
	s_branch .LBB302_6
.LBB302_96:
	s_endpgm
	.section	.rodata,"a",@progbits
	.p2align	6, 0x0
	.amdhsa_kernel _Z16wvSplitK_hf_sml_I14__hip_bfloat16Li64ELi4ELi16ELi8ELi1ELi5EEviiiiiiPKT_S3_S3_PS1_ii
		.amdhsa_group_segment_fixed_size 65536
		.amdhsa_private_segment_fixed_size 16
		.amdhsa_kernarg_size 64
		.amdhsa_user_sgpr_count 2
		.amdhsa_user_sgpr_dispatch_ptr 0
		.amdhsa_user_sgpr_queue_ptr 0
		.amdhsa_user_sgpr_kernarg_segment_ptr 1
		.amdhsa_user_sgpr_dispatch_id 0
		.amdhsa_user_sgpr_kernarg_preload_length 0
		.amdhsa_user_sgpr_kernarg_preload_offset 0
		.amdhsa_user_sgpr_private_segment_size 0
		.amdhsa_uses_dynamic_stack 0
		.amdhsa_enable_private_segment 1
		.amdhsa_system_sgpr_workgroup_id_x 1
		.amdhsa_system_sgpr_workgroup_id_y 0
		.amdhsa_system_sgpr_workgroup_id_z 0
		.amdhsa_system_sgpr_workgroup_info 0
		.amdhsa_system_vgpr_workitem_id 1
		.amdhsa_next_free_vgpr 128
		.amdhsa_next_free_sgpr 36
		.amdhsa_accum_offset 128
		.amdhsa_reserve_vcc 1
		.amdhsa_float_round_mode_32 0
		.amdhsa_float_round_mode_16_64 0
		.amdhsa_float_denorm_mode_32 3
		.amdhsa_float_denorm_mode_16_64 3
		.amdhsa_dx10_clamp 1
		.amdhsa_ieee_mode 1
		.amdhsa_fp16_overflow 0
		.amdhsa_tg_split 0
		.amdhsa_exception_fp_ieee_invalid_op 0
		.amdhsa_exception_fp_denorm_src 0
		.amdhsa_exception_fp_ieee_div_zero 0
		.amdhsa_exception_fp_ieee_overflow 0
		.amdhsa_exception_fp_ieee_underflow 0
		.amdhsa_exception_fp_ieee_inexact 0
		.amdhsa_exception_int_div_zero 0
	.end_amdhsa_kernel
	.section	.text._Z16wvSplitK_hf_sml_I14__hip_bfloat16Li64ELi4ELi16ELi8ELi1ELi5EEviiiiiiPKT_S3_S3_PS1_ii,"axG",@progbits,_Z16wvSplitK_hf_sml_I14__hip_bfloat16Li64ELi4ELi16ELi8ELi1ELi5EEviiiiiiPKT_S3_S3_PS1_ii,comdat
.Lfunc_end302:
	.size	_Z16wvSplitK_hf_sml_I14__hip_bfloat16Li64ELi4ELi16ELi8ELi1ELi5EEviiiiiiPKT_S3_S3_PS1_ii, .Lfunc_end302-_Z16wvSplitK_hf_sml_I14__hip_bfloat16Li64ELi4ELi16ELi8ELi1ELi5EEviiiiiiPKT_S3_S3_PS1_ii
                                        ; -- End function
	.section	.AMDGPU.csdata,"",@progbits
; Kernel info:
; codeLenInByte = 7288
; NumSgprs: 42
; NumVgprs: 128
; NumAgprs: 0
; TotalNumVgprs: 128
; ScratchSize: 16
; MemoryBound: 0
; FloatMode: 240
; IeeeMode: 1
; LDSByteSize: 65536 bytes/workgroup (compile time only)
; SGPRBlocks: 5
; VGPRBlocks: 15
; NumSGPRsForWavesPerEU: 42
; NumVGPRsForWavesPerEU: 128
; AccumOffset: 128
; Occupancy: 4
; WaveLimiterHint : 0
; COMPUTE_PGM_RSRC2:SCRATCH_EN: 1
; COMPUTE_PGM_RSRC2:USER_SGPR: 2
; COMPUTE_PGM_RSRC2:TRAP_HANDLER: 0
; COMPUTE_PGM_RSRC2:TGID_X_EN: 1
; COMPUTE_PGM_RSRC2:TGID_Y_EN: 0
; COMPUTE_PGM_RSRC2:TGID_Z_EN: 0
; COMPUTE_PGM_RSRC2:TIDIG_COMP_CNT: 1
; COMPUTE_PGM_RSRC3_GFX90A:ACCUM_OFFSET: 31
; COMPUTE_PGM_RSRC3_GFX90A:TG_SPLIT: 0
	.section	.text._Z12wvSplitK_hf_I14__hip_bfloat16Li64ELi4ELi16ELi8ELi1ELi5EEviiiiiiPKT_S3_S3_PS1_ii,"axG",@progbits,_Z12wvSplitK_hf_I14__hip_bfloat16Li64ELi4ELi16ELi8ELi1ELi5EEviiiiiiPKT_S3_S3_PS1_ii,comdat
	.protected	_Z12wvSplitK_hf_I14__hip_bfloat16Li64ELi4ELi16ELi8ELi1ELi5EEviiiiiiPKT_S3_S3_PS1_ii ; -- Begin function _Z12wvSplitK_hf_I14__hip_bfloat16Li64ELi4ELi16ELi8ELi1ELi5EEviiiiiiPKT_S3_S3_PS1_ii
	.globl	_Z12wvSplitK_hf_I14__hip_bfloat16Li64ELi4ELi16ELi8ELi1ELi5EEviiiiiiPKT_S3_S3_PS1_ii
	.p2align	8
	.type	_Z12wvSplitK_hf_I14__hip_bfloat16Li64ELi4ELi16ELi8ELi1ELi5EEviiiiiiPKT_S3_S3_PS1_ii,@function
_Z12wvSplitK_hf_I14__hip_bfloat16Li64ELi4ELi16ELi8ELi1ELi5EEviiiiiiPKT_S3_S3_PS1_ii: ; @_Z12wvSplitK_hf_I14__hip_bfloat16Li64ELi4ELi16ELi8ELi1ELi5EEviiiiiiPKT_S3_S3_PS1_ii
; %bb.0:
	s_load_dwordx2 s[8:9], s[0:1], 0x38
	s_load_dwordx4 s[12:15], s[0:1], 0x0
	s_load_dwordx2 s[20:21], s[0:1], 0x10
	v_bfe_u32 v7, v0, 10, 10
	s_mov_b32 s4, 1
	s_waitcnt lgkmcnt(0)
	s_mul_i32 s2, s2, s8
	v_add_lshl_u32 v86, s2, v7, 2
	v_add_u32_e32 v1, 4, v86
	s_mov_b32 s5, s4
	v_cmp_gt_u32_e32 vcc, s15, v86
	v_cmp_le_u32_e64 s[2:3], s15, v1
	s_mov_b32 s6, s4
	s_mov_b32 s7, s4
	v_mov_b64_e32 v[2:3], s[4:5]
	s_and_b64 s[10:11], vcc, s[2:3]
	v_mov_b64_e32 v[4:5], s[6:7]
	s_and_saveexec_b64 s[2:3], s[10:11]
	s_cbranch_execz .LBB303_6
; %bb.1:
	s_add_i32 s22, s15, -4
	v_mov_b64_e32 v[2:3], s[4:5]
	v_cmp_ne_u32_e32 vcc, s22, v86
	v_mov_b64_e32 v[4:5], s[6:7]
	s_and_saveexec_b64 s[10:11], vcc
	s_cbranch_execz .LBB303_5
; %bb.2:
	v_subrev_u32_e32 v1, s22, v86
	v_cmp_lt_u32_e32 vcc, 1, v1
	s_mov_b64 s[16:17], 0
	s_mov_b64 s[18:19], 0
	v_cndmask_b32_e32 v6, 1, v1, vcc
	s_mov_b32 s5, s4
	s_mov_b32 s6, s4
	;; [unrolled: 1-line block ×3, first 2 shown]
.LBB303_3:                              ; =>This Inner Loop Header: Depth=1
	s_cmp_lg_u32 s18, 3
	s_cselect_b32 s7, s7, 0
	s_cmp_lg_u32 s18, 2
	s_cselect_b32 s6, s6, 0
	;; [unrolled: 2-line block ×4, first 2 shown]
	s_add_u32 s18, s18, 1
	s_addc_u32 s19, s19, 0
	v_cmp_eq_u32_e32 vcc, s18, v6
	v_mov_b64_e32 v[2:3], s[4:5]
	s_or_b64 s[16:17], vcc, s[16:17]
	v_mov_b64_e32 v[4:5], s[6:7]
	s_andn2_b64 exec, exec, s[16:17]
	s_cbranch_execnz .LBB303_3
; %bb.4:
	s_or_b64 exec, exec, s[16:17]
	v_mov_b32_e32 v86, s22
.LBB303_5:
	s_or_b64 exec, exec, s[10:11]
.LBB303_6:
	s_or_b64 exec, exec, s[2:3]
	s_load_dwordx4 s[16:19], s[0:1], 0x20
	v_and_b32_e32 v6, 0x3ff, v0
	v_lshlrev_b32_e32 v8, 3, v6
	s_mul_i32 s2, s14, 5
	v_mov_b32_e32 v0, v8
	v_lshl_add_u32 v8, v7, 9, v8
	s_min_u32 s10, s2, 0x8000
	v_cmp_gt_u32_e32 vcc, s10, v8
	scratch_store_dwordx2 off, v[0:1], off offset:24 ; 8-byte Folded Spill
	s_and_saveexec_b64 s[2:3], vcc
	s_cbranch_execz .LBB303_9
; %bb.7:
	v_mov_b32_e32 v11, 0
	v_lshlrev_b32_e32 v10, 10, v7
	v_lshlrev_b32_e32 v12, 4, v6
	v_mov_b32_e32 v13, v11
	v_lshl_add_u64 v[0:1], v[10:11], 0, v[12:13]
	s_waitcnt lgkmcnt(0)
	v_lshl_add_u64 v[0:1], s[16:17], 0, v[0:1]
	v_add_u32_e32 v9, v10, v12
	s_mov_b64 s[4:5], 0
	s_mov_b64 s[6:7], 0x4000
.LBB303_8:                              ; =>This Inner Loop Header: Depth=1
	global_load_dwordx4 v[10:13], v[0:1], off
	v_add_u32_e32 v8, 0x2000, v8
	v_cmp_le_u32_e32 vcc, s10, v8
	v_lshl_add_u64 v[0:1], v[0:1], 0, s[6:7]
	s_or_b64 s[4:5], vcc, s[4:5]
	s_waitcnt vmcnt(0)
	ds_write_b128 v9, v[10:13]
	v_add_u32_e32 v9, 0x4000, v9
	s_andn2_b64 exec, exec, s[4:5]
	s_cbranch_execnz .LBB303_8
.LBB303_9:
	s_or_b64 exec, exec, s[2:3]
	v_cmp_gt_u32_e32 vcc, s8, v7
	v_cmp_gt_u32_e64 s[2:3], s15, v86
	s_and_b64 s[2:3], vcc, s[2:3]
	s_waitcnt lgkmcnt(0)
	s_barrier
	s_and_saveexec_b64 s[4:5], s[2:3]
	s_cbranch_execz .LBB303_167
; %bb.10:
	v_cvt_f32_u32_e32 v0, s20
	s_cmp_lg_u32 s12, 0
	s_cselect_b64 s[2:3], -1, 0
	s_add_i32 s33, s12, -8
	v_rcp_iflag_f32_e32 v0, v0
	s_add_i32 s38, s15, -1
	s_cmp_lg_u64 s[18:19], 0
	s_cselect_b64 s[28:29], -1, 0
	v_mul_f32_e32 v0, 0x4f7ffffe, v0
	v_cvt_u32_f32_e32 v0, v0
	s_sub_i32 s5, 0, s20
	s_load_dwordx2 s[22:23], s[0:1], 0x18
	s_load_dwordx2 s[24:25], s[0:1], 0x30
	v_cmp_eq_u32_e64 s[0:1], 63, v6
	v_mul_lo_u32 v7, s5, v0
	v_mul_hi_u32 v7, v0, v7
	v_add_u32_e32 v123, v0, v7
	v_lshlrev_b32_e32 v0, 4, v6
	scratch_load_dwordx2 v[6:7], off, off offset:24 ; 8-byte Folded Reload
	s_mul_i32 s4, s8, s9
	s_lshl_b32 s39, s4, 2
	s_abs_i32 s4, s21
	v_cvt_f32_u32_e32 v1, s4
	s_sub_i32 s5, 0, s4
	s_add_i32 s21, s15, -4
	scratch_store_dword off, v0, off offset:80 ; 4-byte Folded Spill
	v_rcp_iflag_f32_e32 v1, v1
	s_mov_b64 s[26:27], 0
	s_mul_i32 s46, s14, 6
	s_mov_b32 s48, 0x7f800000
	v_mul_f32_e32 v1, 0x4f7ffffe, v1
	v_cvt_u32_f32_e32 v8, v1
	v_mov_b32_e32 v1, 0
	v_readfirstlane_b32 s6, v8
	s_mul_i32 s5, s5, s6
	s_mul_hi_u32 s5, s6, s5
	s_add_i32 s6, s6, s5
	s_sub_i32 s5, 1, s4
	s_cmp_lt_u32 s4, 2
	s_cselect_b32 s5, s5, 1
	s_sub_i32 s7, s5, s4
	s_cmp_ge_u32 s5, s4
	s_cselect_b32 s40, s7, s5
	s_lshr_b32 s5, s6, 31
	s_mul_i32 s5, s5, s4
	s_sub_i32 s5, 2, s5
	s_sub_i32 s7, s5, s4
	s_cmp_ge_u32 s5, s4
	s_cselect_b32 s5, s7, s5
	s_sub_i32 s7, s5, s4
	s_cmp_ge_u32 s5, s4
	s_cselect_b32 s41, s7, s5
	s_mul_hi_u32 s5, s6, 3
	s_mul_i32 s5, s5, s4
	s_sub_i32 s5, 3, s5
	s_sub_i32 s7, s5, s4
	s_cmp_ge_u32 s5, s4
	s_cselect_b32 s5, s7, s5
	s_sub_i32 s7, s5, s4
	s_cmp_ge_u32 s5, s4
	s_cselect_b32 s42, s7, s5
	s_lshr_b32 s5, s6, 30
	s_mul_i32 s5, s5, s4
	s_sub_i32 s5, 4, s5
	s_sub_i32 s6, s5, s4
	s_cmp_ge_u32 s5, s4
	s_cselect_b32 s5, s6, s5
	s_sub_i32 s6, s5, s4
	s_cmp_ge_u32 s5, s4
	s_cselect_b32 s43, s6, s5
	s_lshl_b32 s44, s14, 1
	s_lshl_b32 s45, s14, 2
	s_mul_i32 s40, s40, s20
	s_mul_i32 s41, s41, s20
	;; [unrolled: 1-line block ×4, first 2 shown]
	s_lshl_b32 s47, s14, 3
	s_waitcnt vmcnt(1)
	v_mov_b32_e32 v0, v6
	v_mad_u64_u32 v[6:7], s[4:5], s14, 3, v[0:1]
	v_add_u32_e32 v125, s44, v0
	scratch_store_dwordx2 off, v[6:7], off offset:32 ; 8-byte Folded Spill
	v_add_u32_e32 v6, s45, v0
	v_add_u32_e32 v0, s14, v0
	scratch_store_dword off, v0, off offset:44 ; 4-byte Folded Spill
	v_cndmask_b32_e64 v0, 0, 1, s[2:3]
	v_cmp_ne_u32_e64 s[2:3], 1, v0
	s_movk_i32 s14, 0x7fff
	scratch_store_dword off, v6, off offset:40 ; 4-byte Folded Spill
	s_branch .LBB303_13
.LBB303_11:                             ;   in Loop: Header=BB303_13 Depth=1
	s_or_b64 exec, exec, s[8:9]
	v_mov_b32_e32 v86, s21
.LBB303_12:                             ;   in Loop: Header=BB303_13 Depth=1
	s_or_b64 exec, exec, s[6:7]
	v_cmp_le_u32_e32 vcc, s15, v86
	s_or_b64 s[26:27], vcc, s[26:27]
	s_andn2_b64 exec, exec, s[26:27]
	s_cbranch_execz .LBB303_167
.LBB303_13:                             ; =>This Loop Header: Depth=1
                                        ;     Child Loop BB303_17 Depth 2
                                        ;     Child Loop BB303_165 Depth 2
	s_and_b64 vcc, exec, s[2:3]
	s_waitcnt vmcnt(0)
	v_add_u32_e32 v92, 1, v86
	v_add_u32_e32 v90, 2, v86
	;; [unrolled: 1-line block ×3, first 2 shown]
	v_mov_b32_e32 v17, v1
	v_mov_b32_e32 v16, v1
	;; [unrolled: 1-line block ×80, first 2 shown]
	s_cbranch_vccnz .LBB303_39
; %bb.14:                               ;   in Loop: Header=BB303_13 Depth=1
	scratch_load_dword v122, off, off offset:80 ; 4-byte Folded Reload
	v_mov_b32_e32 v0, v86
	scratch_store_dwordx2 off, v[0:1], off offset:48 ; 8-byte Folded Spill
	v_min_u32_e32 v0, s38, v86
	v_mul_lo_u32 v6, v0, s13
	v_mov_b32_e32 v0, v92
	v_mov_b32_e32 v7, v1
	scratch_store_dwordx2 off, v[0:1], off offset:72 ; 8-byte Folded Spill
	v_min_u32_e32 v0, s38, v92
	scratch_store_dwordx2 off, v[6:7], off  ; 8-byte Folded Spill
	v_mul_lo_u32 v6, v0, s13
	v_mov_b32_e32 v0, v90
	scratch_store_dwordx2 off, v[0:1], off offset:64 ; 8-byte Folded Spill
	v_min_u32_e32 v0, s38, v90
	scratch_store_dwordx2 off, v[6:7], off offset:8 ; 8-byte Folded Spill
	v_mul_lo_u32 v6, v0, s13
	v_mov_b32_e32 v0, v88
	scratch_store_dwordx2 off, v[0:1], off offset:56 ; 8-byte Folded Spill
	v_min_u32_e32 v0, s38, v88
	v_mov_b32_e32 v22, 0
	scratch_store_dwordx2 off, v[6:7], off offset:16 ; 8-byte Folded Spill
	v_mul_lo_u32 v126, v0, s13
	v_mov_b32_e32 v127, v1
	s_mov_b32 s4, 0
	s_mov_b32 s10, 0
	v_mov_b32_e32 v23, v22
	v_mov_b32_e32 v24, v22
	;; [unrolled: 1-line block ×79, first 2 shown]
	s_branch .LBB303_17
.LBB303_15:                             ;   in Loop: Header=BB303_17 Depth=2
	s_or_b64 exec, exec, s[8:9]
.LBB303_16:                             ;   in Loop: Header=BB303_17 Depth=2
	s_or_b64 exec, exec, s[6:7]
	s_waitcnt lgkmcnt(0)
	v_mfma_f32_4x4x4_16b_bf16 v[82:85], v[102:103], v[94:95], v[82:85]
	s_addk_i32 s10, 0x200
	v_mfma_f32_4x4x4_16b_bf16 v[78:81], v[102:103], v[90:91], v[78:81]
	v_add_u32_e32 v122, 0x400, v122
	s_waitcnt vmcnt(1)
	v_mfma_f32_4x4x4_16b_bf16 v[74:77], v[102:103], v[98:99], v[74:77]
	s_cmp_ge_u32 s10, s12
	s_waitcnt vmcnt(0)
	v_mfma_f32_4x4x4_16b_bf16 v[70:73], v[102:103], v[86:87], v[70:73]
	v_mfma_f32_4x4x4_16b_bf16 v[66:69], v[106:107], v[94:95], v[66:69]
	;; [unrolled: 1-line block ×37, first 2 shown]
	s_cbranch_scc1 .LBB303_38
.LBB303_17:                             ;   Parent Loop BB303_13 Depth=1
                                        ; =>  This Inner Loop Header: Depth=2
	scratch_load_dwordx2 v[86:87], off, off offset:24 ; 8-byte Folded Reload
	scratch_load_dwordx2 v[90:91], off, off offset:8 ; 8-byte Folded Reload
	scratch_load_dwordx2 v[88:89], off, off ; 8-byte Folded Reload
	s_mov_b32 s5, s4
	v_mov_b64_e32 v[102:103], s[4:5]
	v_mov_b32_e32 v111, 0
	v_mov_b32_e32 v110, 0
	;; [unrolled: 1-line block ×4, first 2 shown]
	v_mov_b64_e32 v[104:105], s[4:5]
	v_mov_b64_e32 v[106:107], s[4:5]
	;; [unrolled: 1-line block ×7, first 2 shown]
	s_waitcnt vmcnt(2)
	v_add_u32_e32 v124, s10, v86
	v_min_u32_e32 v0, s33, v124
	s_waitcnt lgkmcnt(0)
	v_lshl_add_u64 v[86:87], v[0:1], 1, s[22:23]
	s_waitcnt vmcnt(0)
	v_lshl_add_u64 v[88:89], v[88:89], 1, v[86:87]
	v_lshl_add_u64 v[90:91], v[90:91], 1, v[86:87]
	global_load_dwordx4 v[94:97], v[88:89], off nt
	s_nop 0
	global_load_dwordx4 v[90:93], v[90:91], off nt
	s_nop 0
	scratch_load_dwordx2 v[88:89], off, off offset:16 ; 8-byte Folded Reload
	v_cmp_gt_u32_e32 vcc, s12, v124
	s_waitcnt vmcnt(0)
	v_lshl_add_u64 v[88:89], v[88:89], 1, v[86:87]
	v_lshl_add_u64 v[86:87], v[126:127], 1, v[86:87]
	global_load_dwordx4 v[98:101], v[88:89], off nt
	s_nop 0
	global_load_dwordx4 v[86:89], v[86:87], off nt
	s_and_saveexec_b64 s[6:7], vcc
	s_cbranch_execz .LBB303_16
; %bb.18:                               ;   in Loop: Header=BB303_17 Depth=2
	v_cmp_lt_u32_e32 vcc, s14, v124
                                        ; implicit-def: $vgpr102_vgpr103
	s_and_saveexec_b64 s[8:9], vcc
	s_xor_b64 s[8:9], exec, s[8:9]
	s_cbranch_execz .LBB303_20
; %bb.19:                               ;   in Loop: Header=BB303_17 Depth=2
	v_mov_b32_e32 v0, v125
	v_mov_b32_e32 v125, v1
	v_lshl_add_u64 v[102:103], v[124:125], 1, s[16:17]
	global_load_dwordx4 v[102:105], v[102:103], off
	v_mov_b32_e32 v125, v0
.LBB303_20:                             ;   in Loop: Header=BB303_17 Depth=2
	s_andn2_saveexec_b64 s[8:9], s[8:9]
	s_cbranch_execz .LBB303_22
; %bb.21:                               ;   in Loop: Header=BB303_17 Depth=2
	s_waitcnt vmcnt(0)
	ds_read_b128 v[102:105], v122
.LBB303_22:                             ;   in Loop: Header=BB303_17 Depth=2
	s_or_b64 exec, exec, s[8:9]
	scratch_load_dword v0, off, off offset:44 ; 4-byte Folded Reload
                                        ; implicit-def: $vgpr106_vgpr107
	s_waitcnt vmcnt(0)
	v_add_u32_e32 v0, s10, v0
	v_cmp_lt_u32_e32 vcc, s14, v0
	s_and_saveexec_b64 s[8:9], vcc
	s_xor_b64 s[8:9], exec, s[8:9]
	s_cbranch_execz .LBB303_24
; %bb.23:                               ;   in Loop: Header=BB303_17 Depth=2
	v_lshl_add_u64 v[106:107], v[0:1], 1, s[16:17]
	global_load_dwordx4 v[106:109], v[106:107], off
.LBB303_24:                             ;   in Loop: Header=BB303_17 Depth=2
	s_andn2_saveexec_b64 s[8:9], s[8:9]
	s_cbranch_execz .LBB303_26
; %bb.25:                               ;   in Loop: Header=BB303_17 Depth=2
	v_add_u32_e32 v0, s44, v122
	s_waitcnt vmcnt(0)
	ds_read_b128 v[106:109], v0
.LBB303_26:                             ;   in Loop: Header=BB303_17 Depth=2
	s_or_b64 exec, exec, s[8:9]
	v_add_u32_e32 v0, s10, v125
	v_cmp_lt_u32_e32 vcc, s14, v0
                                        ; implicit-def: $vgpr114_vgpr115
	s_and_saveexec_b64 s[8:9], vcc
	s_xor_b64 s[8:9], exec, s[8:9]
	s_cbranch_execz .LBB303_28
; %bb.27:                               ;   in Loop: Header=BB303_17 Depth=2
	v_lshl_add_u64 v[110:111], v[0:1], 1, s[16:17]
	global_load_dwordx4 v[114:117], v[110:111], off
.LBB303_28:                             ;   in Loop: Header=BB303_17 Depth=2
	s_andn2_saveexec_b64 s[8:9], s[8:9]
	s_cbranch_execz .LBB303_30
; %bb.29:                               ;   in Loop: Header=BB303_17 Depth=2
	v_add_u32_e32 v0, s45, v122
	s_waitcnt vmcnt(0)
	ds_read2_b32 v[114:115], v0 offset1:1
	ds_read2_b32 v[116:117], v0 offset0:2 offset1:3
.LBB303_30:                             ;   in Loop: Header=BB303_17 Depth=2
	s_or_b64 exec, exec, s[8:9]
	scratch_load_dwordx2 v[110:111], off, off offset:32 ; 8-byte Folded Reload
                                        ; implicit-def: $vgpr118_vgpr119
	s_waitcnt vmcnt(0)
	v_add_u32_e32 v0, s10, v110
	v_cmp_lt_u32_e32 vcc, s14, v0
	s_and_saveexec_b64 s[8:9], vcc
	s_xor_b64 s[8:9], exec, s[8:9]
	s_cbranch_execz .LBB303_32
; %bb.31:                               ;   in Loop: Header=BB303_17 Depth=2
	v_lshl_add_u64 v[110:111], v[0:1], 1, s[16:17]
	global_load_dwordx4 v[118:121], v[110:111], off
.LBB303_32:                             ;   in Loop: Header=BB303_17 Depth=2
	s_andn2_saveexec_b64 s[8:9], s[8:9]
	s_cbranch_execz .LBB303_34
; %bb.33:                               ;   in Loop: Header=BB303_17 Depth=2
	v_add_u32_e32 v0, s46, v122
	s_waitcnt vmcnt(0)
	ds_read_b128 v[118:121], v0
.LBB303_34:                             ;   in Loop: Header=BB303_17 Depth=2
	s_or_b64 exec, exec, s[8:9]
	scratch_load_dword v0, off, off offset:40 ; 4-byte Folded Reload
                                        ; implicit-def: $vgpr111
	s_waitcnt vmcnt(0)
	v_add_u32_e32 v0, s10, v0
	v_cmp_lt_u32_e32 vcc, s14, v0
	s_and_saveexec_b64 s[8:9], vcc
	s_xor_b64 s[8:9], exec, s[8:9]
	s_cbranch_execz .LBB303_36
; %bb.35:                               ;   in Loop: Header=BB303_17 Depth=2
	v_lshl_add_u64 v[110:111], v[0:1], 1, s[16:17]
	global_load_dwordx4 v[110:113], v[110:111], off
.LBB303_36:                             ;   in Loop: Header=BB303_17 Depth=2
	s_andn2_saveexec_b64 s[8:9], s[8:9]
	s_cbranch_execz .LBB303_15
; %bb.37:                               ;   in Loop: Header=BB303_17 Depth=2
	v_add_u32_e32 v0, s47, v122
	s_waitcnt vmcnt(0)
	ds_read2_b64 v[110:113], v0 offset1:1
	s_branch .LBB303_15
.LBB303_38:                             ;   in Loop: Header=BB303_13 Depth=1
	scratch_load_dwordx2 v[86:87], off, off offset:48 ; 8-byte Folded Reload
	scratch_load_dwordx2 v[88:89], off, off offset:56 ; 8-byte Folded Reload
	;; [unrolled: 1-line block ×4, first 2 shown]
.LBB303_39:                             ;   in Loop: Header=BB303_13 Depth=1
	v_cvt_i32_f32_e32 v0, v83
	v_cvt_i32_f32_e32 v83, v84
	;; [unrolled: 1-line block ×4, first 2 shown]
	v_cvt_f32_i32_dpp v0, v0 row_shl:1 row_mask:0xf bank_mask:0xf bound_ctrl:1
	v_cvt_f32_i32_dpp v83, v83 row_shl:2 row_mask:0xf bank_mask:0xf bound_ctrl:1
	;; [unrolled: 1-line block ×3, first 2 shown]
	v_cvt_i32_f32_e32 v80, v80
	v_add_f32_e32 v0, v82, v0
	v_add_f32_e32 v0, v0, v83
	;; [unrolled: 1-line block ×3, first 2 shown]
	v_cvt_i32_f32_e32 v82, v0
	v_cvt_i32_f32_e32 v81, v81
	v_cvt_f32_i32_dpp v79, v79 row_shl:1 row_mask:0xf bank_mask:0xf bound_ctrl:1
	v_cvt_f32_i32_dpp v80, v80 row_shl:2 row_mask:0xf bank_mask:0xf bound_ctrl:1
	;; [unrolled: 1-line block ×4, first 2 shown]
	v_add_f32_e32 v78, v78, v79
	v_cvt_i32_f32_e32 v75, v75
	v_add_f32_e32 v0, v0, v82
	v_cvt_i32_f32_e32 v79, v0
	v_add_f32_e32 v78, v78, v80
	v_cvt_i32_f32_e32 v76, v76
	v_add_f32_e32 v78, v78, v81
	v_cvt_i32_f32_e32 v77, v77
	v_cvt_i32_f32_e32 v80, v78
	v_cvt_f32_i32_dpp v79, v79 row_shl:8 row_mask:0xf bank_mask:0xf bound_ctrl:1
	v_cvt_f32_i32_dpp v75, v75 row_shl:1 row_mask:0xf bank_mask:0xf bound_ctrl:1
	;; [unrolled: 1-line block ×5, first 2 shown]
	v_add_f32_e32 v0, v0, v79
	v_cvt_i32_f32_e32 v0, v0
	v_add_f32_e32 v74, v74, v75
	v_add_f32_e32 v74, v74, v76
	;; [unrolled: 1-line block ×4, first 2 shown]
	v_cvt_i32_f32_e32 v75, v74
	v_cvt_f32_i32_dpp v0, v0 row_shr:15 row_mask:0xf bank_mask:0xf bound_ctrl:1
	v_cvt_i32_f32_e32 v79, v78
	v_cvt_i32_f32_e32 v71, v71
	v_cvt_f32_i32_dpp v75, v75 row_shl:4 row_mask:0xf bank_mask:0xf bound_ctrl:1
	v_cvt_i32_f32_e32 v76, v0
	v_cvt_f32_i32_dpp v77, v79 row_shl:8 row_mask:0xf bank_mask:0xf bound_ctrl:1
	v_cvt_i32_f32_e32 v72, v72
	v_add_f32_e32 v75, v74, v75
	v_cvt_i32_f32_e32 v73, v73
	v_cvt_f32_i32_dpp v76, v76 row_bcast:15 row_mask:0xf bank_mask:0xf bound_ctrl:1
	v_add_f32_e32 v77, v78, v77
	v_cvt_i32_f32_e32 v78, v75
	v_cvt_f32_i32_dpp v71, v71 row_shl:1 row_mask:0xf bank_mask:0xf bound_ctrl:1
	v_cvt_f32_i32_dpp v72, v72 row_shl:2 row_mask:0xf bank_mask:0xf bound_ctrl:1
	;; [unrolled: 1-line block ×3, first 2 shown]
	v_add_f32_e32 v74, v0, v76
	v_cvt_f32_i32_dpp v76, v78 row_shl:8 row_mask:0xf bank_mask:0xf bound_ctrl:1
	v_cvt_i32_f32_e32 v77, v77
	v_add_f32_e32 v70, v70, v71
	v_add_f32_e32 v70, v70, v72
	;; [unrolled: 1-line block ×4, first 2 shown]
	v_cvt_i32_f32_e32 v71, v70
	v_cvt_f32_i32_dpp v0, v77 row_shr:15 row_mask:0xf bank_mask:0xf bound_ctrl:1
	v_cvt_i32_f32_e32 v75, v75
	v_cvt_i32_f32_e32 v67, v67
	;; [unrolled: 1-line block ×4, first 2 shown]
	v_cvt_f32_i32_dpp v76, v71 row_shl:4 row_mask:0xf bank_mask:0xf bound_ctrl:1
	v_cvt_i32_f32_e32 v72, v74
	v_cvt_i32_f32_e32 v73, v0
	v_cvt_f32_i32_dpp v75, v75 row_shr:15 row_mask:0xf bank_mask:0xf bound_ctrl:1
	v_cvt_f32_i32_dpp v67, v67 row_shl:1 row_mask:0xf bank_mask:0xf bound_ctrl:1
	v_cvt_f32_i32_dpp v68, v68 row_shl:2 row_mask:0xf bank_mask:0xf bound_ctrl:1
	;; [unrolled: 1-line block ×3, first 2 shown]
	v_add_f32_e32 v76, v70, v76
	v_mov_b32_dpp v71, v72 row_bcast:31 row_mask:0xf bank_mask:0xf bound_ctrl:1
	v_cvt_f32_i32_dpp v72, v73 row_bcast:15 row_mask:0xf bank_mask:0xf bound_ctrl:1
	v_cvt_i32_f32_e32 v73, v75
	v_cvt_i32_f32_e32 v77, v76
	v_add_f32_e32 v66, v66, v67
	v_add_f32_e32 v66, v66, v68
	v_cvt_i32_f32_e32 v63, v63
	v_add_f32_e32 v68, v66, v69
	v_cvt_i32_f32_e32 v64, v64
	v_cvt_i32_f32_e32 v69, v68
	;; [unrolled: 1-line block ×3, first 2 shown]
	v_add_f32_e32 v70, v0, v72
	v_cvt_f32_i32_dpp v72, v73 row_bcast:15 row_mask:0xf bank_mask:0xf bound_ctrl:1
	v_cvt_f32_i32_dpp v73, v77 row_shl:8 row_mask:0xf bank_mask:0xf bound_ctrl:1
	v_cvt_f32_i32_dpp v63, v63 row_shl:1 row_mask:0xf bank_mask:0xf bound_ctrl:1
	;; [unrolled: 1-line block ×5, first 2 shown]
	v_add_f32_e32 v73, v76, v73
	v_cvt_i32_f32_e32 v0, v70
	v_cvt_i32_f32_e32 v73, v73
	v_add_f32_e32 v62, v62, v63
	v_add_f32_e32 v62, v62, v64
	;; [unrolled: 1-line block ×4, first 2 shown]
	v_cvt_i32_f32_e32 v69, v68
	v_cvt_i32_f32_e32 v63, v62
	v_mov_b32_dpp v67, v0 row_bcast:31 row_mask:0xf bank_mask:0xf bound_ctrl:1
	v_cvt_f32_i32_dpp v0, v73 row_shr:15 row_mask:0xf bank_mask:0xf bound_ctrl:1
	v_cvt_f32_i32_dpp v65, v69 row_shl:8 row_mask:0xf bank_mask:0xf bound_ctrl:1
	v_cvt_f32_i32_dpp v63, v63 row_shl:4 row_mask:0xf bank_mask:0xf bound_ctrl:1
	v_add_f32_e32 v66, v75, v72
	v_cvt_i32_f32_e32 v64, v0
	v_add_f32_e32 v65, v68, v65
	v_add_f32_e32 v68, v62, v63
	v_cvt_i32_f32_e32 v72, v68
	v_cvt_f32_i32_dpp v64, v64 row_bcast:15 row_mask:0xf bank_mask:0xf bound_ctrl:1
	v_cvt_i32_f32_e32 v59, v59
	v_cvt_i32_f32_e32 v60, v60
	;; [unrolled: 1-line block ×3, first 2 shown]
	v_add_f32_e32 v62, v0, v64
	v_cvt_f32_i32_dpp v64, v72 row_shl:8 row_mask:0xf bank_mask:0xf bound_ctrl:1
	v_cvt_i32_f32_e32 v65, v65
	v_cvt_f32_i32_dpp v59, v59 row_shl:1 row_mask:0xf bank_mask:0xf bound_ctrl:1
	v_cvt_f32_i32_dpp v60, v60 row_shl:2 row_mask:0xf bank_mask:0xf bound_ctrl:1
	;; [unrolled: 1-line block ×3, first 2 shown]
	v_add_f32_e32 v64, v68, v64
	v_cvt_f32_i32_dpp v0, v65 row_shr:15 row_mask:0xf bank_mask:0xf bound_ctrl:1
	v_cvt_i32_f32_e32 v64, v64
	v_add_f32_e32 v58, v58, v59
	v_add_f32_e32 v58, v58, v60
	v_cvt_i32_f32_e32 v55, v55
	v_add_f32_e32 v58, v58, v61
	v_cvt_i32_f32_e32 v56, v56
	v_cvt_i32_f32_e32 v59, v58
	;; [unrolled: 1-line block ×5, first 2 shown]
	v_cvt_f32_i32_dpp v64, v64 row_shr:15 row_mask:0xf bank_mask:0xf bound_ctrl:1
	v_cvt_f32_i32_dpp v55, v55 row_shl:1 row_mask:0xf bank_mask:0xf bound_ctrl:1
	v_cvt_f32_i32_dpp v56, v56 row_shl:2 row_mask:0xf bank_mask:0xf bound_ctrl:1
	;; [unrolled: 1-line block ×4, first 2 shown]
	v_mov_b32_dpp v59, v60 row_bcast:31 row_mask:0xf bank_mask:0xf bound_ctrl:1
	v_cvt_f32_i32_dpp v60, v61 row_bcast:15 row_mask:0xf bank_mask:0xf bound_ctrl:1
	v_cvt_i32_f32_e32 v61, v64
	v_add_f32_e32 v54, v54, v55
	v_cvt_i32_f32_e32 v51, v51
	v_add_f32_e32 v54, v54, v56
	;; [unrolled: 2-line block ×3, first 2 shown]
	v_add_f32_e32 v57, v54, v57
	v_cvt_i32_f32_e32 v53, v53
	v_cvt_i32_f32_e32 v68, v65
	v_add_f32_e32 v58, v0, v60
	v_cvt_f32_i32_dpp v60, v61 row_bcast:15 row_mask:0xf bank_mask:0xf bound_ctrl:1
	v_cvt_i32_f32_e32 v55, v57
	v_cvt_f32_i32_dpp v51, v51 row_shl:1 row_mask:0xf bank_mask:0xf bound_ctrl:1
	v_cvt_f32_i32_dpp v52, v52 row_shl:2 row_mask:0xf bank_mask:0xf bound_ctrl:1
	v_cvt_f32_i32_dpp v53, v53 row_shl:3 row_mask:0xf bank_mask:0xf bound_ctrl:1
	v_cvt_f32_i32_dpp v61, v68 row_shl:8 row_mask:0xf bank_mask:0xf bound_ctrl:1
	v_add_f32_e32 v54, v64, v60
	v_cvt_f32_i32_dpp v64, v55 row_shl:4 row_mask:0xf bank_mask:0xf bound_ctrl:1
	v_cvt_i32_f32_e32 v60, v54
	v_add_f32_e32 v50, v50, v51
	v_add_f32_e32 v50, v50, v52
	;; [unrolled: 1-line block ×5, first 2 shown]
	v_cvt_i32_f32_e32 v50, v51
	v_cvt_i32_f32_e32 v61, v61
	v_mov_b32_dpp v55, v60 row_bcast:31 row_mask:0xf bank_mask:0xf bound_ctrl:1
	v_cvt_i32_f32_e32 v60, v57
	v_cvt_i32_f32_e32 v47, v47
	v_cvt_f32_i32_dpp v53, v50 row_shl:4 row_mask:0xf bank_mask:0xf bound_ctrl:1
	v_cvt_i32_f32_e32 v48, v48
	v_cvt_i32_f32_e32 v0, v58
	v_cvt_f32_i32_dpp v61, v61 row_shr:15 row_mask:0xf bank_mask:0xf bound_ctrl:1
	v_cvt_f32_i32_dpp v60, v60 row_shl:8 row_mask:0xf bank_mask:0xf bound_ctrl:1
	v_cvt_i32_f32_e32 v49, v49
	v_cvt_f32_i32_dpp v47, v47 row_shl:1 row_mask:0xf bank_mask:0xf bound_ctrl:1
	v_add_f32_e32 v51, v51, v53
	v_cvt_f32_i32_dpp v48, v48 row_shl:2 row_mask:0xf bank_mask:0xf bound_ctrl:1
	v_mov_b32_dpp v56, v0 row_bcast:31 row_mask:0xf bank_mask:0xf bound_ctrl:1
	v_cvt_i32_f32_e32 v0, v61
	v_add_f32_e32 v52, v57, v60
	v_cvt_i32_f32_e32 v53, v51
	v_cvt_f32_i32_dpp v49, v49 row_shl:3 row_mask:0xf bank_mask:0xf bound_ctrl:1
	v_cvt_i32_f32_e32 v52, v52
	v_add_f32_e32 v46, v46, v47
	v_add_f32_e32 v46, v46, v48
	v_cvt_f32_i32_dpp v0, v0 row_bcast:15 row_mask:0xf bank_mask:0xf bound_ctrl:1
	v_cvt_f32_i32_dpp v53, v53 row_shl:8 row_mask:0xf bank_mask:0xf bound_ctrl:1
	v_add_f32_e32 v46, v46, v49
	v_cvt_f32_i32_dpp v52, v52 row_shr:15 row_mask:0xf bank_mask:0xf bound_ctrl:1
	v_cvt_i32_f32_e32 v47, v46
	v_add_f32_e32 v50, v61, v0
	v_add_f32_e32 v49, v51, v53
	v_cvt_i32_f32_e32 v0, v50
	v_cvt_i32_f32_e32 v48, v52
	;; [unrolled: 1-line block ×3, first 2 shown]
	v_cvt_f32_i32_dpp v51, v47 row_shl:4 row_mask:0xf bank_mask:0xf bound_ctrl:1
	v_cvt_i32_f32_e32 v43, v43
	v_mov_b32_dpp v47, v0 row_bcast:31 row_mask:0xf bank_mask:0xf bound_ctrl:1
	v_cvt_f32_i32_dpp v0, v48 row_bcast:15 row_mask:0xf bank_mask:0xf bound_ctrl:1
	v_cvt_f32_i32_dpp v48, v49 row_shr:15 row_mask:0xf bank_mask:0xf bound_ctrl:1
	v_add_f32_e32 v49, v46, v51
	v_cvt_i32_f32_e32 v44, v44
	v_cvt_i32_f32_e32 v51, v49
	v_cvt_i32_f32_e32 v45, v45
	v_cvt_f32_i32_dpp v43, v43 row_shl:1 row_mask:0xf bank_mask:0xf bound_ctrl:1
	v_cvt_f32_i32_dpp v44, v44 row_shl:2 row_mask:0xf bank_mask:0xf bound_ctrl:1
	;; [unrolled: 1-line block ×4, first 2 shown]
	v_add_f32_e32 v42, v42, v43
	v_add_f32_e32 v42, v42, v44
	v_cvt_i32_f32_e32 v39, v39
	v_add_f32_e32 v46, v52, v0
	v_add_f32_e32 v49, v49, v51
	;; [unrolled: 1-line block ×3, first 2 shown]
	v_cvt_i32_f32_e32 v40, v40
	v_cvt_i32_f32_e32 v0, v46
	;; [unrolled: 1-line block ×6, first 2 shown]
	v_cvt_f32_i32_dpp v39, v39 row_shl:1 row_mask:0xf bank_mask:0xf bound_ctrl:1
	v_cvt_f32_i32_dpp v40, v40 row_shl:2 row_mask:0xf bank_mask:0xf bound_ctrl:1
	v_mov_b32_dpp v43, v0 row_bcast:31 row_mask:0xf bank_mask:0xf bound_ctrl:1
	v_cvt_f32_i32_dpp v0, v49 row_shr:15 row_mask:0xf bank_mask:0xf bound_ctrl:1
	v_cvt_f32_i32_dpp v49, v42 row_shl:4 row_mask:0xf bank_mask:0xf bound_ctrl:1
	v_cvt_f32_i32_dpp v41, v41 row_shl:3 row_mask:0xf bank_mask:0xf bound_ctrl:1
	v_cvt_f32_i32_dpp v45, v52 row_bcast:15 row_mask:0xf bank_mask:0xf bound_ctrl:1
	v_add_f32_e32 v38, v38, v39
	v_add_f32_e32 v38, v38, v40
	v_add_f32_e32 v44, v44, v49
	v_add_f32_e32 v40, v38, v41
	v_cvt_i32_f32_e32 v35, v35
	v_add_f32_e32 v42, v48, v45
	v_cvt_i32_f32_e32 v48, v0
	v_cvt_i32_f32_e32 v49, v44
	;; [unrolled: 1-line block ×5, first 2 shown]
	v_cvt_f32_i32_dpp v35, v35 row_shl:1 row_mask:0xf bank_mask:0xf bound_ctrl:1
	v_cvt_f32_i32_dpp v49, v49 row_shl:8 row_mask:0xf bank_mask:0xf bound_ctrl:1
	v_cvt_f32_i32_dpp v41, v48 row_bcast:15 row_mask:0xf bank_mask:0xf bound_ctrl:1
	v_cvt_f32_i32_dpp v48, v38 row_shl:4 row_mask:0xf bank_mask:0xf bound_ctrl:1
	v_cvt_f32_i32_dpp v36, v36 row_shl:2 row_mask:0xf bank_mask:0xf bound_ctrl:1
	;; [unrolled: 1-line block ×3, first 2 shown]
	v_add_f32_e32 v34, v34, v35
	v_add_f32_e32 v39, v44, v49
	;; [unrolled: 1-line block ×4, first 2 shown]
	v_cvt_i32_f32_e32 v44, v39
	v_add_f32_e32 v38, v0, v41
	v_cvt_i32_f32_e32 v41, v40
	v_add_f32_e32 v34, v34, v37
	v_cvt_i32_f32_e32 v35, v34
	v_cvt_f32_i32_dpp v0, v44 row_shr:15 row_mask:0xf bank_mask:0xf bound_ctrl:1
	v_cvt_f32_i32_dpp v41, v41 row_shl:8 row_mask:0xf bank_mask:0xf bound_ctrl:1
	v_cvt_i32_f32_e32 v31, v31
	v_cvt_f32_i32_dpp v35, v35 row_shl:4 row_mask:0xf bank_mask:0xf bound_ctrl:1
	v_cvt_i32_f32_e32 v36, v0
	v_add_f32_e32 v37, v40, v41
	v_cvt_i32_f32_e32 v32, v32
	v_cvt_i32_f32_e32 v37, v37
	v_add_f32_e32 v41, v34, v35
	v_cvt_i32_f32_e32 v33, v33
	v_cvt_i32_f32_e32 v45, v42
	;; [unrolled: 1-line block ×3, first 2 shown]
	v_cvt_f32_i32_dpp v31, v31 row_shl:1 row_mask:0xf bank_mask:0xf bound_ctrl:1
	v_cvt_f32_i32_dpp v36, v36 row_bcast:15 row_mask:0xf bank_mask:0xf bound_ctrl:1
	v_cvt_f32_i32_dpp v32, v32 row_shl:2 row_mask:0xf bank_mask:0xf bound_ctrl:1
	v_cvt_f32_i32_dpp v37, v37 row_shr:15 row_mask:0xf bank_mask:0xf bound_ctrl:1
	v_cvt_f32_i32_dpp v33, v33 row_shl:3 row_mask:0xf bank_mask:0xf bound_ctrl:1
	v_mov_b32_dpp v39, v45 row_bcast:31 row_mask:0xf bank_mask:0xf bound_ctrl:1
	v_cvt_i32_f32_e32 v40, v38
	v_cvt_f32_i32_dpp v45, v35 row_shl:8 row_mask:0xf bank_mask:0xf bound_ctrl:1
	v_add_f32_e32 v30, v30, v31
	v_cvt_i32_f32_e32 v27, v27
	v_add_f32_e32 v34, v0, v36
	v_add_f32_e32 v30, v30, v32
	v_cvt_i32_f32_e32 v28, v28
	v_cvt_i32_f32_e32 v0, v34
	;; [unrolled: 1-line block ×3, first 2 shown]
	v_add_f32_e32 v31, v30, v33
	v_cvt_i32_f32_e32 v29, v29
	v_mov_b32_dpp v36, v40 row_bcast:31 row_mask:0xf bank_mask:0xf bound_ctrl:1
	v_add_f32_e32 v40, v41, v45
	v_cvt_i32_f32_e32 v32, v31
	v_cvt_i32_f32_e32 v40, v40
	v_cvt_f32_i32_dpp v27, v27 row_shl:1 row_mask:0xf bank_mask:0xf bound_ctrl:1
	v_cvt_f32_i32_dpp v28, v28 row_shl:2 row_mask:0xf bank_mask:0xf bound_ctrl:1
	v_mov_b32_dpp v35, v0 row_bcast:31 row_mask:0xf bank_mask:0xf bound_ctrl:1
	v_cvt_f32_i32_dpp v0, v44 row_bcast:15 row_mask:0xf bank_mask:0xf bound_ctrl:1
	v_cvt_f32_i32_dpp v29, v29 row_shl:3 row_mask:0xf bank_mask:0xf bound_ctrl:1
	v_cvt_f32_i32_dpp v32, v32 row_shl:4 row_mask:0xf bank_mask:0xf bound_ctrl:1
	v_cvt_f32_i32_dpp v40, v40 row_shr:15 row_mask:0xf bank_mask:0xf bound_ctrl:1
	v_add_f32_e32 v26, v26, v27
	v_add_f32_e32 v26, v26, v28
	v_cvt_i32_f32_e32 v23, v23
	v_add_f32_e32 v30, v37, v0
	v_add_f32_e32 v28, v26, v29
	v_cvt_i32_f32_e32 v24, v24
	v_cvt_i32_f32_e32 v0, v30
	v_add_f32_e32 v31, v31, v32
	v_cvt_i32_f32_e32 v26, v28
	v_cvt_i32_f32_e32 v25, v25
	;; [unrolled: 1-line block ×4, first 2 shown]
	v_cvt_f32_i32_dpp v23, v23 row_shl:1 row_mask:0xf bank_mask:0xf bound_ctrl:1
	v_cvt_f32_i32_dpp v24, v24 row_shl:2 row_mask:0xf bank_mask:0xf bound_ctrl:1
	v_mov_b32_dpp v27, v0 row_bcast:31 row_mask:0xf bank_mask:0xf bound_ctrl:1
	v_cvt_f32_i32_dpp v0, v26 row_shl:4 row_mask:0xf bank_mask:0xf bound_ctrl:1
	v_cvt_f32_i32_dpp v25, v25 row_shl:3 row_mask:0xf bank_mask:0xf bound_ctrl:1
	v_cvt_f32_i32_dpp v29, v33 row_bcast:15 row_mask:0xf bank_mask:0xf bound_ctrl:1
	v_cvt_f32_i32_dpp v32, v32 row_shl:8 row_mask:0xf bank_mask:0xf bound_ctrl:1
	v_add_f32_e32 v22, v22, v23
	v_add_f32_e32 v22, v22, v24
	;; [unrolled: 1-line block ×6, first 2 shown]
	v_cvt_i32_f32_e32 v28, v0
	v_cvt_i32_f32_e32 v23, v22
	;; [unrolled: 1-line block ×4, first 2 shown]
	v_cvt_f32_i32_dpp v28, v28 row_shl:8 row_mask:0xf bank_mask:0xf bound_ctrl:1
	v_cvt_f32_i32_dpp v23, v23 row_shl:4 row_mask:0xf bank_mask:0xf bound_ctrl:1
	v_cvt_f32_i32_dpp v24, v29 row_shr:15 row_mask:0xf bank_mask:0xf bound_ctrl:1
	v_cvt_i32_f32_e32 v7, v7
	v_add_f32_e32 v0, v0, v28
	v_add_f32_e32 v29, v22, v23
	v_cvt_i32_f32_e32 v0, v0
	v_cvt_i32_f32_e32 v28, v24
	;; [unrolled: 1-line block ×10, first 2 shown]
	v_cvt_f32_i32_dpp v0, v0 row_shr:15 row_mask:0xf bank_mask:0xf bound_ctrl:1
	v_cvt_f32_i32_dpp v28, v28 row_bcast:15 row_mask:0xf bank_mask:0xf bound_ctrl:1
	v_cvt_f32_i32_dpp v31, v22 row_shl:8 row_mask:0xf bank_mask:0xf bound_ctrl:1
	v_cvt_f32_i32_dpp v11, v11 row_shl:1 row_mask:0xf bank_mask:0xf bound_ctrl:1
	;; [unrolled: 1-line block ×6, first 2 shown]
	v_cvt_i32_f32_e32 v9, v9
	v_cvt_f32_i32_dpp v20, v20 row_shl:2 row_mask:0xf bank_mask:0xf bound_ctrl:1
	v_cvt_f32_i32_dpp v13, v13 row_shl:3 row_mask:0xf bank_mask:0xf bound_ctrl:1
	;; [unrolled: 1-line block ×3, first 2 shown]
	v_mov_b32_dpp v23, v25 row_bcast:31 row_mask:0xf bank_mask:0xf bound_ctrl:1
	v_cvt_i32_f32_e32 v25, v0
	v_add_f32_e32 v22, v24, v28
	v_add_f32_e32 v28, v29, v31
	;; [unrolled: 1-line block ×4, first 2 shown]
	v_cvt_i32_f32_e32 v28, v28
	v_add_f32_e32 v18, v18, v19
	v_add_f32_e32 v10, v10, v12
	;; [unrolled: 1-line block ×3, first 2 shown]
	v_cvt_f32_i32_dpp v7, v9 row_shl:3 row_mask:0xf bank_mask:0xf bound_ctrl:1
	v_cvt_i32_f32_e32 v8, v15
	v_add_f32_e32 v18, v18, v20
	v_add_f32_e32 v10, v10, v13
	v_cvt_i32_f32_e32 v9, v16
	v_add_f32_e32 v20, v18, v21
	v_cvt_i32_f32_e32 v11, v10
	v_cvt_i32_f32_e32 v13, v17
	v_cvt_f32_i32_dpp v25, v25 row_bcast:15 row_mask:0xf bank_mask:0xf bound_ctrl:1
	v_cvt_i32_f32_e32 v18, v20
	v_cvt_f32_i32_dpp v28, v28 row_shr:15 row_mask:0xf bank_mask:0xf bound_ctrl:1
	v_add_f32_e32 v6, v6, v7
	v_cvt_f32_i32_dpp v7, v8 row_shl:1 row_mask:0xf bank_mask:0xf bound_ctrl:1
	v_cvt_f32_i32_dpp v8, v9 row_shl:2 row_mask:0xf bank_mask:0xf bound_ctrl:1
	;; [unrolled: 1-line block ×4, first 2 shown]
	v_add_f32_e32 v19, v0, v25
	v_cvt_f32_i32_dpp v0, v18 row_shl:4 row_mask:0xf bank_mask:0xf bound_ctrl:1
	v_cvt_i32_f32_e32 v24, v22
	v_cvt_i32_f32_e32 v29, v28
	v_add_f32_e32 v7, v14, v7
	v_add_f32_e32 v7, v7, v8
	;; [unrolled: 1-line block ×5, first 2 shown]
	v_cvt_i32_f32_e32 v11, v10
	v_cvt_i32_f32_e32 v13, v6
	;; [unrolled: 1-line block ×3, first 2 shown]
	v_mov_b32_dpp v21, v24 row_bcast:31 row_mask:0xf bank_mask:0xf bound_ctrl:1
	v_cvt_f32_i32_dpp v24, v29 row_bcast:15 row_mask:0xf bank_mask:0xf bound_ctrl:1
	v_cvt_i32_f32_e32 v20, v0
	v_cvt_f32_i32_dpp v9, v11 row_shl:8 row_mask:0xf bank_mask:0xf bound_ctrl:1
	v_cvt_f32_i32_dpp v11, v13 row_shl:4 row_mask:0xf bank_mask:0xf bound_ctrl:1
	;; [unrolled: 1-line block ×3, first 2 shown]
	v_add_f32_e32 v18, v28, v24
	v_cvt_f32_i32_dpp v28, v20 row_shl:8 row_mask:0xf bank_mask:0xf bound_ctrl:1
	v_add_f32_e32 v6, v6, v11
	v_add_f32_e32 v7, v7, v8
	v_add_f32_e32 v9, v10, v9
	v_add_f32_e32 v0, v0, v28
	v_cvt_i32_f32_e32 v10, v6
	v_cvt_i32_f32_e32 v8, v7
	;; [unrolled: 1-line block ×4, first 2 shown]
	v_cvt_f32_i32_dpp v10, v10 row_shl:8 row_mask:0xf bank_mask:0xf bound_ctrl:1
	v_cvt_f32_i32_dpp v8, v8 row_shl:8 row_mask:0xf bank_mask:0xf bound_ctrl:1
	v_cvt_f32_i32_dpp v0, v0 row_shr:15 row_mask:0xf bank_mask:0xf bound_ctrl:1
	v_cvt_f32_i32_dpp v9, v9 row_shr:15 row_mask:0xf bank_mask:0xf bound_ctrl:1
	v_add_f32_e32 v6, v6, v10
	v_add_f32_e32 v7, v7, v8
	v_cvt_i32_f32_e32 v11, v0
	v_cvt_i32_f32_e32 v6, v6
	;; [unrolled: 1-line block ×4, first 2 shown]
	v_cvt_f32_i32_dpp v8, v11 row_bcast:15 row_mask:0xf bank_mask:0xf bound_ctrl:1
	v_cvt_f32_i32_dpp v6, v6 row_shr:15 row_mask:0xf bank_mask:0xf bound_ctrl:1
	v_cvt_f32_i32_dpp v7, v7 row_shr:15 row_mask:0xf bank_mask:0xf bound_ctrl:1
	v_cvt_i32_f32_e32 v69, v66
	v_add_f32_e32 v13, v0, v8
	v_cvt_i32_f32_e32 v0, v6
	v_cvt_f32_i32_dpp v8, v10 row_bcast:15 row_mask:0xf bank_mask:0xf bound_ctrl:1
	v_cvt_i32_f32_e32 v11, v7
	v_cvt_i32_f32_e32 v25, v19
	v_cvt_f32_i32_dpp v0, v0 row_bcast:15 row_mask:0xf bank_mask:0xf bound_ctrl:1
	v_add_f32_e32 v10, v9, v8
	v_cvt_f32_i32_dpp v9, v11 row_bcast:15 row_mask:0xf bank_mask:0xf bound_ctrl:1
	v_cvt_i32_f32_e32 v24, v18
	v_add_f32_e32 v8, v6, v0
	v_cvt_i32_f32_e32 v14, v13
	v_add_f32_e32 v6, v7, v9
	v_cvt_i32_f32_e32 v11, v10
	v_cvt_i32_f32_e32 v0, v8
	;; [unrolled: 1-line block ×3, first 2 shown]
	v_mov_b32_dpp v63, v69 row_bcast:31 row_mask:0xf bank_mask:0xf bound_ctrl:1
	v_mov_b32_dpp v20, v25 row_bcast:31 row_mask:0xf bank_mask:0xf bound_ctrl:1
	;; [unrolled: 1-line block ×7, first 2 shown]
	s_and_saveexec_b64 s[30:31], s[0:1]
	s_cbranch_execz .LBB303_162
; %bb.40:                               ;   in Loop: Header=BB303_13 Depth=1
	s_andn2_b64 vcc, exec, s[28:29]
	v_mov_b32_e32 v53, 0
	v_mov_b32_e32 v52, 0
	;; [unrolled: 1-line block ×20, first 2 shown]
	s_cbranch_vccnz .LBB303_42
; %bb.41:                               ;   in Loop: Header=BB303_13 Depth=1
	s_waitcnt vmcnt(3)
	v_mul_hi_u32 v0, v86, v123
	v_mul_lo_u32 v0, v0, s20
	v_sub_u32_e32 v0, v86, v0
	v_subrev_u32_e32 v15, s20, v0
	v_cmp_le_u32_e32 vcc, s20, v0
	v_mov_b32_e32 v25, v1
	v_mov_b32_e32 v49, v1
	v_cndmask_b32_e32 v0, v0, v15, vcc
	v_subrev_u32_e32 v15, s20, v0
	v_cmp_le_u32_e32 vcc, s20, v0
	v_mov_b32_e32 v61, v1
	v_mov_b32_e32 v65, v1
	v_cndmask_b32_e32 v0, v0, v15, vcc
	s_waitcnt vmcnt(0)
	v_mul_hi_u32 v15, v92, v123
	v_mul_lo_u32 v15, v15, s20
	v_sub_u32_e32 v15, v92, v15
	v_subrev_u32_e32 v24, s20, v15
	v_cmp_le_u32_e32 vcc, s20, v15
	v_add_u32_e32 v44, s40, v0
	v_mov_b32_e32 v45, v1
	v_cndmask_b32_e32 v15, v15, v24, vcc
	v_subrev_u32_e32 v24, s20, v15
	v_cmp_le_u32_e32 vcc, s20, v15
	v_lshl_add_u64 v[16:17], v[0:1], 1, s[18:19]
	v_lshl_add_u64 v[44:45], v[44:45], 1, s[18:19]
	v_cndmask_b32_e32 v24, v15, v24, vcc
	v_mul_hi_u32 v15, v90, v123
	v_mul_lo_u32 v15, v15, s20
	v_sub_u32_e32 v15, v90, v15
	v_lshl_add_u64 v[28:29], v[24:25], 1, s[18:19]
	v_subrev_u32_e32 v25, s20, v15
	v_cmp_le_u32_e32 vcc, s20, v15
	v_add_u32_e32 v48, s40, v24
	v_lshl_add_u64 v[68:69], v[48:49], 1, s[18:19]
	v_cndmask_b32_e32 v15, v15, v25, vcc
	v_subrev_u32_e32 v25, s20, v15
	v_cmp_le_u32_e32 vcc, s20, v15
	v_mov_b32_e32 v79, v1
	v_mov_b32_e32 v81, v1
	v_cndmask_b32_e32 v60, v15, v25, vcc
	v_mul_hi_u32 v15, v88, v123
	v_mul_lo_u32 v15, v15, s20
	v_sub_u32_e32 v15, v88, v15
	v_subrev_u32_e32 v25, s20, v15
	v_cmp_le_u32_e32 vcc, s20, v15
	v_add_u32_e32 v48, s40, v60
	v_lshl_add_u64 v[32:33], v[60:61], 1, s[18:19]
	v_cndmask_b32_e32 v15, v15, v25, vcc
	v_subrev_u32_e32 v25, s20, v15
	v_cmp_le_u32_e32 vcc, s20, v15
	v_lshl_add_u64 v[72:73], v[48:49], 1, s[18:19]
	v_add_u32_e32 v78, s42, v60
	v_cndmask_b32_e32 v64, v15, v25, vcc
	v_lshl_add_u64 v[40:41], v[64:65], 1, s[18:19]
	v_add_u32_e32 v48, s40, v64
	v_lshl_add_u64 v[76:77], v[48:49], 1, s[18:19]
	global_load_ushort v53, v[16:17], off
	global_load_ushort v52, v[28:29], off
	;; [unrolled: 1-line block ×5, first 2 shown]
	s_nop 0
	global_load_ushort v45, v[68:69], off
	global_load_ushort v44, v[72:73], off
	;; [unrolled: 1-line block ×3, first 2 shown]
	v_add_u32_e32 v16, s41, v0
	v_mov_b32_e32 v17, v1
	v_add_u32_e32 v28, s41, v24
	v_mov_b32_e32 v29, v1
	;; [unrolled: 2-line block ×3, first 2 shown]
	v_lshl_add_u64 v[16:17], v[16:17], 1, s[18:19]
	v_lshl_add_u64 v[28:29], v[28:29], 1, s[18:19]
	;; [unrolled: 1-line block ×3, first 2 shown]
	v_add_u32_e32 v68, s41, v64
	v_mov_b32_e32 v69, v1
	v_add_u32_e32 v72, s42, v0
	v_mov_b32_e32 v73, v1
	;; [unrolled: 2-line block ×3, first 2 shown]
	v_add_u32_e32 v80, s42, v64
	v_lshl_add_u64 v[68:69], v[68:69], 1, s[18:19]
	v_lshl_add_u64 v[72:73], v[72:73], 1, s[18:19]
	;; [unrolled: 1-line block ×5, first 2 shown]
	global_load_ushort v40, v[16:17], off
	global_load_ushort v37, v[28:29], off
	s_nop 0
	global_load_ushort v33, v[32:33], off
	s_nop 0
	global_load_ushort v32, v[68:69], off
	global_load_ushort v31, v[72:73], off
	;; [unrolled: 1-line block ×5, first 2 shown]
	v_add_u32_e32 v0, s43, v0
	v_lshl_add_u64 v[16:17], v[0:1], 1, s[18:19]
	v_add_u32_e32 v0, s43, v24
	v_lshl_add_u64 v[68:69], v[0:1], 1, s[18:19]
	;; [unrolled: 2-line block ×4, first 2 shown]
	global_load_ushort v24, v[16:17], off
	s_nop 0
	global_load_ushort v17, v[68:69], off
	global_load_ushort v16, v[60:61], off
	;; [unrolled: 1-line block ×3, first 2 shown]
.LBB303_42:                             ;   in Loop: Header=BB303_13 Depth=1
	v_cmp_ne_u32_e32 vcc, 0, v2
	s_and_saveexec_b64 s[6:7], vcc
	s_cbranch_execnz .LBB303_62
; %bb.43:                               ;   in Loop: Header=BB303_13 Depth=1
	s_or_b64 exec, exec, s[6:7]
	v_cmp_ne_u32_e64 s[4:5], 0, v3
	s_and_saveexec_b64 s[8:9], s[4:5]
	s_cbranch_execnz .LBB303_67
.LBB303_44:                             ;   in Loop: Header=BB303_13 Depth=1
	s_or_b64 exec, exec, s[8:9]
	v_cmp_ne_u32_e64 s[6:7], 0, v4
	s_and_saveexec_b64 s[10:11], s[6:7]
	s_cbranch_execnz .LBB303_72
.LBB303_45:                             ;   in Loop: Header=BB303_13 Depth=1
	s_or_b64 exec, exec, s[10:11]
	v_cmp_ne_u32_e64 s[8:9], 0, v5
	s_and_saveexec_b64 s[34:35], s[8:9]
	s_cbranch_execnz .LBB303_77
.LBB303_46:                             ;   in Loop: Header=BB303_13 Depth=1
	s_or_b64 exec, exec, s[34:35]
	s_waitcnt vmcnt(3)
	v_add_u32_e32 v0, s15, v86
	s_and_saveexec_b64 s[34:35], vcc
	s_cbranch_execnz .LBB303_82
.LBB303_47:                             ;   in Loop: Header=BB303_13 Depth=1
	s_or_b64 exec, exec, s[34:35]
	s_and_saveexec_b64 s[34:35], s[4:5]
	s_cbranch_execnz .LBB303_87
.LBB303_48:                             ;   in Loop: Header=BB303_13 Depth=1
	s_or_b64 exec, exec, s[34:35]
	s_and_saveexec_b64 s[34:35], s[6:7]
	s_cbranch_execnz .LBB303_92
.LBB303_49:                             ;   in Loop: Header=BB303_13 Depth=1
	s_or_b64 exec, exec, s[34:35]
	s_and_saveexec_b64 s[34:35], s[8:9]
	s_cbranch_execnz .LBB303_97
.LBB303_50:                             ;   in Loop: Header=BB303_13 Depth=1
	s_or_b64 exec, exec, s[34:35]
	v_add_u32_e32 v0, s15, v0
	s_and_saveexec_b64 s[34:35], vcc
	s_cbranch_execnz .LBB303_102
.LBB303_51:                             ;   in Loop: Header=BB303_13 Depth=1
	s_or_b64 exec, exec, s[34:35]
	s_and_saveexec_b64 s[34:35], s[4:5]
	s_cbranch_execnz .LBB303_107
.LBB303_52:                             ;   in Loop: Header=BB303_13 Depth=1
	s_or_b64 exec, exec, s[34:35]
	s_and_saveexec_b64 s[34:35], s[6:7]
	s_cbranch_execnz .LBB303_112
.LBB303_53:                             ;   in Loop: Header=BB303_13 Depth=1
	s_or_b64 exec, exec, s[34:35]
	s_and_saveexec_b64 s[34:35], s[8:9]
	s_cbranch_execnz .LBB303_117
.LBB303_54:                             ;   in Loop: Header=BB303_13 Depth=1
	s_or_b64 exec, exec, s[34:35]
	v_add_u32_e32 v0, s15, v0
	s_and_saveexec_b64 s[34:35], vcc
	s_cbranch_execnz .LBB303_122
.LBB303_55:                             ;   in Loop: Header=BB303_13 Depth=1
	s_or_b64 exec, exec, s[34:35]
	s_and_saveexec_b64 s[34:35], s[4:5]
	s_cbranch_execnz .LBB303_127
.LBB303_56:                             ;   in Loop: Header=BB303_13 Depth=1
	s_or_b64 exec, exec, s[34:35]
	s_and_saveexec_b64 s[34:35], s[6:7]
	s_cbranch_execnz .LBB303_132
.LBB303_57:                             ;   in Loop: Header=BB303_13 Depth=1
	s_or_b64 exec, exec, s[34:35]
	s_and_saveexec_b64 s[34:35], s[8:9]
	s_cbranch_execnz .LBB303_137
.LBB303_58:                             ;   in Loop: Header=BB303_13 Depth=1
	s_or_b64 exec, exec, s[34:35]
	v_add_u32_e32 v0, s15, v0
	s_and_saveexec_b64 s[10:11], vcc
	s_cbranch_execnz .LBB303_142
.LBB303_59:                             ;   in Loop: Header=BB303_13 Depth=1
	s_or_b64 exec, exec, s[10:11]
	s_and_saveexec_b64 s[10:11], s[4:5]
	s_cbranch_execnz .LBB303_147
.LBB303_60:                             ;   in Loop: Header=BB303_13 Depth=1
	s_or_b64 exec, exec, s[10:11]
	s_and_saveexec_b64 s[4:5], s[6:7]
	s_cbranch_execnz .LBB303_152
.LBB303_61:                             ;   in Loop: Header=BB303_13 Depth=1
	s_or_b64 exec, exec, s[4:5]
	s_and_b64 exec, exec, s[8:9]
	s_cbranch_execnz .LBB303_157
	s_branch .LBB303_162
.LBB303_62:                             ;   in Loop: Header=BB303_13 Depth=1
	v_cvt_f32_i32_e32 v0, v71
	s_waitcnt vmcnt(19)
	v_lshlrev_b32_e32 v53, 16, v53
	v_add_f32_e32 v0, v74, v0
	v_add_f32_e32 v53, v0, v53
	v_and_b32_e32 v0, 0x7f800000, v53
	v_cmp_ne_u32_e64 s[4:5], s48, v0
                                        ; implicit-def: $vgpr0
	s_and_saveexec_b64 s[8:9], s[4:5]
	s_xor_b64 s[4:5], exec, s[8:9]
; %bb.63:                               ;   in Loop: Header=BB303_13 Depth=1
	v_bfe_u32 v0, v53, 16, 1
	v_add3_u32 v0, v53, v0, s14
                                        ; implicit-def: $vgpr53
; %bb.64:                               ;   in Loop: Header=BB303_13 Depth=1
	s_andn2_saveexec_b64 s[8:9], s[4:5]
; %bb.65:                               ;   in Loop: Header=BB303_13 Depth=1
	v_or_b32_e32 v0, 0x10000, v53
	v_cmp_eq_u32_sdwa s[4:5], v53, v1 src0_sel:WORD_0 src1_sel:DWORD
	s_nop 1
	v_cndmask_b32_e64 v0, v0, v53, s[4:5]
; %bb.66:                               ;   in Loop: Header=BB303_13 Depth=1
	s_or_b64 exec, exec, s[8:9]
	s_waitcnt vmcnt(3)
	v_mov_b32_e32 v87, v1
	s_waitcnt lgkmcnt(0)
	v_lshl_add_u64 v[60:61], v[86:87], 1, s[24:25]
	global_store_short_d16_hi v[60:61], v0, off
	s_or_b64 exec, exec, s[6:7]
	v_cmp_ne_u32_e64 s[4:5], 0, v3
	s_and_saveexec_b64 s[8:9], s[4:5]
	s_cbranch_execz .LBB303_44
.LBB303_67:                             ;   in Loop: Header=BB303_13 Depth=1
	v_cvt_f32_i32_e32 v0, v67
	s_waitcnt vmcnt(18)
	v_lshlrev_b32_e32 v52, 16, v52
	v_add_f32_e32 v0, v70, v0
	v_add_f32_e32 v52, v0, v52
	v_and_b32_e32 v0, 0x7f800000, v52
	v_cmp_ne_u32_e64 s[6:7], s48, v0
                                        ; implicit-def: $vgpr0
	s_and_saveexec_b64 s[10:11], s[6:7]
	s_xor_b64 s[6:7], exec, s[10:11]
; %bb.68:                               ;   in Loop: Header=BB303_13 Depth=1
	v_bfe_u32 v0, v52, 16, 1
	v_add3_u32 v0, v52, v0, s14
                                        ; implicit-def: $vgpr52
; %bb.69:                               ;   in Loop: Header=BB303_13 Depth=1
	s_andn2_saveexec_b64 s[10:11], s[6:7]
; %bb.70:                               ;   in Loop: Header=BB303_13 Depth=1
	v_or_b32_e32 v0, 0x10000, v52
	v_cmp_eq_u32_sdwa s[6:7], v52, v1 src0_sel:WORD_0 src1_sel:DWORD
	s_nop 1
	v_cndmask_b32_e64 v0, v0, v52, s[6:7]
; %bb.71:                               ;   in Loop: Header=BB303_13 Depth=1
	s_or_b64 exec, exec, s[10:11]
	s_waitcnt vmcnt(0)
	v_mov_b32_e32 v93, v1
	s_waitcnt lgkmcnt(0)
	v_lshl_add_u64 v[52:53], v[92:93], 1, s[24:25]
	global_store_short_d16_hi v[52:53], v0, off
	s_or_b64 exec, exec, s[8:9]
	v_cmp_ne_u32_e64 s[6:7], 0, v4
	s_and_saveexec_b64 s[10:11], s[6:7]
	s_cbranch_execz .LBB303_45
.LBB303_72:                             ;   in Loop: Header=BB303_13 Depth=1
	v_cvt_f32_i32_e32 v0, v63
	s_waitcnt vmcnt(17)
	v_lshlrev_b32_e32 v51, 16, v51
	v_add_f32_e32 v0, v66, v0
	v_add_f32_e32 v51, v0, v51
	v_and_b32_e32 v0, 0x7f800000, v51
	v_cmp_ne_u32_e64 s[8:9], s48, v0
                                        ; implicit-def: $vgpr0
	s_and_saveexec_b64 s[34:35], s[8:9]
	s_xor_b64 s[8:9], exec, s[34:35]
; %bb.73:                               ;   in Loop: Header=BB303_13 Depth=1
	v_bfe_u32 v0, v51, 16, 1
	v_add3_u32 v0, v51, v0, s14
                                        ; implicit-def: $vgpr51
; %bb.74:                               ;   in Loop: Header=BB303_13 Depth=1
	s_andn2_saveexec_b64 s[34:35], s[8:9]
; %bb.75:                               ;   in Loop: Header=BB303_13 Depth=1
	v_or_b32_e32 v0, 0x10000, v51
	v_cmp_eq_u32_sdwa s[8:9], v51, v1 src0_sel:WORD_0 src1_sel:DWORD
	s_nop 1
	v_cndmask_b32_e64 v0, v0, v51, s[8:9]
; %bb.76:                               ;   in Loop: Header=BB303_13 Depth=1
	s_or_b64 exec, exec, s[34:35]
	s_waitcnt vmcnt(1)
	v_mov_b32_e32 v91, v1
	s_waitcnt lgkmcnt(0)
	v_lshl_add_u64 v[52:53], v[90:91], 1, s[24:25]
	global_store_short_d16_hi v[52:53], v0, off
	s_or_b64 exec, exec, s[10:11]
	v_cmp_ne_u32_e64 s[8:9], 0, v5
	s_and_saveexec_b64 s[34:35], s[8:9]
	s_cbranch_execz .LBB303_46
.LBB303_77:                             ;   in Loop: Header=BB303_13 Depth=1
	v_cvt_f32_i32_e32 v0, v59
	s_waitcnt vmcnt(16)
	v_lshlrev_b32_e32 v49, 16, v49
	v_add_f32_e32 v0, v62, v0
	v_add_f32_e32 v49, v0, v49
	v_and_b32_e32 v0, 0x7f800000, v49
	v_cmp_ne_u32_e64 s[10:11], s48, v0
                                        ; implicit-def: $vgpr0
	s_and_saveexec_b64 s[36:37], s[10:11]
	s_xor_b64 s[10:11], exec, s[36:37]
; %bb.78:                               ;   in Loop: Header=BB303_13 Depth=1
	v_bfe_u32 v0, v49, 16, 1
	v_add3_u32 v0, v49, v0, s14
                                        ; implicit-def: $vgpr49
; %bb.79:                               ;   in Loop: Header=BB303_13 Depth=1
	s_andn2_saveexec_b64 s[36:37], s[10:11]
; %bb.80:                               ;   in Loop: Header=BB303_13 Depth=1
	v_or_b32_e32 v0, 0x10000, v49
	v_cmp_eq_u32_sdwa s[10:11], v49, v1 src0_sel:WORD_0 src1_sel:DWORD
	s_nop 1
	v_cndmask_b32_e64 v0, v0, v49, s[10:11]
; %bb.81:                               ;   in Loop: Header=BB303_13 Depth=1
	s_or_b64 exec, exec, s[36:37]
	s_waitcnt vmcnt(2)
	v_mov_b32_e32 v89, v1
	s_waitcnt lgkmcnt(0)
	v_lshl_add_u64 v[52:53], v[88:89], 1, s[24:25]
	global_store_short_d16_hi v[52:53], v0, off
	s_or_b64 exec, exec, s[34:35]
	v_add_u32_e32 v0, s15, v86
	s_and_saveexec_b64 s[34:35], vcc
	s_cbranch_execz .LBB303_47
.LBB303_82:                             ;   in Loop: Header=BB303_13 Depth=1
	v_cvt_f32_i32_e32 v49, v56
	v_lshlrev_b32_e32 v48, 16, v48
	v_add_f32_e32 v49, v58, v49
	v_add_f32_e32 v49, v49, v48
	v_and_b32_e32 v48, 0x7f800000, v49
	v_cmp_ne_u32_e64 s[10:11], s48, v48
                                        ; implicit-def: $vgpr48
	s_and_saveexec_b64 s[36:37], s[10:11]
	s_xor_b64 s[10:11], exec, s[36:37]
; %bb.83:                               ;   in Loop: Header=BB303_13 Depth=1
	v_bfe_u32 v48, v49, 16, 1
	v_add3_u32 v48, v49, v48, s14
                                        ; implicit-def: $vgpr49
; %bb.84:                               ;   in Loop: Header=BB303_13 Depth=1
	s_andn2_saveexec_b64 s[36:37], s[10:11]
; %bb.85:                               ;   in Loop: Header=BB303_13 Depth=1
	v_or_b32_e32 v48, 0x10000, v49
	v_cmp_eq_u32_sdwa s[10:11], v49, v1 src0_sel:WORD_0 src1_sel:DWORD
	s_nop 1
	v_cndmask_b32_e64 v48, v48, v49, s[10:11]
; %bb.86:                               ;   in Loop: Header=BB303_13 Depth=1
	s_or_b64 exec, exec, s[36:37]
	s_waitcnt lgkmcnt(0)
	v_lshl_add_u64 v[52:53], v[0:1], 1, s[24:25]
	global_store_short_d16_hi v[52:53], v48, off
	s_or_b64 exec, exec, s[34:35]
	s_and_saveexec_b64 s[34:35], s[4:5]
	s_cbranch_execz .LBB303_48
.LBB303_87:                             ;   in Loop: Header=BB303_13 Depth=1
	v_cvt_f32_i32_e32 v48, v55
	v_lshlrev_b32_e32 v45, 16, v45
	v_add_f32_e32 v48, v54, v48
	v_add_f32_e32 v48, v48, v45
	v_and_b32_e32 v45, 0x7f800000, v48
	v_cmp_ne_u32_e64 s[10:11], s48, v45
                                        ; implicit-def: $vgpr45
	s_and_saveexec_b64 s[36:37], s[10:11]
	s_xor_b64 s[10:11], exec, s[36:37]
; %bb.88:                               ;   in Loop: Header=BB303_13 Depth=1
	v_bfe_u32 v45, v48, 16, 1
	v_add3_u32 v45, v48, v45, s14
                                        ; implicit-def: $vgpr48
; %bb.89:                               ;   in Loop: Header=BB303_13 Depth=1
	s_andn2_saveexec_b64 s[36:37], s[10:11]
; %bb.90:                               ;   in Loop: Header=BB303_13 Depth=1
	v_or_b32_e32 v45, 0x10000, v48
	v_cmp_eq_u32_sdwa s[10:11], v48, v1 src0_sel:WORD_0 src1_sel:DWORD
	s_nop 1
	v_cndmask_b32_e64 v45, v45, v48, s[10:11]
; %bb.91:                               ;   in Loop: Header=BB303_13 Depth=1
	s_or_b64 exec, exec, s[36:37]
	v_add_u32_e32 v48, 1, v0
	v_mov_b32_e32 v49, v1
	s_waitcnt lgkmcnt(0)
	v_lshl_add_u64 v[48:49], v[48:49], 1, s[24:25]
	global_store_short_d16_hi v[48:49], v45, off
	s_or_b64 exec, exec, s[34:35]
	s_and_saveexec_b64 s[34:35], s[6:7]
	s_cbranch_execz .LBB303_49
.LBB303_92:                             ;   in Loop: Header=BB303_13 Depth=1
	v_cvt_f32_i32_e32 v45, v47
	v_lshlrev_b32_e32 v44, 16, v44
	v_add_f32_e32 v45, v50, v45
	v_add_f32_e32 v45, v45, v44
	v_and_b32_e32 v44, 0x7f800000, v45
	v_cmp_ne_u32_e64 s[10:11], s48, v44
                                        ; implicit-def: $vgpr44
	s_and_saveexec_b64 s[36:37], s[10:11]
	s_xor_b64 s[10:11], exec, s[36:37]
; %bb.93:                               ;   in Loop: Header=BB303_13 Depth=1
	v_bfe_u32 v44, v45, 16, 1
	v_add3_u32 v44, v45, v44, s14
                                        ; implicit-def: $vgpr45
; %bb.94:                               ;   in Loop: Header=BB303_13 Depth=1
	s_andn2_saveexec_b64 s[36:37], s[10:11]
; %bb.95:                               ;   in Loop: Header=BB303_13 Depth=1
	v_or_b32_e32 v44, 0x10000, v45
	v_cmp_eq_u32_sdwa s[10:11], v45, v1 src0_sel:WORD_0 src1_sel:DWORD
	s_nop 1
	v_cndmask_b32_e64 v44, v44, v45, s[10:11]
; %bb.96:                               ;   in Loop: Header=BB303_13 Depth=1
	s_or_b64 exec, exec, s[36:37]
	v_add_u32_e32 v48, 2, v0
	v_mov_b32_e32 v49, v1
	s_waitcnt lgkmcnt(0)
	v_lshl_add_u64 v[48:49], v[48:49], 1, s[24:25]
	global_store_short_d16_hi v[48:49], v44, off
	s_or_b64 exec, exec, s[34:35]
	s_and_saveexec_b64 s[34:35], s[8:9]
	s_cbranch_execz .LBB303_50
.LBB303_97:                             ;   in Loop: Header=BB303_13 Depth=1
	v_cvt_f32_i32_e32 v43, v43
	v_lshlrev_b32_e32 v41, 16, v41
	v_add_f32_e32 v43, v46, v43
	v_add_f32_e32 v43, v43, v41
	v_and_b32_e32 v41, 0x7f800000, v43
	v_cmp_ne_u32_e64 s[10:11], s48, v41
                                        ; implicit-def: $vgpr41
	s_and_saveexec_b64 s[36:37], s[10:11]
	s_xor_b64 s[10:11], exec, s[36:37]
; %bb.98:                               ;   in Loop: Header=BB303_13 Depth=1
	v_bfe_u32 v41, v43, 16, 1
	v_add3_u32 v41, v43, v41, s14
                                        ; implicit-def: $vgpr43
; %bb.99:                               ;   in Loop: Header=BB303_13 Depth=1
	s_andn2_saveexec_b64 s[36:37], s[10:11]
; %bb.100:                              ;   in Loop: Header=BB303_13 Depth=1
	v_or_b32_e32 v41, 0x10000, v43
	v_cmp_eq_u32_sdwa s[10:11], v43, v1 src0_sel:WORD_0 src1_sel:DWORD
	s_nop 1
	v_cndmask_b32_e64 v41, v41, v43, s[10:11]
; %bb.101:                              ;   in Loop: Header=BB303_13 Depth=1
	s_or_b64 exec, exec, s[36:37]
	v_add_u32_e32 v44, 3, v0
	v_mov_b32_e32 v45, v1
	s_waitcnt lgkmcnt(0)
	v_lshl_add_u64 v[44:45], v[44:45], 1, s[24:25]
	global_store_short_d16_hi v[44:45], v41, off
	s_or_b64 exec, exec, s[34:35]
	v_add_u32_e32 v0, s15, v0
	s_and_saveexec_b64 s[34:35], vcc
	s_cbranch_execz .LBB303_51
.LBB303_102:                            ;   in Loop: Header=BB303_13 Depth=1
	v_cvt_f32_i32_e32 v39, v39
	v_lshlrev_b32_e32 v40, 16, v40
	v_add_f32_e32 v39, v42, v39
	v_add_f32_e32 v40, v39, v40
	v_and_b32_e32 v39, 0x7f800000, v40
	v_cmp_ne_u32_e64 s[10:11], s48, v39
                                        ; implicit-def: $vgpr39
	s_and_saveexec_b64 s[36:37], s[10:11]
	s_xor_b64 s[10:11], exec, s[36:37]
; %bb.103:                              ;   in Loop: Header=BB303_13 Depth=1
	v_bfe_u32 v39, v40, 16, 1
	v_add3_u32 v39, v40, v39, s14
                                        ; implicit-def: $vgpr40
; %bb.104:                              ;   in Loop: Header=BB303_13 Depth=1
	s_andn2_saveexec_b64 s[36:37], s[10:11]
; %bb.105:                              ;   in Loop: Header=BB303_13 Depth=1
	v_or_b32_e32 v39, 0x10000, v40
	v_cmp_eq_u32_sdwa s[10:11], v40, v1 src0_sel:WORD_0 src1_sel:DWORD
	s_nop 1
	v_cndmask_b32_e64 v39, v39, v40, s[10:11]
; %bb.106:                              ;   in Loop: Header=BB303_13 Depth=1
	s_or_b64 exec, exec, s[36:37]
	s_waitcnt lgkmcnt(0)
	v_lshl_add_u64 v[40:41], v[0:1], 1, s[24:25]
	global_store_short_d16_hi v[40:41], v39, off
	s_or_b64 exec, exec, s[34:35]
	s_and_saveexec_b64 s[34:35], s[4:5]
	s_cbranch_execz .LBB303_52
.LBB303_107:                            ;   in Loop: Header=BB303_13 Depth=1
	v_cvt_f32_i32_e32 v36, v36
	v_lshlrev_b32_e32 v37, 16, v37
	v_add_f32_e32 v36, v38, v36
	v_add_f32_e32 v37, v36, v37
	v_and_b32_e32 v36, 0x7f800000, v37
	v_cmp_ne_u32_e64 s[10:11], s48, v36
                                        ; implicit-def: $vgpr36
	s_and_saveexec_b64 s[36:37], s[10:11]
	s_xor_b64 s[10:11], exec, s[36:37]
; %bb.108:                              ;   in Loop: Header=BB303_13 Depth=1
	v_bfe_u32 v36, v37, 16, 1
	v_add3_u32 v36, v37, v36, s14
                                        ; implicit-def: $vgpr37
; %bb.109:                              ;   in Loop: Header=BB303_13 Depth=1
	s_andn2_saveexec_b64 s[36:37], s[10:11]
; %bb.110:                              ;   in Loop: Header=BB303_13 Depth=1
	v_or_b32_e32 v36, 0x10000, v37
	v_cmp_eq_u32_sdwa s[10:11], v37, v1 src0_sel:WORD_0 src1_sel:DWORD
	s_nop 1
	v_cndmask_b32_e64 v36, v36, v37, s[10:11]
; %bb.111:                              ;   in Loop: Header=BB303_13 Depth=1
	s_or_b64 exec, exec, s[36:37]
	v_add_u32_e32 v38, 1, v0
	v_mov_b32_e32 v39, v1
	s_waitcnt lgkmcnt(0)
	v_lshl_add_u64 v[38:39], v[38:39], 1, s[24:25]
	global_store_short_d16_hi v[38:39], v36, off
	s_or_b64 exec, exec, s[34:35]
	s_and_saveexec_b64 s[34:35], s[6:7]
	s_cbranch_execz .LBB303_53
.LBB303_112:                            ;   in Loop: Header=BB303_13 Depth=1
	v_cvt_f32_i32_e32 v35, v35
	v_lshlrev_b32_e32 v33, 16, v33
	v_add_f32_e32 v34, v34, v35
	v_add_f32_e32 v34, v34, v33
	v_and_b32_e32 v33, 0x7f800000, v34
	v_cmp_ne_u32_e64 s[10:11], s48, v33
                                        ; implicit-def: $vgpr33
	s_and_saveexec_b64 s[36:37], s[10:11]
	s_xor_b64 s[10:11], exec, s[36:37]
; %bb.113:                              ;   in Loop: Header=BB303_13 Depth=1
	v_bfe_u32 v33, v34, 16, 1
	v_add3_u32 v33, v34, v33, s14
                                        ; implicit-def: $vgpr34
; %bb.114:                              ;   in Loop: Header=BB303_13 Depth=1
	s_andn2_saveexec_b64 s[36:37], s[10:11]
; %bb.115:                              ;   in Loop: Header=BB303_13 Depth=1
	v_or_b32_e32 v33, 0x10000, v34
	v_cmp_eq_u32_sdwa s[10:11], v34, v1 src0_sel:WORD_0 src1_sel:DWORD
	s_nop 1
	v_cndmask_b32_e64 v33, v33, v34, s[10:11]
; %bb.116:                              ;   in Loop: Header=BB303_13 Depth=1
	s_or_b64 exec, exec, s[36:37]
	v_add_u32_e32 v34, 2, v0
	v_mov_b32_e32 v35, v1
	s_waitcnt lgkmcnt(0)
	v_lshl_add_u64 v[34:35], v[34:35], 1, s[24:25]
	global_store_short_d16_hi v[34:35], v33, off
	s_or_b64 exec, exec, s[34:35]
	s_and_saveexec_b64 s[34:35], s[8:9]
	s_cbranch_execz .LBB303_54
.LBB303_117:                            ;   in Loop: Header=BB303_13 Depth=1
	v_cvt_f32_i32_e32 v27, v27
	v_add_f32_e32 v27, v30, v27
	v_lshlrev_b32_e32 v30, 16, v32
	v_add_f32_e32 v30, v27, v30
	v_and_b32_e32 v27, 0x7f800000, v30
	v_cmp_ne_u32_e64 s[10:11], s48, v27
                                        ; implicit-def: $vgpr27
	s_and_saveexec_b64 s[36:37], s[10:11]
	s_xor_b64 s[10:11], exec, s[36:37]
; %bb.118:                              ;   in Loop: Header=BB303_13 Depth=1
	v_bfe_u32 v27, v30, 16, 1
	v_add3_u32 v27, v30, v27, s14
                                        ; implicit-def: $vgpr30
; %bb.119:                              ;   in Loop: Header=BB303_13 Depth=1
	s_andn2_saveexec_b64 s[36:37], s[10:11]
; %bb.120:                              ;   in Loop: Header=BB303_13 Depth=1
	v_or_b32_e32 v27, 0x10000, v30
	v_cmp_eq_u32_sdwa s[10:11], v30, v1 src0_sel:WORD_0 src1_sel:DWORD
	s_nop 1
	v_cndmask_b32_e64 v27, v27, v30, s[10:11]
; %bb.121:                              ;   in Loop: Header=BB303_13 Depth=1
	s_or_b64 exec, exec, s[36:37]
	v_add_u32_e32 v32, 3, v0
	v_mov_b32_e32 v33, v1
	s_waitcnt lgkmcnt(0)
	v_lshl_add_u64 v[32:33], v[32:33], 1, s[24:25]
	global_store_short_d16_hi v[32:33], v27, off
	s_or_b64 exec, exec, s[34:35]
	v_add_u32_e32 v0, s15, v0
	s_and_saveexec_b64 s[34:35], vcc
	s_cbranch_execz .LBB303_55
.LBB303_122:                            ;   in Loop: Header=BB303_13 Depth=1
	v_cvt_f32_i32_e32 v23, v23
	v_add_f32_e32 v23, v26, v23
	v_lshlrev_b32_e32 v26, 16, v31
	v_add_f32_e32 v26, v23, v26
	v_and_b32_e32 v23, 0x7f800000, v26
	v_cmp_ne_u32_e64 s[10:11], s48, v23
                                        ; implicit-def: $vgpr23
	s_and_saveexec_b64 s[36:37], s[10:11]
	s_xor_b64 s[10:11], exec, s[36:37]
; %bb.123:                              ;   in Loop: Header=BB303_13 Depth=1
	v_bfe_u32 v23, v26, 16, 1
	v_add3_u32 v23, v26, v23, s14
                                        ; implicit-def: $vgpr26
; %bb.124:                              ;   in Loop: Header=BB303_13 Depth=1
	s_andn2_saveexec_b64 s[36:37], s[10:11]
; %bb.125:                              ;   in Loop: Header=BB303_13 Depth=1
	v_or_b32_e32 v23, 0x10000, v26
	v_cmp_eq_u32_sdwa s[10:11], v26, v1 src0_sel:WORD_0 src1_sel:DWORD
	s_nop 1
	v_cndmask_b32_e64 v23, v23, v26, s[10:11]
; %bb.126:                              ;   in Loop: Header=BB303_13 Depth=1
	s_or_b64 exec, exec, s[36:37]
	s_waitcnt lgkmcnt(0)
	v_lshl_add_u64 v[26:27], v[0:1], 1, s[24:25]
	global_store_short_d16_hi v[26:27], v23, off
	s_or_b64 exec, exec, s[34:35]
	s_and_saveexec_b64 s[34:35], s[4:5]
	s_cbranch_execz .LBB303_56
.LBB303_127:                            ;   in Loop: Header=BB303_13 Depth=1
	v_cvt_f32_i32_e32 v21, v21
	v_add_f32_e32 v21, v22, v21
	v_lshlrev_b32_e32 v22, 16, v29
	v_add_f32_e32 v22, v21, v22
	v_and_b32_e32 v21, 0x7f800000, v22
	v_cmp_ne_u32_e64 s[10:11], s48, v21
                                        ; implicit-def: $vgpr21
	s_and_saveexec_b64 s[36:37], s[10:11]
	s_xor_b64 s[10:11], exec, s[36:37]
; %bb.128:                              ;   in Loop: Header=BB303_13 Depth=1
	v_bfe_u32 v21, v22, 16, 1
	v_add3_u32 v21, v22, v21, s14
                                        ; implicit-def: $vgpr22
; %bb.129:                              ;   in Loop: Header=BB303_13 Depth=1
	s_andn2_saveexec_b64 s[36:37], s[10:11]
; %bb.130:                              ;   in Loop: Header=BB303_13 Depth=1
	v_or_b32_e32 v21, 0x10000, v22
	v_cmp_eq_u32_sdwa s[10:11], v22, v1 src0_sel:WORD_0 src1_sel:DWORD
	s_nop 1
	v_cndmask_b32_e64 v21, v21, v22, s[10:11]
; %bb.131:                              ;   in Loop: Header=BB303_13 Depth=1
	s_or_b64 exec, exec, s[36:37]
	v_add_u32_e32 v22, 1, v0
	v_mov_b32_e32 v23, v1
	s_waitcnt lgkmcnt(0)
	v_lshl_add_u64 v[22:23], v[22:23], 1, s[24:25]
	global_store_short_d16_hi v[22:23], v21, off
	s_or_b64 exec, exec, s[34:35]
	s_and_saveexec_b64 s[34:35], s[6:7]
	s_cbranch_execz .LBB303_57
.LBB303_132:                            ;   in Loop: Header=BB303_13 Depth=1
	v_cvt_f32_i32_e32 v20, v20
	v_add_f32_e32 v19, v19, v20
	v_lshlrev_b32_e32 v20, 16, v28
	v_add_f32_e32 v20, v19, v20
	v_and_b32_e32 v19, 0x7f800000, v20
	v_cmp_ne_u32_e64 s[10:11], s48, v19
                                        ; implicit-def: $vgpr19
	s_and_saveexec_b64 s[36:37], s[10:11]
	s_xor_b64 s[10:11], exec, s[36:37]
; %bb.133:                              ;   in Loop: Header=BB303_13 Depth=1
	v_bfe_u32 v19, v20, 16, 1
	v_add3_u32 v19, v20, v19, s14
                                        ; implicit-def: $vgpr20
; %bb.134:                              ;   in Loop: Header=BB303_13 Depth=1
	s_andn2_saveexec_b64 s[36:37], s[10:11]
; %bb.135:                              ;   in Loop: Header=BB303_13 Depth=1
	v_or_b32_e32 v19, 0x10000, v20
	v_cmp_eq_u32_sdwa s[10:11], v20, v1 src0_sel:WORD_0 src1_sel:DWORD
	s_nop 1
	v_cndmask_b32_e64 v19, v19, v20, s[10:11]
; %bb.136:                              ;   in Loop: Header=BB303_13 Depth=1
	s_or_b64 exec, exec, s[36:37]
	v_add_u32_e32 v20, 2, v0
	v_mov_b32_e32 v21, v1
	s_waitcnt lgkmcnt(0)
	v_lshl_add_u64 v[20:21], v[20:21], 1, s[24:25]
	global_store_short_d16_hi v[20:21], v19, off
	s_or_b64 exec, exec, s[34:35]
	s_and_saveexec_b64 s[34:35], s[8:9]
	s_cbranch_execz .LBB303_58
.LBB303_137:                            ;   in Loop: Header=BB303_13 Depth=1
	v_cvt_f32_i32_e32 v12, v12
	v_add_f32_e32 v12, v18, v12
	v_lshlrev_b32_e32 v18, 16, v25
	v_add_f32_e32 v18, v12, v18
	v_and_b32_e32 v12, 0x7f800000, v18
	v_cmp_ne_u32_e64 s[10:11], s48, v12
                                        ; implicit-def: $vgpr12
	s_and_saveexec_b64 s[36:37], s[10:11]
	s_xor_b64 s[10:11], exec, s[36:37]
; %bb.138:                              ;   in Loop: Header=BB303_13 Depth=1
	v_bfe_u32 v12, v18, 16, 1
	v_add3_u32 v12, v18, v12, s14
                                        ; implicit-def: $vgpr18
; %bb.139:                              ;   in Loop: Header=BB303_13 Depth=1
	s_andn2_saveexec_b64 s[36:37], s[10:11]
; %bb.140:                              ;   in Loop: Header=BB303_13 Depth=1
	v_or_b32_e32 v12, 0x10000, v18
	v_cmp_eq_u32_sdwa s[10:11], v18, v1 src0_sel:WORD_0 src1_sel:DWORD
	s_nop 1
	v_cndmask_b32_e64 v12, v12, v18, s[10:11]
; %bb.141:                              ;   in Loop: Header=BB303_13 Depth=1
	s_or_b64 exec, exec, s[36:37]
	v_add_u32_e32 v18, 3, v0
	v_mov_b32_e32 v19, v1
	s_waitcnt lgkmcnt(0)
	v_lshl_add_u64 v[18:19], v[18:19], 1, s[24:25]
	global_store_short_d16_hi v[18:19], v12, off
	s_or_b64 exec, exec, s[34:35]
	v_add_u32_e32 v0, s15, v0
	s_and_saveexec_b64 s[10:11], vcc
	s_cbranch_execz .LBB303_59
.LBB303_142:                            ;   in Loop: Header=BB303_13 Depth=1
	v_cvt_f32_i32_e32 v12, v14
	v_add_f32_e32 v12, v13, v12
	v_lshlrev_b32_e32 v13, 16, v24
	v_add_f32_e32 v13, v12, v13
	v_and_b32_e32 v12, 0x7f800000, v13
	v_cmp_ne_u32_e32 vcc, s48, v12
                                        ; implicit-def: $vgpr12
	s_and_saveexec_b64 s[34:35], vcc
	s_xor_b64 s[34:35], exec, s[34:35]
; %bb.143:                              ;   in Loop: Header=BB303_13 Depth=1
	v_bfe_u32 v12, v13, 16, 1
	v_add3_u32 v12, v13, v12, s14
                                        ; implicit-def: $vgpr13
; %bb.144:                              ;   in Loop: Header=BB303_13 Depth=1
	s_andn2_saveexec_b64 s[34:35], s[34:35]
; %bb.145:                              ;   in Loop: Header=BB303_13 Depth=1
	v_or_b32_e32 v12, 0x10000, v13
	v_cmp_eq_u32_sdwa vcc, v13, v1 src0_sel:WORD_0 src1_sel:DWORD
	s_nop 1
	v_cndmask_b32_e32 v12, v12, v13, vcc
; %bb.146:                              ;   in Loop: Header=BB303_13 Depth=1
	s_or_b64 exec, exec, s[34:35]
	s_waitcnt lgkmcnt(0)
	v_lshl_add_u64 v[18:19], v[0:1], 1, s[24:25]
	global_store_short_d16_hi v[18:19], v12, off
	s_or_b64 exec, exec, s[10:11]
	s_and_saveexec_b64 s[10:11], s[4:5]
	s_cbranch_execz .LBB303_60
.LBB303_147:                            ;   in Loop: Header=BB303_13 Depth=1
	v_cvt_f32_i32_e32 v11, v11
	v_add_f32_e32 v10, v10, v11
	s_waitcnt vmcnt(2)
	v_lshlrev_b32_e32 v11, 16, v17
	v_add_f32_e32 v11, v10, v11
	v_and_b32_e32 v10, 0x7f800000, v11
	v_cmp_ne_u32_e32 vcc, s48, v10
                                        ; implicit-def: $vgpr10
	s_and_saveexec_b64 s[4:5], vcc
	s_xor_b64 s[4:5], exec, s[4:5]
; %bb.148:                              ;   in Loop: Header=BB303_13 Depth=1
	v_bfe_u32 v10, v11, 16, 1
	v_add3_u32 v10, v11, v10, s14
                                        ; implicit-def: $vgpr11
; %bb.149:                              ;   in Loop: Header=BB303_13 Depth=1
	s_andn2_saveexec_b64 s[4:5], s[4:5]
; %bb.150:                              ;   in Loop: Header=BB303_13 Depth=1
	v_or_b32_e32 v10, 0x10000, v11
	v_cmp_eq_u32_sdwa vcc, v11, v1 src0_sel:WORD_0 src1_sel:DWORD
	s_nop 1
	v_cndmask_b32_e32 v10, v10, v11, vcc
; %bb.151:                              ;   in Loop: Header=BB303_13 Depth=1
	s_or_b64 exec, exec, s[4:5]
	v_add_u32_e32 v12, 1, v0
	v_mov_b32_e32 v13, v1
	s_waitcnt lgkmcnt(0)
	v_lshl_add_u64 v[12:13], v[12:13], 1, s[24:25]
	global_store_short_d16_hi v[12:13], v10, off
	s_or_b64 exec, exec, s[10:11]
	s_and_saveexec_b64 s[4:5], s[6:7]
	s_cbranch_execz .LBB303_61
.LBB303_152:                            ;   in Loop: Header=BB303_13 Depth=1
	v_cvt_f32_i32_e32 v9, v9
	v_add_f32_e32 v8, v8, v9
	s_waitcnt vmcnt(1)
	v_lshlrev_b32_e32 v9, 16, v16
	v_add_f32_e32 v9, v8, v9
	v_and_b32_e32 v8, 0x7f800000, v9
	v_cmp_ne_u32_e32 vcc, s48, v8
                                        ; implicit-def: $vgpr8
	s_and_saveexec_b64 s[6:7], vcc
	s_xor_b64 s[6:7], exec, s[6:7]
; %bb.153:                              ;   in Loop: Header=BB303_13 Depth=1
	v_bfe_u32 v8, v9, 16, 1
	v_add3_u32 v8, v9, v8, s14
                                        ; implicit-def: $vgpr9
; %bb.154:                              ;   in Loop: Header=BB303_13 Depth=1
	s_andn2_saveexec_b64 s[6:7], s[6:7]
; %bb.155:                              ;   in Loop: Header=BB303_13 Depth=1
	v_or_b32_e32 v8, 0x10000, v9
	v_cmp_eq_u32_sdwa vcc, v9, v1 src0_sel:WORD_0 src1_sel:DWORD
	s_nop 1
	v_cndmask_b32_e32 v8, v8, v9, vcc
; %bb.156:                              ;   in Loop: Header=BB303_13 Depth=1
	s_or_b64 exec, exec, s[6:7]
	v_add_u32_e32 v10, 2, v0
	v_mov_b32_e32 v11, v1
	s_waitcnt lgkmcnt(0)
	v_lshl_add_u64 v[10:11], v[10:11], 1, s[24:25]
	global_store_short_d16_hi v[10:11], v8, off
	s_or_b64 exec, exec, s[4:5]
	s_and_b64 exec, exec, s[8:9]
	s_cbranch_execz .LBB303_162
.LBB303_157:                            ;   in Loop: Header=BB303_13 Depth=1
	v_cvt_f32_i32_e32 v7, v7
	v_add_f32_e32 v6, v6, v7
	s_waitcnt vmcnt(0)
	v_lshlrev_b32_e32 v7, 16, v15
	v_add_f32_e32 v7, v6, v7
	v_and_b32_e32 v6, 0x7f800000, v7
	v_cmp_ne_u32_e32 vcc, s48, v6
                                        ; implicit-def: $vgpr6
	s_and_saveexec_b64 s[4:5], vcc
	s_xor_b64 s[4:5], exec, s[4:5]
; %bb.158:                              ;   in Loop: Header=BB303_13 Depth=1
	v_bfe_u32 v6, v7, 16, 1
	v_add3_u32 v6, v7, v6, s14
                                        ; implicit-def: $vgpr7
; %bb.159:                              ;   in Loop: Header=BB303_13 Depth=1
	s_andn2_saveexec_b64 s[4:5], s[4:5]
; %bb.160:                              ;   in Loop: Header=BB303_13 Depth=1
	v_or_b32_e32 v6, 0x10000, v7
	v_cmp_eq_u32_sdwa vcc, v7, v1 src0_sel:WORD_0 src1_sel:DWORD
	s_nop 1
	v_cndmask_b32_e32 v6, v6, v7, vcc
; %bb.161:                              ;   in Loop: Header=BB303_13 Depth=1
	s_or_b64 exec, exec, s[4:5]
	v_add_u32_e32 v0, 3, v0
	s_waitcnt lgkmcnt(0)
	v_lshl_add_u64 v[8:9], v[0:1], 1, s[24:25]
	global_store_short_d16_hi v[8:9], v6, off
.LBB303_162:                            ;   in Loop: Header=BB303_13 Depth=1
	s_or_b64 exec, exec, s[30:31]
	s_waitcnt vmcnt(3)
	v_add_u32_e32 v86, s39, v86
	v_add_u32_e32 v0, 4, v86
	v_cmp_gt_u32_e32 vcc, s15, v86
	v_cmp_le_u32_e64 s[4:5], s15, v0
	s_and_b64 s[4:5], vcc, s[4:5]
	s_and_saveexec_b64 s[6:7], s[4:5]
	s_cbranch_execz .LBB303_12
; %bb.163:                              ;   in Loop: Header=BB303_13 Depth=1
	v_cmp_ne_u32_e32 vcc, s21, v86
	s_and_saveexec_b64 s[8:9], vcc
	s_cbranch_execz .LBB303_11
; %bb.164:                              ;   in Loop: Header=BB303_13 Depth=1
	v_subrev_u32_e32 v0, s21, v86
	v_cmp_lt_u32_e32 vcc, 1, v0
	s_mov_b64 s[10:11], 0
	s_mov_b64 s[30:31], 0
	v_cndmask_b32_e32 v0, 1, v0, vcc
.LBB303_165:                            ;   Parent Loop BB303_13 Depth=1
                                        ; =>  This Inner Loop Header: Depth=2
	s_cmp_lg_u32 s30, 3
	s_cselect_b64 vcc, -1, 0
	s_cmp_lg_u32 s30, 2
	v_cndmask_b32_e32 v5, 0, v5, vcc
	s_cselect_b64 vcc, -1, 0
	s_cmp_lg_u32 s30, 1
	v_cndmask_b32_e32 v4, 0, v4, vcc
	s_cselect_b64 vcc, -1, 0
	s_cmp_lg_u32 s30, 0
	v_cndmask_b32_e32 v3, 0, v3, vcc
	s_cselect_b64 vcc, -1, 0
	s_add_u32 s30, s30, 1
	s_addc_u32 s31, s31, 0
	v_cmp_eq_u32_e64 s[4:5], s30, v0
	s_or_b64 s[10:11], s[4:5], s[10:11]
	v_cndmask_b32_e32 v2, 0, v2, vcc
	s_andn2_b64 exec, exec, s[10:11]
	s_cbranch_execnz .LBB303_165
; %bb.166:                              ;   in Loop: Header=BB303_13 Depth=1
	s_or_b64 exec, exec, s[10:11]
	s_branch .LBB303_11
.LBB303_167:
	s_endpgm
	.section	.rodata,"a",@progbits
	.p2align	6, 0x0
	.amdhsa_kernel _Z12wvSplitK_hf_I14__hip_bfloat16Li64ELi4ELi16ELi8ELi1ELi5EEviiiiiiPKT_S3_S3_PS1_ii
		.amdhsa_group_segment_fixed_size 65536
		.amdhsa_private_segment_fixed_size 88
		.amdhsa_kernarg_size 64
		.amdhsa_user_sgpr_count 2
		.amdhsa_user_sgpr_dispatch_ptr 0
		.amdhsa_user_sgpr_queue_ptr 0
		.amdhsa_user_sgpr_kernarg_segment_ptr 1
		.amdhsa_user_sgpr_dispatch_id 0
		.amdhsa_user_sgpr_kernarg_preload_length 0
		.amdhsa_user_sgpr_kernarg_preload_offset 0
		.amdhsa_user_sgpr_private_segment_size 0
		.amdhsa_uses_dynamic_stack 0
		.amdhsa_enable_private_segment 1
		.amdhsa_system_sgpr_workgroup_id_x 1
		.amdhsa_system_sgpr_workgroup_id_y 0
		.amdhsa_system_sgpr_workgroup_id_z 0
		.amdhsa_system_sgpr_workgroup_info 0
		.amdhsa_system_vgpr_workitem_id 1
		.amdhsa_next_free_vgpr 128
		.amdhsa_next_free_sgpr 49
		.amdhsa_accum_offset 128
		.amdhsa_reserve_vcc 1
		.amdhsa_float_round_mode_32 0
		.amdhsa_float_round_mode_16_64 0
		.amdhsa_float_denorm_mode_32 3
		.amdhsa_float_denorm_mode_16_64 3
		.amdhsa_dx10_clamp 1
		.amdhsa_ieee_mode 1
		.amdhsa_fp16_overflow 0
		.amdhsa_tg_split 0
		.amdhsa_exception_fp_ieee_invalid_op 0
		.amdhsa_exception_fp_denorm_src 0
		.amdhsa_exception_fp_ieee_div_zero 0
		.amdhsa_exception_fp_ieee_overflow 0
		.amdhsa_exception_fp_ieee_underflow 0
		.amdhsa_exception_fp_ieee_inexact 0
		.amdhsa_exception_int_div_zero 0
	.end_amdhsa_kernel
	.section	.text._Z12wvSplitK_hf_I14__hip_bfloat16Li64ELi4ELi16ELi8ELi1ELi5EEviiiiiiPKT_S3_S3_PS1_ii,"axG",@progbits,_Z12wvSplitK_hf_I14__hip_bfloat16Li64ELi4ELi16ELi8ELi1ELi5EEviiiiiiPKT_S3_S3_PS1_ii,comdat
.Lfunc_end303:
	.size	_Z12wvSplitK_hf_I14__hip_bfloat16Li64ELi4ELi16ELi8ELi1ELi5EEviiiiiiPKT_S3_S3_PS1_ii, .Lfunc_end303-_Z12wvSplitK_hf_I14__hip_bfloat16Li64ELi4ELi16ELi8ELi1ELi5EEviiiiiiPKT_S3_S3_PS1_ii
                                        ; -- End function
	.section	.AMDGPU.csdata,"",@progbits
; Kernel info:
; codeLenInByte = 8884
; NumSgprs: 55
; NumVgprs: 128
; NumAgprs: 0
; TotalNumVgprs: 128
; ScratchSize: 88
; MemoryBound: 1
; FloatMode: 240
; IeeeMode: 1
; LDSByteSize: 65536 bytes/workgroup (compile time only)
; SGPRBlocks: 6
; VGPRBlocks: 15
; NumSGPRsForWavesPerEU: 55
; NumVGPRsForWavesPerEU: 128
; AccumOffset: 128
; Occupancy: 4
; WaveLimiterHint : 0
; COMPUTE_PGM_RSRC2:SCRATCH_EN: 1
; COMPUTE_PGM_RSRC2:USER_SGPR: 2
; COMPUTE_PGM_RSRC2:TRAP_HANDLER: 0
; COMPUTE_PGM_RSRC2:TGID_X_EN: 1
; COMPUTE_PGM_RSRC2:TGID_Y_EN: 0
; COMPUTE_PGM_RSRC2:TGID_Z_EN: 0
; COMPUTE_PGM_RSRC2:TIDIG_COMP_CNT: 1
; COMPUTE_PGM_RSRC3_GFX90A:ACCUM_OFFSET: 31
; COMPUTE_PGM_RSRC3_GFX90A:TG_SPLIT: 0
	.section	.text._Z16wvSplitK_hf_big_I14__hip_bfloat16Li64ELi4ELi16ELi8ELi1ELi5EEviiiiiiPKT_S3_S3_PS1_ii,"axG",@progbits,_Z16wvSplitK_hf_big_I14__hip_bfloat16Li64ELi4ELi16ELi8ELi1ELi5EEviiiiiiPKT_S3_S3_PS1_ii,comdat
	.protected	_Z16wvSplitK_hf_big_I14__hip_bfloat16Li64ELi4ELi16ELi8ELi1ELi5EEviiiiiiPKT_S3_S3_PS1_ii ; -- Begin function _Z16wvSplitK_hf_big_I14__hip_bfloat16Li64ELi4ELi16ELi8ELi1ELi5EEviiiiiiPKT_S3_S3_PS1_ii
	.globl	_Z16wvSplitK_hf_big_I14__hip_bfloat16Li64ELi4ELi16ELi8ELi1ELi5EEviiiiiiPKT_S3_S3_PS1_ii
	.p2align	8
	.type	_Z16wvSplitK_hf_big_I14__hip_bfloat16Li64ELi4ELi16ELi8ELi1ELi5EEviiiiiiPKT_S3_S3_PS1_ii,@function
_Z16wvSplitK_hf_big_I14__hip_bfloat16Li64ELi4ELi16ELi8ELi1ELi5EEviiiiiiPKT_S3_S3_PS1_ii: ; @_Z16wvSplitK_hf_big_I14__hip_bfloat16Li64ELi4ELi16ELi8ELi1ELi5EEviiiiiiPKT_S3_S3_PS1_ii
; %bb.0:
	s_load_dwordx2 s[8:9], s[0:1], 0x38
	v_bfe_u32 v7, v0, 10, 10
	s_waitcnt lgkmcnt(0)
	v_cmp_gt_u32_e32 vcc, s8, v7
	s_and_saveexec_b64 s[4:5], vcc
	s_cbranch_execz .LBB304_159
; %bb.1:
	s_load_dwordx4 s[24:27], s[0:1], 0x0
	s_mul_i32 s2, s2, s8
	v_add_lshl_u32 v86, s2, v7, 2
	s_mov_b32 s4, 1
	v_add_u32_e32 v1, 4, v86
	s_mov_b32 s5, s4
	s_waitcnt lgkmcnt(0)
	v_cmp_gt_u32_e32 vcc, s27, v86
	v_cmp_le_u32_e64 s[2:3], s27, v1
	s_mov_b32 s6, s4
	s_mov_b32 s7, s4
	v_mov_b64_e32 v[2:3], s[4:5]
	s_and_b64 s[10:11], vcc, s[2:3]
	v_mov_b64_e32 v[4:5], s[6:7]
	s_and_saveexec_b64 s[2:3], s[10:11]
	s_cbranch_execz .LBB304_7
; %bb.2:
	s_add_i32 s16, s27, -4
	v_mov_b64_e32 v[2:3], s[4:5]
	v_cmp_ne_u32_e32 vcc, s16, v86
	v_mov_b64_e32 v[4:5], s[6:7]
	s_and_saveexec_b64 s[10:11], vcc
	s_cbranch_execz .LBB304_6
; %bb.3:
	v_subrev_u32_e32 v1, s16, v86
	v_cmp_lt_u32_e32 vcc, 1, v1
	s_mov_b64 s[12:13], 0
	s_mov_b64 s[14:15], 0
	v_cndmask_b32_e32 v6, 1, v1, vcc
	s_mov_b32 s5, s4
	s_mov_b32 s6, s4
	s_mov_b32 s7, s4
.LBB304_4:                              ; =>This Inner Loop Header: Depth=1
	s_cmp_lg_u32 s14, 3
	s_cselect_b32 s7, s7, 0
	s_cmp_lg_u32 s14, 2
	s_cselect_b32 s6, s6, 0
	;; [unrolled: 2-line block ×4, first 2 shown]
	s_add_u32 s14, s14, 1
	s_addc_u32 s15, s15, 0
	v_cmp_eq_u32_e32 vcc, s14, v6
	v_mov_b64_e32 v[2:3], s[4:5]
	s_or_b64 s[12:13], vcc, s[12:13]
	v_mov_b64_e32 v[4:5], s[6:7]
	s_andn2_b64 exec, exec, s[12:13]
	s_cbranch_execnz .LBB304_4
; %bb.5:
	s_or_b64 exec, exec, s[12:13]
	v_mov_b32_e32 v86, s16
.LBB304_6:
	s_or_b64 exec, exec, s[10:11]
.LBB304_7:
	s_or_b64 exec, exec, s[2:3]
	s_lshl_b32 s2, s8, 2
	s_abs_i32 s3, s2
	v_cvt_f32_u32_e32 v1, s3
	s_sub_i32 s6, 0, s3
	s_abs_i32 s5, s27
	s_ashr_i32 s4, s27, 31
	v_rcp_iflag_f32_e32 v1, v1
	s_nop 0
	v_mul_f32_e32 v1, 0x4f7ffffe, v1
	v_cvt_u32_f32_e32 v1, v1
	s_nop 0
	v_readfirstlane_b32 s7, v1
	s_mul_i32 s6, s6, s7
	s_mul_hi_u32 s6, s7, s6
	s_add_i32 s7, s7, s6
	s_mul_hi_u32 s6, s5, s7
	s_mul_i32 s6, s6, s3
	s_sub_i32 s5, s5, s6
	s_sub_i32 s6, s5, s3
	s_cmp_ge_u32 s5, s3
	s_cselect_b32 s5, s6, s5
	s_sub_i32 s6, s5, s3
	s_cmp_ge_u32 s5, s3
	s_cselect_b32 s3, s6, s5
	s_xor_b32 s3, s3, s4
	s_sub_i32 s3, s3, s4
	s_add_i32 s2, s2, s27
	s_sub_i32 s2, s2, s3
	s_cmp_eq_u32 s3, 0
	s_cselect_b32 s33, s27, s2
	v_cmp_gt_u32_e32 vcc, s33, v86
	s_and_b64 exec, exec, vcc
	s_cbranch_execz .LBB304_159
; %bb.8:
	s_load_dwordx8 s[16:23], s[0:1], 0x10
	s_min_u32 s44, s26, 0x1800
	s_cmp_lg_u32 s24, 0
	s_load_dwordx2 s[14:15], s[0:1], 0x30
	s_cselect_b64 s[2:3], -1, 0
	s_cmp_lg_u32 s26, 0
	s_mul_i32 s0, s9, s8
	s_cselect_b64 s[4:5], -1, 0
	s_lshl_b32 s45, s8, 9
	s_add_i32 s46, s24, -8
	s_add_i32 s47, s27, -1
	s_lshl_b32 s48, s0, 2
	s_waitcnt lgkmcnt(0)
	s_cmp_lg_u64 s[22:23], 0
	s_cselect_b64 s[30:31], -1, 0
	s_abs_i32 s6, s17
	v_cvt_f32_u32_e32 v1, s16
	v_cvt_f32_u32_e32 v6, s6
	s_sub_i32 s7, 0, s16
	s_add_i32 s17, s27, -4
	v_rcp_iflag_f32_e32 v1, v1
	v_rcp_iflag_f32_e32 v6, v6
	v_and_b32_e32 v0, 0x3ff, v0
	v_lshlrev_b32_e32 v9, 3, v0
	v_mul_f32_e32 v1, 0x4f7ffffe, v1
	v_mul_f32_e32 v6, 0x4f7ffffe, v6
	v_cvt_u32_f32_e32 v1, v1
	v_cvt_u32_f32_e32 v6, v6
	v_cmp_eq_u32_e64 s[0:1], 63, v0
	v_lshlrev_b32_e32 v0, 4, v0
	v_mul_lo_u32 v8, s7, v1
	s_sub_i32 s7, 0, s6
	v_readfirstlane_b32 s9, v6
	s_mul_i32 s7, s7, s9
	s_mul_hi_u32 s7, s9, s7
	s_add_i32 s9, s9, s7
	s_sub_i32 s7, 1, s6
	s_cmp_lt_u32 s6, 2
	s_cselect_b32 s7, s7, 1
	s_sub_i32 s10, s7, s6
	s_cmp_ge_u32 s7, s6
	s_cselect_b32 s49, s10, s7
	s_lshr_b32 s7, s9, 31
	s_mul_i32 s7, s7, s6
	s_sub_i32 s7, 2, s7
	s_sub_i32 s10, s7, s6
	s_cmp_ge_u32 s7, s6
	s_cselect_b32 s7, s10, s7
	s_sub_i32 s10, s7, s6
	s_cmp_ge_u32 s7, s6
	s_cselect_b32 s50, s10, s7
	s_mul_hi_u32 s7, s9, 3
	s_mul_i32 s7, s7, s6
	s_sub_i32 s7, 3, s7
	s_sub_i32 s10, s7, s6
	s_cmp_ge_u32 s7, s6
	s_cselect_b32 s7, s10, s7
	s_sub_i32 s10, s7, s6
	s_cmp_ge_u32 s7, s6
	s_cselect_b32 s51, s10, s7
	s_lshr_b32 s7, s9, 30
	s_mul_i32 s7, s7, s6
	s_sub_i32 s7, 4, s7
	s_sub_i32 s9, s7, s6
	v_lshl_add_u32 v0, v7, 10, v0
	v_lshl_add_u32 v124, v7, 9, v9
	s_cmp_ge_u32 s7, s6
	scratch_store_dword off, v0, off offset:20 ; 4-byte Folded Spill
	v_lshl_add_u32 v0, s26, 1, v124
	s_cselect_b32 s7, s9, s7
	scratch_store_dword off, v0, off offset:24 ; 4-byte Folded Spill
	v_lshl_add_u32 v0, s26, 2, v124
	s_sub_i32 s9, s7, s6
	scratch_store_dword off, v0, off offset:36 ; 4-byte Folded Spill
	v_add_u32_e32 v0, s26, v124
	v_mul_hi_u32 v8, v1, v8
	s_cmp_ge_u32 s7, s6
	scratch_store_dword off, v0, off offset:40 ; 4-byte Folded Spill
	v_cndmask_b32_e64 v0, 0, 1, s[2:3]
	v_add_u32_e32 v1, v1, v8
	s_cselect_b32 s52, s9, s7
	s_add_u32 s34, s14, 2
	v_cmp_ne_u32_e64 s[2:3], 1, v0
	v_cndmask_b32_e64 v0, 0, 1, s[4:5]
	s_mov_b64 s[28:29], 0
	scratch_store_dword off, v1, off offset:52 ; 4-byte Folded Spill
	v_mov_b32_e32 v1, 0
	s_mul_i32 s49, s49, s16
	s_mul_i32 s50, s50, s16
	;; [unrolled: 1-line block ×4, first 2 shown]
	s_addc_u32 s35, s15, 0
	s_lshl_b32 s53, s44, 3
	s_lshl_b32 s54, s8, 10
	s_mul_i32 s55, s44, 6
	s_lshl_b32 s56, s44, 2
	s_lshl_b32 s57, s44, 1
	v_mad_u64_u32 v[6:7], s[6:7], s26, 3, v[124:125]
	s_mov_b32 s58, 0x7f800000
	s_movk_i32 s59, 0x7fff
	v_cmp_ne_u32_e64 s[4:5], 1, v0
	scratch_store_dword off, v9, off offset:16 ; 4-byte Folded Spill
	scratch_store_dwordx2 off, v[6:7], off offset:28 ; 8-byte Folded Spill
	s_branch .LBB304_12
.LBB304_9:                              ;   in Loop: Header=BB304_12 Depth=1
	s_or_b64 exec, exec, s[10:11]
	v_mov_b32_e32 v86, s17
.LBB304_10:                             ;   in Loop: Header=BB304_12 Depth=1
	s_or_b64 exec, exec, s[8:9]
.LBB304_11:                             ;   in Loop: Header=BB304_12 Depth=1
	s_or_b64 exec, exec, s[36:37]
	v_cmp_le_u32_e32 vcc, s33, v86
	s_or_b64 s[28:29], vcc, s[28:29]
	s_andn2_b64 exec, exec, s[28:29]
	s_cbranch_execz .LBB304_159
.LBB304_12:                             ; =>This Loop Header: Depth=1
                                        ;     Child Loop BB304_16 Depth 2
                                        ;       Child Loop BB304_21 Depth 3
                                        ;     Child Loop BB304_157 Depth 2
	s_and_b64 vcc, exec, s[2:3]
	v_mov_b32_e32 v9, v1
	v_mov_b32_e32 v8, v1
	s_waitcnt vmcnt(16)
	v_mov_b32_e32 v7, v1
	v_mov_b32_e32 v6, v1
	v_mov_b32_e32 v13, v1
	v_mov_b32_e32 v12, v1
	v_mov_b32_e32 v11, v1
	v_mov_b32_e32 v10, v1
	v_mov_b32_e32 v17, v1
	v_mov_b32_e32 v16, v1
	v_mov_b32_e32 v15, v1
	v_mov_b32_e32 v14, v1
	v_mov_b32_e32 v21, v1
	s_waitcnt vmcnt(0)
	v_mov_b32_e32 v20, v1
	v_mov_b32_e32 v19, v1
	;; [unrolled: 1-line block ×67, first 2 shown]
	s_cbranch_vccnz .LBB304_28
; %bb.13:                               ;   in Loop: Header=BB304_12 Depth=1
	v_min_u32_e32 v0, s47, v86
	v_mul_lo_u32 v6, v0, s25
	v_add_u32_e32 v0, 1, v86
	v_mov_b32_e32 v7, v1
	v_min_u32_e32 v0, s47, v0
	scratch_store_dwordx2 off, v[6:7], off  ; 8-byte Folded Spill
	v_mul_lo_u32 v6, v0, s25
	v_add_u32_e32 v0, 2, v86
	v_min_u32_e32 v0, s47, v0
	v_mul_lo_u32 v126, v0, s25
	v_mov_b32_e32 v0, v86
	scratch_store_dwordx2 off, v[0:1], off offset:44 ; 8-byte Folded Spill
	v_add_u32_e32 v0, 3, v86
	v_min_u32_e32 v0, s47, v0
	v_mov_b32_e32 v22, 0
	v_cmp_gt_u32_e64 s[6:7], s27, v86
	scratch_store_dwordx2 off, v[6:7], off offset:8 ; 8-byte Folded Spill
	v_mov_b32_e32 v127, v1
	v_mul_lo_u32 v122, v0, s25
	v_mov_b32_e32 v123, v1
	s_mov_b32 s36, 0
	s_mov_b32 s37, 0
	v_mov_b32_e32 v23, v22
	v_mov_b32_e32 v24, v22
	;; [unrolled: 1-line block ×79, first 2 shown]
	s_branch .LBB304_16
.LBB304_14:                             ;   in Loop: Header=BB304_16 Depth=2
	s_or_b64 exec, exec, s[10:11]
	s_waitcnt vmcnt(3) lgkmcnt(4)
	v_mfma_f32_4x4x4_16b_bf16 v[82:85], v[118:119], v[90:91], v[82:85]
	s_waitcnt vmcnt(2)
	v_mfma_f32_4x4x4_16b_bf16 v[78:81], v[118:119], v[86:87], v[78:81]
	s_waitcnt vmcnt(1)
	;; [unrolled: 2-line block ×3, first 2 shown]
	v_mfma_f32_4x4x4_16b_bf16 v[70:73], v[118:119], v[94:95], v[70:73]
	s_waitcnt lgkmcnt(3)
	v_mfma_f32_4x4x4_16b_bf16 v[66:69], v[110:111], v[90:91], v[66:69]
	v_mfma_f32_4x4x4_16b_bf16 v[62:65], v[110:111], v[86:87], v[62:65]
	v_mfma_f32_4x4x4_16b_bf16 v[58:61], v[110:111], v[98:99], v[58:61]
	v_mfma_f32_4x4x4_16b_bf16 v[54:57], v[110:111], v[94:95], v[54:57]
	s_waitcnt lgkmcnt(2)
	v_mfma_f32_4x4x4_16b_bf16 v[50:53], v[114:115], v[90:91], v[50:53]
	v_mfma_f32_4x4x4_16b_bf16 v[46:49], v[114:115], v[86:87], v[46:49]
	v_mfma_f32_4x4x4_16b_bf16 v[42:45], v[114:115], v[98:99], v[42:45]
	;; [unrolled: 5-line block ×4, first 2 shown]
	v_mfma_f32_4x4x4_16b_bf16 v[6:9], v[102:103], v[94:95], v[6:9]
	v_mfma_f32_4x4x4_16b_bf16 v[82:85], v[120:121], v[92:93], v[82:85]
	;; [unrolled: 1-line block ×21, first 2 shown]
.LBB304_15:                             ;   in Loop: Header=BB304_16 Depth=2
	s_or_b64 exec, exec, s[8:9]
	s_addk_i32 s37, 0x200
	s_cmp_ge_u32 s37, s24
	s_cbranch_scc1 .LBB304_27
.LBB304_16:                             ;   Parent Loop BB304_12 Depth=1
                                        ; =>  This Loop Header: Depth=2
                                        ;       Child Loop BB304_21 Depth 3
	s_cmp_eq_u32 s37, 0
	s_cselect_b64 s[8:9], -1, 0
	s_add_i32 s10, s36, s44
	s_cmp_eq_u32 s37, s10
	s_cselect_b64 s[12:13], -1, 0
	s_or_b64 s[12:13], s[8:9], s[12:13]
	s_andn2_b64 vcc, exec, s[12:13]
	s_cbranch_vccz .LBB304_18
; %bb.17:                               ;   in Loop: Header=BB304_16 Depth=2
	s_and_saveexec_b64 s[8:9], s[6:7]
	s_cbranch_execz .LBB304_15
	s_branch .LBB304_25
.LBB304_18:                             ;   in Loop: Header=BB304_16 Depth=2
	s_and_b64 s[8:9], s[8:9], exec
	s_cselect_b32 s36, s36, s10
	s_and_b64 vcc, exec, s[4:5]
	s_barrier
	s_cbranch_vccnz .LBB304_24
; %bb.19:                               ;   in Loop: Header=BB304_16 Depth=2
	scratch_load_dword v0, off, off offset:24 ; 4-byte Folded Reload
	scratch_load_dwordx2 v[88:89], off, off offset:28 ; 8-byte Folded Reload
	scratch_load_dword v91, off, off offset:20 ; 4-byte Folded Reload
	v_add_u32_e32 v90, s36, v124
	s_mov_b32 s38, 0
	s_mov_b64 s[10:11], 0
                                        ; implicit-def: $sgpr12_sgpr13
	s_waitcnt vmcnt(2)
	v_add_u32_e32 v86, s36, v0
	scratch_load_dword v0, off, off offset:36 ; 4-byte Folded Reload
	s_waitcnt vmcnt(2)
	v_add_u32_e32 v87, s36, v88
	s_waitcnt vmcnt(0)
	v_add_u32_e32 v88, s36, v0
	scratch_load_dword v0, off, off offset:40 ; 4-byte Folded Reload
	s_waitcnt vmcnt(0)
	v_add_u32_e32 v89, s36, v0
	s_branch .LBB304_21
.LBB304_20:                             ;   in Loop: Header=BB304_21 Depth=3
	s_or_b64 exec, exec, s[8:9]
	s_and_b64 s[8:9], exec, s[12:13]
	s_or_b64 s[10:11], s[8:9], s[10:11]
	s_andn2_b64 exec, exec, s[10:11]
	s_cbranch_execz .LBB304_23
.LBB304_21:                             ;   Parent Loop BB304_12 Depth=1
                                        ;     Parent Loop BB304_16 Depth=2
                                        ; =>    This Inner Loop Header: Depth=3
	v_add_u32_e32 v92, s38, v124
	v_add_u32_e32 v0, s38, v90
	v_cmp_gt_u32_e32 vcc, s26, v0
	v_cmp_gt_u32_e64 s[8:9], s44, v92
	s_and_b64 s[40:41], s[8:9], vcc
	s_or_b64 s[12:13], s[12:13], exec
	s_and_saveexec_b64 s[8:9], s[40:41]
	s_cbranch_execz .LBB304_20
; %bb.22:                               ;   in Loop: Header=BB304_21 Depth=3
	v_lshl_add_u64 v[92:93], v[0:1], 1, s[20:21]
	global_load_dwordx4 v[92:95], v[92:93], off
	v_add_u32_e32 v0, s38, v89
	s_waitcnt vmcnt(0)
	ds_write_b128 v91, v[92:95]
	v_lshl_add_u64 v[92:93], v[0:1], 1, s[20:21]
	global_load_dwordx4 v[92:95], v[92:93], off
	v_add_u32_e32 v0, s57, v91
	s_waitcnt vmcnt(0)
	ds_write2_b64 v0, v[92:93], v[94:95] offset1:1
	v_add_u32_e32 v0, s38, v86
	v_lshl_add_u64 v[92:93], v[0:1], 1, s[20:21]
	global_load_dwordx4 v[92:95], v[92:93], off
	v_add_u32_e32 v0, s56, v91
	s_waitcnt vmcnt(0)
	ds_write2_b32 v0, v92, v93 offset1:1
	ds_write2_b32 v0, v94, v95 offset0:2 offset1:3
	v_add_u32_e32 v0, s38, v87
	v_lshl_add_u64 v[92:93], v[0:1], 1, s[20:21]
	global_load_dwordx4 v[92:95], v[92:93], off
	v_add_u32_e32 v0, s55, v91
	s_waitcnt vmcnt(0)
	ds_write2_b64 v0, v[92:93], v[94:95] offset1:1
	v_add_u32_e32 v0, s38, v88
	v_lshl_add_u64 v[92:93], v[0:1], 1, s[20:21]
	global_load_dwordx4 v[92:95], v[92:93], off
	s_add_i32 s38, s38, s45
	s_cmp_ge_u32 s38, s44
	s_cselect_b64 s[40:41], -1, 0
	s_andn2_b64 s[12:13], s[12:13], exec
	s_and_b64 s[40:41], s[40:41], exec
	v_add_u32_e32 v0, s53, v91
	v_add_u32_e32 v91, s54, v91
	s_or_b64 s[12:13], s[12:13], s[40:41]
	s_waitcnt vmcnt(0)
	ds_write2_b64 v0, v[92:93], v[94:95] offset1:1
	s_branch .LBB304_20
.LBB304_23:                             ;   in Loop: Header=BB304_16 Depth=2
	s_or_b64 exec, exec, s[10:11]
.LBB304_24:                             ;   in Loop: Header=BB304_16 Depth=2
	s_waitcnt lgkmcnt(0)
	s_barrier
	s_and_saveexec_b64 s[8:9], s[6:7]
	s_cbranch_execz .LBB304_15
.LBB304_25:                             ;   in Loop: Header=BB304_16 Depth=2
	scratch_load_dword v0, off, off offset:16 ; 4-byte Folded Reload
	scratch_load_dwordx2 v[88:89], off, off offset:8 ; 8-byte Folded Reload
	scratch_load_dwordx2 v[86:87], off, off ; 8-byte Folded Reload
	v_mov_b32_e32 v104, 0
	v_mov_b32_e32 v105, 0
	;; [unrolled: 1-line block ×20, first 2 shown]
	s_waitcnt vmcnt(2)
	v_add_u32_e32 v125, s37, v0
	v_min_u32_e32 v0, s46, v125
	v_lshl_add_u64 v[94:95], v[0:1], 1, s[18:19]
	s_waitcnt vmcnt(0)
	v_lshl_add_u64 v[86:87], v[86:87], 1, v[94:95]
	v_lshl_add_u64 v[88:89], v[88:89], 1, v[94:95]
	;; [unrolled: 1-line block ×4, first 2 shown]
	global_load_dwordx4 v[90:93], v[86:87], off nt
	s_nop 0
	global_load_dwordx4 v[86:89], v[88:89], off nt
	s_nop 0
	;; [unrolled: 2-line block ×3, first 2 shown]
	global_load_dwordx4 v[94:97], v[94:95], off nt
	v_cmp_gt_u32_e32 vcc, s24, v125
	s_and_saveexec_b64 s[10:11], vcc
	s_cbranch_execz .LBB304_14
; %bb.26:                               ;   in Loop: Header=BB304_16 Depth=2
	v_subrev_u32_e32 v0, s36, v125
	v_lshlrev_b32_e32 v0, 1, v0
	v_add_u32_e32 v102, s57, v0
	ds_read_b128 v[118:121], v0
	ds_read_b128 v[110:113], v102
	v_add_u32_e32 v0, s57, v102
	v_add_u32_e32 v102, s57, v0
	ds_read_b128 v[114:117], v0
	ds_read_b128 v[106:109], v102
	v_add_u32_e32 v0, s57, v102
	ds_read_b128 v[102:105], v0
	s_branch .LBB304_14
.LBB304_27:                             ;   in Loop: Header=BB304_12 Depth=1
	scratch_load_dwordx2 v[86:87], off, off offset:44 ; 8-byte Folded Reload
.LBB304_28:                             ;   in Loop: Header=BB304_12 Depth=1
	s_waitcnt vmcnt(0)
	v_cmp_le_u32_e32 vcc, s27, v86
	s_and_saveexec_b64 s[6:7], vcc
	s_xor_b64 s[6:7], exec, s[6:7]
; %bb.29:                               ;   in Loop: Header=BB304_12 Depth=1
	v_add_u32_e32 v86, s48, v86
                                        ; implicit-def: $vgpr9
                                        ; implicit-def: $vgpr13
                                        ; implicit-def: $vgpr17
                                        ; implicit-def: $vgpr21
                                        ; implicit-def: $vgpr85
                                        ; implicit-def: $vgpr81
                                        ; implicit-def: $vgpr77
                                        ; implicit-def: $vgpr73
                                        ; implicit-def: $vgpr69
                                        ; implicit-def: $vgpr65
                                        ; implicit-def: $vgpr61
                                        ; implicit-def: $vgpr57
                                        ; implicit-def: $vgpr53
                                        ; implicit-def: $vgpr49
                                        ; implicit-def: $vgpr45
                                        ; implicit-def: $vgpr41
                                        ; implicit-def: $vgpr37
                                        ; implicit-def: $vgpr33
                                        ; implicit-def: $vgpr29
                                        ; implicit-def: $vgpr25
; %bb.30:                               ;   in Loop: Header=BB304_12 Depth=1
	s_andn2_saveexec_b64 s[36:37], s[6:7]
	s_cbranch_execz .LBB304_11
; %bb.31:                               ;   in Loop: Header=BB304_12 Depth=1
	v_cvt_i32_f32_e32 v0, v83
	v_cvt_i32_f32_e32 v83, v84
	;; [unrolled: 1-line block ×4, first 2 shown]
	v_cvt_f32_i32_dpp v0, v0 row_shl:1 row_mask:0xf bank_mask:0xf bound_ctrl:1
	v_cvt_f32_i32_dpp v83, v83 row_shl:2 row_mask:0xf bank_mask:0xf bound_ctrl:1
	;; [unrolled: 1-line block ×3, first 2 shown]
	v_cvt_i32_f32_e32 v80, v80
	v_add_f32_e32 v0, v82, v0
	v_add_f32_e32 v0, v0, v83
	;; [unrolled: 1-line block ×3, first 2 shown]
	v_cvt_i32_f32_e32 v82, v0
	v_cvt_i32_f32_e32 v81, v81
	v_cvt_f32_i32_dpp v79, v79 row_shl:1 row_mask:0xf bank_mask:0xf bound_ctrl:1
	v_cvt_f32_i32_dpp v80, v80 row_shl:2 row_mask:0xf bank_mask:0xf bound_ctrl:1
	;; [unrolled: 1-line block ×4, first 2 shown]
	v_add_f32_e32 v78, v78, v79
	v_cvt_i32_f32_e32 v75, v75
	v_add_f32_e32 v0, v0, v82
	v_cvt_i32_f32_e32 v79, v0
	v_add_f32_e32 v78, v78, v80
	v_cvt_i32_f32_e32 v76, v76
	v_add_f32_e32 v78, v78, v81
	v_cvt_i32_f32_e32 v77, v77
	v_cvt_i32_f32_e32 v80, v78
	v_cvt_f32_i32_dpp v79, v79 row_shl:8 row_mask:0xf bank_mask:0xf bound_ctrl:1
	v_cvt_f32_i32_dpp v75, v75 row_shl:1 row_mask:0xf bank_mask:0xf bound_ctrl:1
	;; [unrolled: 1-line block ×5, first 2 shown]
	v_add_f32_e32 v0, v0, v79
	v_cvt_i32_f32_e32 v0, v0
	v_add_f32_e32 v74, v74, v75
	v_add_f32_e32 v74, v74, v76
	;; [unrolled: 1-line block ×4, first 2 shown]
	v_cvt_i32_f32_e32 v75, v74
	v_cvt_f32_i32_dpp v0, v0 row_shr:15 row_mask:0xf bank_mask:0xf bound_ctrl:1
	v_cvt_i32_f32_e32 v79, v78
	v_cvt_i32_f32_e32 v71, v71
	v_cvt_f32_i32_dpp v75, v75 row_shl:4 row_mask:0xf bank_mask:0xf bound_ctrl:1
	v_cvt_i32_f32_e32 v76, v0
	v_cvt_f32_i32_dpp v77, v79 row_shl:8 row_mask:0xf bank_mask:0xf bound_ctrl:1
	v_cvt_i32_f32_e32 v72, v72
	v_add_f32_e32 v75, v74, v75
	v_cvt_i32_f32_e32 v73, v73
	v_cvt_f32_i32_dpp v76, v76 row_bcast:15 row_mask:0xf bank_mask:0xf bound_ctrl:1
	v_add_f32_e32 v77, v78, v77
	v_cvt_i32_f32_e32 v78, v75
	v_cvt_f32_i32_dpp v71, v71 row_shl:1 row_mask:0xf bank_mask:0xf bound_ctrl:1
	v_cvt_f32_i32_dpp v72, v72 row_shl:2 row_mask:0xf bank_mask:0xf bound_ctrl:1
	;; [unrolled: 1-line block ×3, first 2 shown]
	v_add_f32_e32 v74, v0, v76
	v_cvt_f32_i32_dpp v76, v78 row_shl:8 row_mask:0xf bank_mask:0xf bound_ctrl:1
	v_cvt_i32_f32_e32 v77, v77
	v_add_f32_e32 v70, v70, v71
	v_add_f32_e32 v70, v70, v72
	;; [unrolled: 1-line block ×4, first 2 shown]
	v_cvt_i32_f32_e32 v71, v70
	v_cvt_f32_i32_dpp v0, v77 row_shr:15 row_mask:0xf bank_mask:0xf bound_ctrl:1
	v_cvt_i32_f32_e32 v75, v75
	v_cvt_i32_f32_e32 v67, v67
	v_cvt_i32_f32_e32 v68, v68
	v_cvt_i32_f32_e32 v69, v69
	v_cvt_f32_i32_dpp v76, v71 row_shl:4 row_mask:0xf bank_mask:0xf bound_ctrl:1
	v_cvt_i32_f32_e32 v72, v74
	v_cvt_i32_f32_e32 v73, v0
	v_cvt_f32_i32_dpp v75, v75 row_shr:15 row_mask:0xf bank_mask:0xf bound_ctrl:1
	v_cvt_f32_i32_dpp v67, v67 row_shl:1 row_mask:0xf bank_mask:0xf bound_ctrl:1
	v_cvt_f32_i32_dpp v68, v68 row_shl:2 row_mask:0xf bank_mask:0xf bound_ctrl:1
	;; [unrolled: 1-line block ×3, first 2 shown]
	v_add_f32_e32 v76, v70, v76
	v_mov_b32_dpp v71, v72 row_bcast:31 row_mask:0xf bank_mask:0xf bound_ctrl:1
	v_cvt_f32_i32_dpp v72, v73 row_bcast:15 row_mask:0xf bank_mask:0xf bound_ctrl:1
	v_cvt_i32_f32_e32 v73, v75
	v_cvt_i32_f32_e32 v77, v76
	v_add_f32_e32 v66, v66, v67
	v_add_f32_e32 v66, v66, v68
	v_cvt_i32_f32_e32 v63, v63
	v_add_f32_e32 v68, v66, v69
	v_cvt_i32_f32_e32 v64, v64
	v_cvt_i32_f32_e32 v69, v68
	;; [unrolled: 1-line block ×3, first 2 shown]
	v_add_f32_e32 v70, v0, v72
	v_cvt_f32_i32_dpp v72, v73 row_bcast:15 row_mask:0xf bank_mask:0xf bound_ctrl:1
	v_cvt_f32_i32_dpp v73, v77 row_shl:8 row_mask:0xf bank_mask:0xf bound_ctrl:1
	v_cvt_f32_i32_dpp v63, v63 row_shl:1 row_mask:0xf bank_mask:0xf bound_ctrl:1
	;; [unrolled: 1-line block ×5, first 2 shown]
	v_add_f32_e32 v73, v76, v73
	v_cvt_i32_f32_e32 v0, v70
	v_cvt_i32_f32_e32 v73, v73
	v_add_f32_e32 v62, v62, v63
	v_add_f32_e32 v62, v62, v64
	v_add_f32_e32 v68, v68, v69
	v_add_f32_e32 v62, v62, v65
	v_cvt_i32_f32_e32 v69, v68
	v_cvt_i32_f32_e32 v63, v62
	v_mov_b32_dpp v67, v0 row_bcast:31 row_mask:0xf bank_mask:0xf bound_ctrl:1
	v_cvt_f32_i32_dpp v0, v73 row_shr:15 row_mask:0xf bank_mask:0xf bound_ctrl:1
	v_cvt_f32_i32_dpp v65, v69 row_shl:8 row_mask:0xf bank_mask:0xf bound_ctrl:1
	v_cvt_f32_i32_dpp v63, v63 row_shl:4 row_mask:0xf bank_mask:0xf bound_ctrl:1
	v_add_f32_e32 v66, v75, v72
	v_cvt_i32_f32_e32 v64, v0
	v_add_f32_e32 v65, v68, v65
	v_add_f32_e32 v68, v62, v63
	v_cvt_i32_f32_e32 v72, v68
	v_cvt_f32_i32_dpp v64, v64 row_bcast:15 row_mask:0xf bank_mask:0xf bound_ctrl:1
	v_cvt_i32_f32_e32 v59, v59
	v_cvt_i32_f32_e32 v60, v60
	;; [unrolled: 1-line block ×3, first 2 shown]
	v_add_f32_e32 v62, v0, v64
	v_cvt_f32_i32_dpp v64, v72 row_shl:8 row_mask:0xf bank_mask:0xf bound_ctrl:1
	v_cvt_i32_f32_e32 v65, v65
	v_cvt_f32_i32_dpp v59, v59 row_shl:1 row_mask:0xf bank_mask:0xf bound_ctrl:1
	v_cvt_f32_i32_dpp v60, v60 row_shl:2 row_mask:0xf bank_mask:0xf bound_ctrl:1
	;; [unrolled: 1-line block ×3, first 2 shown]
	v_add_f32_e32 v64, v68, v64
	v_cvt_f32_i32_dpp v0, v65 row_shr:15 row_mask:0xf bank_mask:0xf bound_ctrl:1
	v_cvt_i32_f32_e32 v64, v64
	v_add_f32_e32 v58, v58, v59
	v_add_f32_e32 v58, v58, v60
	v_cvt_i32_f32_e32 v55, v55
	v_add_f32_e32 v58, v58, v61
	v_cvt_i32_f32_e32 v56, v56
	v_cvt_i32_f32_e32 v59, v58
	;; [unrolled: 1-line block ×5, first 2 shown]
	v_cvt_f32_i32_dpp v64, v64 row_shr:15 row_mask:0xf bank_mask:0xf bound_ctrl:1
	v_cvt_f32_i32_dpp v55, v55 row_shl:1 row_mask:0xf bank_mask:0xf bound_ctrl:1
	v_cvt_f32_i32_dpp v56, v56 row_shl:2 row_mask:0xf bank_mask:0xf bound_ctrl:1
	;; [unrolled: 1-line block ×4, first 2 shown]
	v_mov_b32_dpp v59, v60 row_bcast:31 row_mask:0xf bank_mask:0xf bound_ctrl:1
	v_cvt_f32_i32_dpp v60, v61 row_bcast:15 row_mask:0xf bank_mask:0xf bound_ctrl:1
	v_cvt_i32_f32_e32 v61, v64
	v_add_f32_e32 v54, v54, v55
	v_cvt_i32_f32_e32 v51, v51
	v_add_f32_e32 v54, v54, v56
	;; [unrolled: 2-line block ×3, first 2 shown]
	v_add_f32_e32 v57, v54, v57
	v_cvt_i32_f32_e32 v53, v53
	v_cvt_i32_f32_e32 v68, v65
	v_add_f32_e32 v58, v0, v60
	v_cvt_f32_i32_dpp v60, v61 row_bcast:15 row_mask:0xf bank_mask:0xf bound_ctrl:1
	v_cvt_i32_f32_e32 v55, v57
	v_cvt_f32_i32_dpp v51, v51 row_shl:1 row_mask:0xf bank_mask:0xf bound_ctrl:1
	v_cvt_f32_i32_dpp v52, v52 row_shl:2 row_mask:0xf bank_mask:0xf bound_ctrl:1
	;; [unrolled: 1-line block ×4, first 2 shown]
	v_add_f32_e32 v54, v64, v60
	v_cvt_f32_i32_dpp v64, v55 row_shl:4 row_mask:0xf bank_mask:0xf bound_ctrl:1
	v_cvt_i32_f32_e32 v60, v54
	v_add_f32_e32 v50, v50, v51
	v_add_f32_e32 v50, v50, v52
	;; [unrolled: 1-line block ×5, first 2 shown]
	v_cvt_i32_f32_e32 v50, v51
	v_cvt_i32_f32_e32 v61, v61
	v_mov_b32_dpp v55, v60 row_bcast:31 row_mask:0xf bank_mask:0xf bound_ctrl:1
	v_cvt_i32_f32_e32 v60, v57
	v_cvt_i32_f32_e32 v47, v47
	v_cvt_f32_i32_dpp v53, v50 row_shl:4 row_mask:0xf bank_mask:0xf bound_ctrl:1
	v_cvt_i32_f32_e32 v48, v48
	v_cvt_i32_f32_e32 v0, v58
	v_cvt_f32_i32_dpp v61, v61 row_shr:15 row_mask:0xf bank_mask:0xf bound_ctrl:1
	v_cvt_f32_i32_dpp v60, v60 row_shl:8 row_mask:0xf bank_mask:0xf bound_ctrl:1
	v_cvt_i32_f32_e32 v49, v49
	v_cvt_f32_i32_dpp v47, v47 row_shl:1 row_mask:0xf bank_mask:0xf bound_ctrl:1
	v_add_f32_e32 v51, v51, v53
	v_cvt_f32_i32_dpp v48, v48 row_shl:2 row_mask:0xf bank_mask:0xf bound_ctrl:1
	v_mov_b32_dpp v56, v0 row_bcast:31 row_mask:0xf bank_mask:0xf bound_ctrl:1
	v_cvt_i32_f32_e32 v0, v61
	v_add_f32_e32 v52, v57, v60
	v_cvt_i32_f32_e32 v53, v51
	v_cvt_f32_i32_dpp v49, v49 row_shl:3 row_mask:0xf bank_mask:0xf bound_ctrl:1
	v_cvt_i32_f32_e32 v52, v52
	v_add_f32_e32 v46, v46, v47
	v_add_f32_e32 v46, v46, v48
	v_cvt_f32_i32_dpp v0, v0 row_bcast:15 row_mask:0xf bank_mask:0xf bound_ctrl:1
	v_cvt_f32_i32_dpp v53, v53 row_shl:8 row_mask:0xf bank_mask:0xf bound_ctrl:1
	v_add_f32_e32 v46, v46, v49
	v_cvt_f32_i32_dpp v52, v52 row_shr:15 row_mask:0xf bank_mask:0xf bound_ctrl:1
	v_cvt_i32_f32_e32 v47, v46
	v_add_f32_e32 v50, v61, v0
	v_add_f32_e32 v49, v51, v53
	v_cvt_i32_f32_e32 v0, v50
	v_cvt_i32_f32_e32 v48, v52
	;; [unrolled: 1-line block ×3, first 2 shown]
	v_cvt_f32_i32_dpp v51, v47 row_shl:4 row_mask:0xf bank_mask:0xf bound_ctrl:1
	v_cvt_i32_f32_e32 v43, v43
	v_mov_b32_dpp v47, v0 row_bcast:31 row_mask:0xf bank_mask:0xf bound_ctrl:1
	v_cvt_f32_i32_dpp v0, v48 row_bcast:15 row_mask:0xf bank_mask:0xf bound_ctrl:1
	v_cvt_f32_i32_dpp v48, v49 row_shr:15 row_mask:0xf bank_mask:0xf bound_ctrl:1
	v_add_f32_e32 v49, v46, v51
	v_cvt_i32_f32_e32 v44, v44
	v_cvt_i32_f32_e32 v51, v49
	;; [unrolled: 1-line block ×3, first 2 shown]
	v_cvt_f32_i32_dpp v43, v43 row_shl:1 row_mask:0xf bank_mask:0xf bound_ctrl:1
	v_cvt_f32_i32_dpp v44, v44 row_shl:2 row_mask:0xf bank_mask:0xf bound_ctrl:1
	;; [unrolled: 1-line block ×4, first 2 shown]
	v_add_f32_e32 v42, v42, v43
	v_add_f32_e32 v42, v42, v44
	v_cvt_i32_f32_e32 v39, v39
	v_add_f32_e32 v46, v52, v0
	v_add_f32_e32 v49, v49, v51
	;; [unrolled: 1-line block ×3, first 2 shown]
	v_cvt_i32_f32_e32 v40, v40
	v_cvt_i32_f32_e32 v0, v46
	;; [unrolled: 1-line block ×6, first 2 shown]
	v_cvt_f32_i32_dpp v39, v39 row_shl:1 row_mask:0xf bank_mask:0xf bound_ctrl:1
	v_cvt_f32_i32_dpp v40, v40 row_shl:2 row_mask:0xf bank_mask:0xf bound_ctrl:1
	v_mov_b32_dpp v43, v0 row_bcast:31 row_mask:0xf bank_mask:0xf bound_ctrl:1
	v_cvt_f32_i32_dpp v0, v49 row_shr:15 row_mask:0xf bank_mask:0xf bound_ctrl:1
	v_cvt_f32_i32_dpp v49, v42 row_shl:4 row_mask:0xf bank_mask:0xf bound_ctrl:1
	v_cvt_f32_i32_dpp v41, v41 row_shl:3 row_mask:0xf bank_mask:0xf bound_ctrl:1
	v_cvt_f32_i32_dpp v45, v52 row_bcast:15 row_mask:0xf bank_mask:0xf bound_ctrl:1
	v_add_f32_e32 v38, v38, v39
	v_add_f32_e32 v38, v38, v40
	;; [unrolled: 1-line block ×5, first 2 shown]
	v_cvt_i32_f32_e32 v48, v0
	v_cvt_i32_f32_e32 v49, v44
	;; [unrolled: 1-line block ×4, first 2 shown]
	v_cvt_f32_i32_dpp v41, v48 row_bcast:15 row_mask:0xf bank_mask:0xf bound_ctrl:1
	v_cvt_f32_i32_dpp v49, v49 row_shl:8 row_mask:0xf bank_mask:0xf bound_ctrl:1
	v_cvt_f32_i32_dpp v48, v38 row_shl:4 row_mask:0xf bank_mask:0xf bound_ctrl:1
	v_cvt_i32_f32_e32 v36, v36
	v_cvt_i32_f32_e32 v37, v37
	v_add_f32_e32 v39, v44, v49
	v_add_f32_e32 v40, v40, v48
	v_cvt_i32_f32_e32 v44, v39
	v_add_f32_e32 v38, v0, v41
	v_cvt_i32_f32_e32 v41, v40
	v_cvt_f32_i32_dpp v35, v35 row_shl:1 row_mask:0xf bank_mask:0xf bound_ctrl:1
	v_cvt_f32_i32_dpp v36, v36 row_shl:2 row_mask:0xf bank_mask:0xf bound_ctrl:1
	;; [unrolled: 1-line block ×3, first 2 shown]
	v_cvt_f32_i32_dpp v0, v44 row_shr:15 row_mask:0xf bank_mask:0xf bound_ctrl:1
	v_cvt_f32_i32_dpp v41, v41 row_shl:8 row_mask:0xf bank_mask:0xf bound_ctrl:1
	v_add_f32_e32 v34, v34, v35
	v_add_f32_e32 v34, v34, v36
	;; [unrolled: 1-line block ×3, first 2 shown]
	v_cvt_i32_f32_e32 v35, v34
	v_cvt_i32_f32_e32 v36, v0
	v_add_f32_e32 v37, v40, v41
	v_cvt_i32_f32_e32 v37, v37
	v_cvt_f32_i32_dpp v35, v35 row_shl:4 row_mask:0xf bank_mask:0xf bound_ctrl:1
	v_cvt_f32_i32_dpp v36, v36 row_bcast:15 row_mask:0xf bank_mask:0xf bound_ctrl:1
	v_cvt_i32_f32_e32 v31, v31
	v_cvt_f32_i32_dpp v37, v37 row_shr:15 row_mask:0xf bank_mask:0xf bound_ctrl:1
	v_cvt_i32_f32_e32 v27, v27
	v_add_f32_e32 v41, v34, v35
	v_add_f32_e32 v34, v0, v36
	v_cvt_i32_f32_e32 v32, v32
	v_cvt_i32_f32_e32 v28, v28
	;; [unrolled: 1-line block ×8, first 2 shown]
	v_cvt_f32_i32_dpp v31, v31 row_shl:1 row_mask:0xf bank_mask:0xf bound_ctrl:1
	v_cvt_f32_i32_dpp v27, v27 row_shl:1 row_mask:0xf bank_mask:0xf bound_ctrl:1
	;; [unrolled: 1-line block ×4, first 2 shown]
	v_mov_b32_dpp v39, v45 row_bcast:31 row_mask:0xf bank_mask:0xf bound_ctrl:1
	v_cvt_f32_i32_dpp v45, v35 row_shl:8 row_mask:0xf bank_mask:0xf bound_ctrl:1
	v_mov_b32_dpp v35, v0 row_bcast:31 row_mask:0xf bank_mask:0xf bound_ctrl:1
	v_cvt_f32_i32_dpp v0, v44 row_bcast:15 row_mask:0xf bank_mask:0xf bound_ctrl:1
	v_cvt_f32_i32_dpp v33, v33 row_shl:3 row_mask:0xf bank_mask:0xf bound_ctrl:1
	v_cvt_f32_i32_dpp v29, v29 row_shl:3 row_mask:0xf bank_mask:0xf bound_ctrl:1
	v_add_f32_e32 v30, v30, v31
	v_add_f32_e32 v26, v26, v27
	;; [unrolled: 1-line block ×7, first 2 shown]
	v_cvt_i32_f32_e32 v40, v38
	v_cvt_i32_f32_e32 v0, v30
	;; [unrolled: 1-line block ×4, first 2 shown]
	v_mov_b32_dpp v36, v40 row_bcast:31 row_mask:0xf bank_mask:0xf bound_ctrl:1
	v_add_f32_e32 v40, v41, v45
	v_mov_b32_dpp v27, v0 row_bcast:31 row_mask:0xf bank_mask:0xf bound_ctrl:1
	v_cvt_f32_i32_dpp v0, v26 row_shl:4 row_mask:0xf bank_mask:0xf bound_ctrl:1
	v_cvt_i32_f32_e32 v40, v40
	v_cvt_i32_f32_e32 v23, v23
	v_cvt_f32_i32_dpp v32, v32 row_shl:4 row_mask:0xf bank_mask:0xf bound_ctrl:1
	v_add_f32_e32 v0, v28, v0
	v_cvt_i32_f32_e32 v24, v24
	v_cvt_f32_i32_dpp v40, v40 row_shr:15 row_mask:0xf bank_mask:0xf bound_ctrl:1
	v_cvt_i32_f32_e32 v25, v25
	v_cvt_i32_f32_e32 v28, v0
	v_cvt_f32_i32_dpp v23, v23 row_shl:1 row_mask:0xf bank_mask:0xf bound_ctrl:1
	v_add_f32_e32 v31, v31, v32
	v_cvt_f32_i32_dpp v24, v24 row_shl:2 row_mask:0xf bank_mask:0xf bound_ctrl:1
	v_cvt_i32_f32_e32 v33, v40
	v_cvt_i32_f32_e32 v32, v31
	v_cvt_f32_i32_dpp v25, v25 row_shl:3 row_mask:0xf bank_mask:0xf bound_ctrl:1
	v_cvt_f32_i32_dpp v28, v28 row_shl:8 row_mask:0xf bank_mask:0xf bound_ctrl:1
	v_add_f32_e32 v22, v22, v23
	v_add_f32_e32 v22, v22, v24
	v_cvt_f32_i32_dpp v29, v33 row_bcast:15 row_mask:0xf bank_mask:0xf bound_ctrl:1
	v_cvt_f32_i32_dpp v32, v32 row_shl:8 row_mask:0xf bank_mask:0xf bound_ctrl:1
	v_add_f32_e32 v22, v22, v25
	v_add_f32_e32 v0, v0, v28
	v_cvt_i32_f32_e32 v23, v22
	v_cvt_i32_f32_e32 v0, v0
	v_cvt_i32_f32_e32 v19, v19
	v_cvt_i32_f32_e32 v20, v20
	v_add_f32_e32 v26, v40, v29
	v_add_f32_e32 v29, v31, v32
	v_cvt_i32_f32_e32 v21, v21
	v_cvt_i32_f32_e32 v29, v29
	v_cvt_f32_i32_dpp v23, v23 row_shl:4 row_mask:0xf bank_mask:0xf bound_ctrl:1
	v_cvt_i32_f32_e32 v25, v26
	v_cvt_f32_i32_dpp v0, v0 row_shr:15 row_mask:0xf bank_mask:0xf bound_ctrl:1
	v_cvt_f32_i32_dpp v19, v19 row_shl:1 row_mask:0xf bank_mask:0xf bound_ctrl:1
	v_cvt_i32_f32_e32 v15, v15
	v_cvt_f32_i32_dpp v20, v20 row_shl:2 row_mask:0xf bank_mask:0xf bound_ctrl:1
	v_cvt_i32_f32_e32 v16, v16
	;; [unrolled: 2-line block ×3, first 2 shown]
	v_cvt_i32_f32_e32 v11, v11
	v_cvt_f32_i32_dpp v24, v29 row_shr:15 row_mask:0xf bank_mask:0xf bound_ctrl:1
	v_add_f32_e32 v29, v22, v23
	v_mov_b32_dpp v23, v25 row_bcast:31 row_mask:0xf bank_mask:0xf bound_ctrl:1
	v_cvt_i32_f32_e32 v25, v0
	v_add_f32_e32 v18, v18, v19
	v_cvt_f32_i32_dpp v15, v15 row_shl:1 row_mask:0xf bank_mask:0xf bound_ctrl:1
	v_cvt_i32_f32_e32 v7, v7
	v_add_f32_e32 v18, v18, v20
	v_cvt_f32_i32_dpp v16, v16 row_shl:2 row_mask:0xf bank_mask:0xf bound_ctrl:1
	v_cvt_i32_f32_e32 v12, v12
	v_cvt_i32_f32_e32 v8, v8
	v_add_f32_e32 v20, v18, v21
	v_cvt_f32_i32_dpp v17, v17 row_shl:3 row_mask:0xf bank_mask:0xf bound_ctrl:1
	v_cvt_f32_i32_dpp v11, v11 row_shl:1 row_mask:0xf bank_mask:0xf bound_ctrl:1
	v_cvt_i32_f32_e32 v13, v13
	v_cvt_i32_f32_e32 v9, v9
	v_cvt_f32_i32_dpp v25, v25 row_bcast:15 row_mask:0xf bank_mask:0xf bound_ctrl:1
	v_cvt_i32_f32_e32 v18, v20
	v_add_f32_e32 v14, v14, v15
	v_cvt_f32_i32_dpp v7, v7 row_shl:1 row_mask:0xf bank_mask:0xf bound_ctrl:1
	v_add_f32_e32 v14, v14, v16
	v_cvt_f32_i32_dpp v12, v12 row_shl:2 row_mask:0xf bank_mask:0xf bound_ctrl:1
	v_cvt_f32_i32_dpp v8, v8 row_shl:2 row_mask:0xf bank_mask:0xf bound_ctrl:1
	v_add_f32_e32 v15, v14, v17
	v_add_f32_e32 v10, v10, v11
	v_cvt_f32_i32_dpp v11, v13 row_shl:3 row_mask:0xf bank_mask:0xf bound_ctrl:1
	v_cvt_f32_i32_dpp v9, v9 row_shl:3 row_mask:0xf bank_mask:0xf bound_ctrl:1
	v_add_f32_e32 v19, v0, v25
	v_cvt_f32_i32_dpp v0, v18 row_shl:4 row_mask:0xf bank_mask:0xf bound_ctrl:1
	v_cvt_i32_f32_e32 v16, v15
	v_add_f32_e32 v6, v6, v7
	v_add_f32_e32 v10, v10, v12
	;; [unrolled: 1-line block ×6, first 2 shown]
	v_cvt_f32_i32_dpp v16, v16 row_shl:4 row_mask:0xf bank_mask:0xf bound_ctrl:1
	v_cvt_i32_f32_e32 v11, v10
	v_cvt_i32_f32_e32 v7, v6
	;; [unrolled: 1-line block ×3, first 2 shown]
	v_add_f32_e32 v15, v15, v16
	v_cvt_f32_i32_dpp v9, v11 row_shl:4 row_mask:0xf bank_mask:0xf bound_ctrl:1
	v_cvt_f32_i32_dpp v7, v7 row_shl:4 row_mask:0xf bank_mask:0xf bound_ctrl:1
	;; [unrolled: 1-line block ×3, first 2 shown]
	v_cvt_i32_f32_e32 v16, v15
	v_add_f32_e32 v9, v10, v9
	v_add_f32_e32 v6, v6, v7
	v_cvt_i32_f32_e32 v28, v24
	v_cvt_i32_f32_e32 v22, v29
	v_add_f32_e32 v0, v0, v20
	v_cvt_f32_i32_dpp v8, v16 row_shl:8 row_mask:0xf bank_mask:0xf bound_ctrl:1
	v_cvt_i32_f32_e32 v10, v9
	v_cvt_i32_f32_e32 v7, v6
	;; [unrolled: 1-line block ×3, first 2 shown]
	v_cvt_f32_i32_dpp v28, v28 row_bcast:15 row_mask:0xf bank_mask:0xf bound_ctrl:1
	v_cvt_f32_i32_dpp v31, v22 row_shl:8 row_mask:0xf bank_mask:0xf bound_ctrl:1
	v_add_f32_e32 v8, v15, v8
	v_cvt_f32_i32_dpp v10, v10 row_shl:8 row_mask:0xf bank_mask:0xf bound_ctrl:1
	v_cvt_f32_i32_dpp v7, v7 row_shl:8 row_mask:0xf bank_mask:0xf bound_ctrl:1
	v_cvt_f32_i32_dpp v0, v0 row_shr:15 row_mask:0xf bank_mask:0xf bound_ctrl:1
	v_cvt_i32_f32_e32 v8, v8
	v_add_f32_e32 v22, v24, v28
	v_add_f32_e32 v28, v29, v31
	;; [unrolled: 1-line block ×4, first 2 shown]
	v_cvt_i32_f32_e32 v28, v28
	v_cvt_i32_f32_e32 v11, v0
	v_cvt_f32_i32_dpp v8, v8 row_shr:15 row_mask:0xf bank_mask:0xf bound_ctrl:1
	v_cvt_i32_f32_e32 v9, v9
	v_cvt_i32_f32_e32 v6, v6
	v_cvt_f32_i32_dpp v28, v28 row_shr:15 row_mask:0xf bank_mask:0xf bound_ctrl:1
	v_cvt_f32_i32_dpp v7, v11 row_bcast:15 row_mask:0xf bank_mask:0xf bound_ctrl:1
	v_cvt_f32_i32_dpp v9, v9 row_shr:15 row_mask:0xf bank_mask:0xf bound_ctrl:1
	v_cvt_i32_f32_e32 v10, v8
	v_cvt_f32_i32_dpp v6, v6 row_shr:15 row_mask:0xf bank_mask:0xf bound_ctrl:1
	v_cvt_i32_f32_e32 v24, v22
	v_cvt_i32_f32_e32 v29, v28
	v_add_f32_e32 v15, v0, v7
	v_cvt_i32_f32_e32 v0, v9
	v_cvt_f32_i32_dpp v7, v10 row_bcast:15 row_mask:0xf bank_mask:0xf bound_ctrl:1
	v_cvt_i32_f32_e32 v10, v6
	v_mov_b32_dpp v21, v24 row_bcast:31 row_mask:0xf bank_mask:0xf bound_ctrl:1
	v_cvt_f32_i32_dpp v24, v29 row_bcast:15 row_mask:0xf bank_mask:0xf bound_ctrl:1
	v_cvt_f32_i32_dpp v0, v0 row_bcast:15 row_mask:0xf bank_mask:0xf bound_ctrl:1
	v_add_f32_e32 v12, v8, v7
	v_cvt_f32_i32_dpp v7, v10 row_bcast:15 row_mask:0xf bank_mask:0xf bound_ctrl:1
	v_add_f32_e32 v18, v28, v24
	v_add_f32_e32 v10, v9, v0
	v_cvt_i32_f32_e32 v69, v66
	v_add_f32_e32 v8, v6, v7
	v_cvt_i32_f32_e32 v25, v19
	v_cvt_i32_f32_e32 v24, v18
	;; [unrolled: 1-line block ×6, first 2 shown]
	v_mov_b32_dpp v63, v69 row_bcast:31 row_mask:0xf bank_mask:0xf bound_ctrl:1
	v_mov_b32_dpp v17, v25 row_bcast:31 row_mask:0xf bank_mask:0xf bound_ctrl:1
	v_mov_b32_dpp v14, v24 row_bcast:31 row_mask:0xf bank_mask:0xf bound_ctrl:1
	v_mov_b32_dpp v16, v11 row_bcast:31 row_mask:0xf bank_mask:0xf bound_ctrl:1
	v_mov_b32_dpp v13, v13 row_bcast:31 row_mask:0xf bank_mask:0xf bound_ctrl:1
	v_mov_b32_dpp v11, v0 row_bcast:31 row_mask:0xf bank_mask:0xf bound_ctrl:1
	v_mov_b32_dpp v9, v6 row_bcast:31 row_mask:0xf bank_mask:0xf bound_ctrl:1
	s_and_saveexec_b64 s[38:39], s[0:1]
	s_cbranch_execz .LBB304_154
; %bb.32:                               ;   in Loop: Header=BB304_12 Depth=1
	s_andn2_b64 vcc, exec, s[30:31]
	v_mov_b32_e32 v57, 0
	v_add_u32_e32 v0, 2, v86
	v_add_u32_e32 v6, 3, v86
	v_mov_b32_e32 v53, 0
	v_mov_b32_e32 v52, 0
	;; [unrolled: 1-line block ×19, first 2 shown]
	s_cbranch_vccnz .LBB304_34
; %bb.33:                               ;   in Loop: Header=BB304_12 Depth=1
	scratch_load_dword v31, off, off offset:52 ; 4-byte Folded Reload
	v_mov_b32_e32 v53, v1
	v_mov_b32_e32 v25, v1
	;; [unrolled: 1-line block ×6, first 2 shown]
	s_waitcnt vmcnt(0)
	v_mul_hi_u32 v7, v86, v31
	v_mul_lo_u32 v7, v7, s16
	v_sub_u32_e32 v7, v86, v7
	v_subrev_u32_e32 v20, s16, v7
	v_cmp_le_u32_e32 vcc, s16, v7
	s_nop 1
	v_cndmask_b32_e32 v7, v7, v20, vcc
	v_subrev_u32_e32 v20, s16, v7
	v_cmp_le_u32_e32 vcc, s16, v7
	s_nop 1
	v_cndmask_b32_e32 v24, v7, v20, vcc
	v_add_u32_e32 v7, 1, v86
	v_mul_hi_u32 v20, v7, v31
	v_mul_lo_u32 v20, v20, s16
	v_sub_u32_e32 v7, v7, v20
	v_subrev_u32_e32 v20, s16, v7
	v_cmp_le_u32_e32 vcc, s16, v7
	v_add_u32_e32 v48, s49, v24
	v_lshl_add_u64 v[28:29], v[24:25], 1, s[22:23]
	v_cndmask_b32_e32 v7, v7, v20, vcc
	v_subrev_u32_e32 v20, s16, v7
	v_cmp_le_u32_e32 vcc, s16, v7
	v_lshl_add_u64 v[48:49], v[48:49], 1, s[22:23]
	s_nop 0
	v_cndmask_b32_e32 v60, v7, v20, vcc
	v_mul_hi_u32 v7, v0, v31
	v_mul_lo_u32 v7, v7, s16
	v_sub_u32_e32 v7, v0, v7
	v_subrev_u32_e32 v20, s16, v7
	v_cmp_le_u32_e32 vcc, s16, v7
	v_add_u32_e32 v52, s49, v60
	v_lshl_add_u64 v[72:73], v[52:53], 1, s[22:23]
	v_cndmask_b32_e32 v7, v7, v20, vcc
	v_subrev_u32_e32 v20, s16, v7
	v_cmp_le_u32_e32 vcc, s16, v7
	v_lshl_add_u64 v[32:33], v[60:61], 1, s[22:23]
	s_nop 0
	v_cndmask_b32_e32 v64, v7, v20, vcc
	;; [unrolled: 13-line block ×3, first 2 shown]
	v_lshl_add_u64 v[44:45], v[68:69], 1, s[22:23]
	v_add_u32_e32 v52, s49, v68
	v_lshl_add_u64 v[78:79], v[52:53], 1, s[22:23]
	global_load_ushort v57, v[28:29], off
	global_load_ushort v53, v[32:33], off
	;; [unrolled: 1-line block ×5, first 2 shown]
	s_nop 0
	global_load_ushort v49, v[72:73], off
	global_load_ushort v48, v[76:77], off
	;; [unrolled: 1-line block ×3, first 2 shown]
	v_add_u32_e32 v40, s50, v64
	v_mov_b32_e32 v41, v1
	v_lshl_add_u64 v[72:73], v[40:41], 1, s[22:23]
	v_add_u32_e32 v40, s50, v68
	v_lshl_add_u64 v[76:77], v[40:41], 1, s[22:23]
	v_add_u32_e32 v40, s51, v24
	v_lshl_add_u64 v[78:79], v[40:41], 1, s[22:23]
	v_add_u32_e32 v40, s51, v60
	v_add_u32_e32 v28, s50, v24
	v_mov_b32_e32 v29, v1
	v_add_u32_e32 v32, s50, v60
	v_mov_b32_e32 v33, v1
	v_lshl_add_u64 v[80:81], v[40:41], 1, s[22:23]
	v_add_u32_e32 v40, s51, v64
	v_lshl_add_u64 v[28:29], v[28:29], 1, s[22:23]
	v_lshl_add_u64 v[32:33], v[32:33], 1, s[22:23]
	;; [unrolled: 1-line block ×3, first 2 shown]
	v_add_u32_e32 v40, s51, v68
	v_lshl_add_u64 v[84:85], v[40:41], 1, s[22:23]
	global_load_ushort v44, v[28:29], off
	global_load_ushort v41, v[32:33], off
	;; [unrolled: 1-line block ×4, first 2 shown]
	s_nop 0
	global_load_ushort v33, v[78:79], off
	global_load_ushort v32, v[80:81], off
	;; [unrolled: 1-line block ×4, first 2 shown]
	v_add_u32_e32 v24, s52, v24
	v_lshl_add_u64 v[24:25], v[24:25], 1, s[22:23]
	v_add_u32_e32 v60, s52, v60
	v_add_u32_e32 v64, s52, v64
	;; [unrolled: 1-line block ×3, first 2 shown]
	v_lshl_add_u64 v[60:61], v[60:61], 1, s[22:23]
	v_lshl_add_u64 v[64:65], v[64:65], 1, s[22:23]
	;; [unrolled: 1-line block ×3, first 2 shown]
	global_load_ushort v28, v[24:25], off
	s_nop 0
	global_load_ushort v25, v[60:61], off
	global_load_ushort v24, v[64:65], off
	;; [unrolled: 1-line block ×3, first 2 shown]
.LBB304_34:                             ;   in Loop: Header=BB304_12 Depth=1
	v_cmp_ne_u32_e32 vcc, 0, v2
	s_and_saveexec_b64 s[8:9], vcc
	s_cbranch_execnz .LBB304_54
; %bb.35:                               ;   in Loop: Header=BB304_12 Depth=1
	s_or_b64 exec, exec, s[8:9]
	v_cmp_ne_u32_e64 s[6:7], 0, v3
	s_and_saveexec_b64 s[10:11], s[6:7]
	s_cbranch_execnz .LBB304_59
.LBB304_36:                             ;   in Loop: Header=BB304_12 Depth=1
	s_or_b64 exec, exec, s[10:11]
	v_cmp_ne_u32_e64 s[8:9], 0, v4
	s_and_saveexec_b64 s[12:13], s[8:9]
	s_cbranch_execnz .LBB304_64
.LBB304_37:                             ;   in Loop: Header=BB304_12 Depth=1
	s_or_b64 exec, exec, s[12:13]
	v_cmp_ne_u32_e64 s[10:11], 0, v5
	s_and_saveexec_b64 s[40:41], s[10:11]
	s_cbranch_execnz .LBB304_69
.LBB304_38:                             ;   in Loop: Header=BB304_12 Depth=1
	s_or_b64 exec, exec, s[40:41]
	v_add_u32_e32 v0, s27, v86
	s_and_saveexec_b64 s[40:41], vcc
	s_cbranch_execnz .LBB304_74
.LBB304_39:                             ;   in Loop: Header=BB304_12 Depth=1
	s_or_b64 exec, exec, s[40:41]
	s_and_saveexec_b64 s[40:41], s[6:7]
	s_cbranch_execnz .LBB304_79
.LBB304_40:                             ;   in Loop: Header=BB304_12 Depth=1
	s_or_b64 exec, exec, s[40:41]
	s_and_saveexec_b64 s[40:41], s[8:9]
	s_cbranch_execnz .LBB304_84
.LBB304_41:                             ;   in Loop: Header=BB304_12 Depth=1
	s_or_b64 exec, exec, s[40:41]
	s_and_saveexec_b64 s[40:41], s[10:11]
	s_cbranch_execnz .LBB304_89
.LBB304_42:                             ;   in Loop: Header=BB304_12 Depth=1
	s_or_b64 exec, exec, s[40:41]
	v_add_u32_e32 v0, s27, v0
	s_and_saveexec_b64 s[40:41], vcc
	s_cbranch_execnz .LBB304_94
.LBB304_43:                             ;   in Loop: Header=BB304_12 Depth=1
	s_or_b64 exec, exec, s[40:41]
	s_and_saveexec_b64 s[40:41], s[6:7]
	s_cbranch_execnz .LBB304_99
.LBB304_44:                             ;   in Loop: Header=BB304_12 Depth=1
	s_or_b64 exec, exec, s[40:41]
	s_and_saveexec_b64 s[40:41], s[8:9]
	s_cbranch_execnz .LBB304_104
.LBB304_45:                             ;   in Loop: Header=BB304_12 Depth=1
	s_or_b64 exec, exec, s[40:41]
	s_and_saveexec_b64 s[40:41], s[10:11]
	s_cbranch_execnz .LBB304_109
.LBB304_46:                             ;   in Loop: Header=BB304_12 Depth=1
	s_or_b64 exec, exec, s[40:41]
	v_add_u32_e32 v0, s27, v0
	s_and_saveexec_b64 s[40:41], vcc
	s_cbranch_execnz .LBB304_114
.LBB304_47:                             ;   in Loop: Header=BB304_12 Depth=1
	s_or_b64 exec, exec, s[40:41]
	s_and_saveexec_b64 s[40:41], s[6:7]
	s_cbranch_execnz .LBB304_119
.LBB304_48:                             ;   in Loop: Header=BB304_12 Depth=1
	s_or_b64 exec, exec, s[40:41]
	s_and_saveexec_b64 s[40:41], s[8:9]
	s_cbranch_execnz .LBB304_124
.LBB304_49:                             ;   in Loop: Header=BB304_12 Depth=1
	s_or_b64 exec, exec, s[40:41]
	s_and_saveexec_b64 s[40:41], s[10:11]
	s_cbranch_execnz .LBB304_129
.LBB304_50:                             ;   in Loop: Header=BB304_12 Depth=1
	s_or_b64 exec, exec, s[40:41]
	v_add_u32_e32 v0, s27, v0
	s_and_saveexec_b64 s[12:13], vcc
	s_cbranch_execnz .LBB304_134
.LBB304_51:                             ;   in Loop: Header=BB304_12 Depth=1
	s_or_b64 exec, exec, s[12:13]
	s_and_saveexec_b64 s[12:13], s[6:7]
	s_cbranch_execnz .LBB304_139
.LBB304_52:                             ;   in Loop: Header=BB304_12 Depth=1
	s_or_b64 exec, exec, s[12:13]
	s_and_saveexec_b64 s[6:7], s[8:9]
	s_cbranch_execnz .LBB304_144
.LBB304_53:                             ;   in Loop: Header=BB304_12 Depth=1
	s_or_b64 exec, exec, s[6:7]
	s_and_b64 exec, exec, s[10:11]
	s_cbranch_execnz .LBB304_149
	s_branch .LBB304_154
.LBB304_54:                             ;   in Loop: Header=BB304_12 Depth=1
	v_cvt_f32_i32_e32 v60, v71
	s_waitcnt vmcnt(19)
	v_lshlrev_b32_e32 v57, 16, v57
	v_add_f32_e32 v60, v74, v60
	v_add_f32_e32 v60, v60, v57
	v_and_b32_e32 v57, 0x7f800000, v60
	v_cmp_ne_u32_e64 s[6:7], s58, v57
                                        ; implicit-def: $vgpr57
	s_and_saveexec_b64 s[10:11], s[6:7]
	s_xor_b64 s[6:7], exec, s[10:11]
; %bb.55:                               ;   in Loop: Header=BB304_12 Depth=1
	v_bfe_u32 v57, v60, 16, 1
	v_add3_u32 v57, v60, v57, s59
                                        ; implicit-def: $vgpr60
; %bb.56:                               ;   in Loop: Header=BB304_12 Depth=1
	s_andn2_saveexec_b64 s[10:11], s[6:7]
; %bb.57:                               ;   in Loop: Header=BB304_12 Depth=1
	v_or_b32_e32 v57, 0x10000, v60
	v_cmp_eq_u32_sdwa s[6:7], v60, v1 src0_sel:WORD_0 src1_sel:DWORD
	s_nop 1
	v_cndmask_b32_e64 v57, v57, v60, s[6:7]
; %bb.58:                               ;   in Loop: Header=BB304_12 Depth=1
	s_or_b64 exec, exec, s[10:11]
	v_mov_b32_e32 v87, v1
	v_lshl_add_u64 v[60:61], v[86:87], 1, s[14:15]
	global_store_short_d16_hi v[60:61], v57, off
	s_or_b64 exec, exec, s[8:9]
	v_cmp_ne_u32_e64 s[6:7], 0, v3
	s_and_saveexec_b64 s[10:11], s[6:7]
	s_cbranch_execz .LBB304_36
.LBB304_59:                             ;   in Loop: Header=BB304_12 Depth=1
	s_waitcnt vmcnt(19)
	v_cvt_f32_i32_e32 v57, v67
	s_waitcnt vmcnt(18)
	v_lshlrev_b32_e32 v53, 16, v53
	v_add_f32_e32 v57, v70, v57
	v_add_f32_e32 v57, v57, v53
	v_and_b32_e32 v53, 0x7f800000, v57
	v_cmp_ne_u32_e64 s[8:9], s58, v53
                                        ; implicit-def: $vgpr53
	s_and_saveexec_b64 s[12:13], s[8:9]
	s_xor_b64 s[8:9], exec, s[12:13]
; %bb.60:                               ;   in Loop: Header=BB304_12 Depth=1
	v_bfe_u32 v53, v57, 16, 1
	v_add3_u32 v53, v57, v53, s59
                                        ; implicit-def: $vgpr57
; %bb.61:                               ;   in Loop: Header=BB304_12 Depth=1
	s_andn2_saveexec_b64 s[12:13], s[8:9]
; %bb.62:                               ;   in Loop: Header=BB304_12 Depth=1
	v_or_b32_e32 v53, 0x10000, v57
	v_cmp_eq_u32_sdwa s[8:9], v57, v1 src0_sel:WORD_0 src1_sel:DWORD
	s_nop 1
	v_cndmask_b32_e64 v53, v53, v57, s[8:9]
; %bb.63:                               ;   in Loop: Header=BB304_12 Depth=1
	s_or_b64 exec, exec, s[12:13]
	v_mov_b32_e32 v87, v1
	v_lshl_add_u64 v[60:61], v[86:87], 1, s[34:35]
	global_store_short_d16_hi v[60:61], v53, off
	s_or_b64 exec, exec, s[10:11]
	v_cmp_ne_u32_e64 s[8:9], 0, v4
	s_and_saveexec_b64 s[12:13], s[8:9]
	s_cbranch_execz .LBB304_37
.LBB304_64:                             ;   in Loop: Header=BB304_12 Depth=1
	s_waitcnt vmcnt(18)
	v_cvt_f32_i32_e32 v53, v63
	s_waitcnt vmcnt(17)
	v_lshlrev_b32_e32 v52, 16, v52
	v_add_f32_e32 v53, v66, v53
	v_add_f32_e32 v53, v53, v52
	v_and_b32_e32 v52, 0x7f800000, v53
	v_cmp_ne_u32_e64 s[10:11], s58, v52
                                        ; implicit-def: $vgpr52
	s_and_saveexec_b64 s[40:41], s[10:11]
	s_xor_b64 s[10:11], exec, s[40:41]
; %bb.65:                               ;   in Loop: Header=BB304_12 Depth=1
	v_bfe_u32 v52, v53, 16, 1
	v_add3_u32 v52, v53, v52, s59
                                        ; implicit-def: $vgpr53
; %bb.66:                               ;   in Loop: Header=BB304_12 Depth=1
	s_andn2_saveexec_b64 s[40:41], s[10:11]
; %bb.67:                               ;   in Loop: Header=BB304_12 Depth=1
	v_or_b32_e32 v52, 0x10000, v53
	v_cmp_eq_u32_sdwa s[10:11], v53, v1 src0_sel:WORD_0 src1_sel:DWORD
	s_nop 1
	v_cndmask_b32_e64 v52, v52, v53, s[10:11]
; %bb.68:                               ;   in Loop: Header=BB304_12 Depth=1
	s_or_b64 exec, exec, s[40:41]
	v_lshl_add_u64 v[60:61], v[0:1], 1, s[14:15]
	global_store_short_d16_hi v[60:61], v52, off
	s_or_b64 exec, exec, s[12:13]
	v_cmp_ne_u32_e64 s[10:11], 0, v5
	s_and_saveexec_b64 s[40:41], s[10:11]
	s_cbranch_execz .LBB304_38
.LBB304_69:                             ;   in Loop: Header=BB304_12 Depth=1
	v_cvt_f32_i32_e32 v0, v59
	s_waitcnt vmcnt(16)
	v_lshlrev_b32_e32 v7, 16, v7
	v_add_f32_e32 v0, v62, v0
	v_add_f32_e32 v7, v0, v7
	v_and_b32_e32 v0, 0x7f800000, v7
	v_cmp_ne_u32_e64 s[12:13], s58, v0
                                        ; implicit-def: $vgpr0
	s_and_saveexec_b64 s[42:43], s[12:13]
	s_xor_b64 s[12:13], exec, s[42:43]
; %bb.70:                               ;   in Loop: Header=BB304_12 Depth=1
	v_bfe_u32 v0, v7, 16, 1
	v_add3_u32 v0, v7, v0, s59
                                        ; implicit-def: $vgpr7
; %bb.71:                               ;   in Loop: Header=BB304_12 Depth=1
	s_andn2_saveexec_b64 s[42:43], s[12:13]
; %bb.72:                               ;   in Loop: Header=BB304_12 Depth=1
	v_or_b32_e32 v0, 0x10000, v7
	v_cmp_eq_u32_sdwa s[12:13], v7, v1 src0_sel:WORD_0 src1_sel:DWORD
	s_nop 1
	v_cndmask_b32_e64 v0, v0, v7, s[12:13]
; %bb.73:                               ;   in Loop: Header=BB304_12 Depth=1
	s_or_b64 exec, exec, s[42:43]
	v_mov_b32_e32 v7, v1
	v_lshl_add_u64 v[6:7], v[6:7], 1, s[14:15]
	global_store_short_d16_hi v[6:7], v0, off
	s_or_b64 exec, exec, s[40:41]
	v_add_u32_e32 v0, s27, v86
	s_and_saveexec_b64 s[40:41], vcc
	s_cbranch_execz .LBB304_39
.LBB304_74:                             ;   in Loop: Header=BB304_12 Depth=1
	v_cvt_f32_i32_e32 v6, v56
	s_waitcnt vmcnt(15)
	v_lshlrev_b32_e32 v7, 16, v51
	v_add_f32_e32 v6, v58, v6
	v_add_f32_e32 v7, v6, v7
	v_and_b32_e32 v6, 0x7f800000, v7
	v_cmp_ne_u32_e64 s[12:13], s58, v6
                                        ; implicit-def: $vgpr6
	s_and_saveexec_b64 s[42:43], s[12:13]
	s_xor_b64 s[12:13], exec, s[42:43]
; %bb.75:                               ;   in Loop: Header=BB304_12 Depth=1
	v_bfe_u32 v6, v7, 16, 1
	v_add3_u32 v6, v7, v6, s59
                                        ; implicit-def: $vgpr7
; %bb.76:                               ;   in Loop: Header=BB304_12 Depth=1
	s_andn2_saveexec_b64 s[42:43], s[12:13]
; %bb.77:                               ;   in Loop: Header=BB304_12 Depth=1
	v_or_b32_e32 v6, 0x10000, v7
	v_cmp_eq_u32_sdwa s[12:13], v7, v1 src0_sel:WORD_0 src1_sel:DWORD
	s_nop 1
	v_cndmask_b32_e64 v6, v6, v7, s[12:13]
; %bb.78:                               ;   in Loop: Header=BB304_12 Depth=1
	s_or_b64 exec, exec, s[42:43]
	v_lshl_add_u64 v[52:53], v[0:1], 1, s[14:15]
	global_store_short_d16_hi v[52:53], v6, off
	s_or_b64 exec, exec, s[40:41]
	s_and_saveexec_b64 s[40:41], s[6:7]
	s_cbranch_execz .LBB304_40
.LBB304_79:                             ;   in Loop: Header=BB304_12 Depth=1
	v_cvt_f32_i32_e32 v6, v55
	s_waitcnt vmcnt(14)
	v_lshlrev_b32_e32 v7, 16, v49
	v_add_f32_e32 v6, v54, v6
	v_add_f32_e32 v7, v6, v7
	v_and_b32_e32 v6, 0x7f800000, v7
	v_cmp_ne_u32_e64 s[12:13], s58, v6
                                        ; implicit-def: $vgpr6
	s_and_saveexec_b64 s[42:43], s[12:13]
	s_xor_b64 s[12:13], exec, s[42:43]
; %bb.80:                               ;   in Loop: Header=BB304_12 Depth=1
	v_bfe_u32 v6, v7, 16, 1
	v_add3_u32 v6, v7, v6, s59
                                        ; implicit-def: $vgpr7
; %bb.81:                               ;   in Loop: Header=BB304_12 Depth=1
	s_andn2_saveexec_b64 s[42:43], s[12:13]
; %bb.82:                               ;   in Loop: Header=BB304_12 Depth=1
	v_or_b32_e32 v6, 0x10000, v7
	v_cmp_eq_u32_sdwa s[12:13], v7, v1 src0_sel:WORD_0 src1_sel:DWORD
	s_nop 1
	v_cndmask_b32_e64 v6, v6, v7, s[12:13]
; %bb.83:                               ;   in Loop: Header=BB304_12 Depth=1
	s_or_b64 exec, exec, s[42:43]
	v_add_u32_e32 v52, 1, v0
	v_mov_b32_e32 v53, v1
	v_lshl_add_u64 v[52:53], v[52:53], 1, s[14:15]
	global_store_short_d16_hi v[52:53], v6, off
	s_or_b64 exec, exec, s[40:41]
	s_and_saveexec_b64 s[40:41], s[8:9]
	s_cbranch_execz .LBB304_41
.LBB304_84:                             ;   in Loop: Header=BB304_12 Depth=1
	v_cvt_f32_i32_e32 v6, v47
	s_waitcnt vmcnt(13)
	v_lshlrev_b32_e32 v7, 16, v48
	v_add_f32_e32 v6, v50, v6
	v_add_f32_e32 v7, v6, v7
	v_and_b32_e32 v6, 0x7f800000, v7
	v_cmp_ne_u32_e64 s[12:13], s58, v6
                                        ; implicit-def: $vgpr6
	s_and_saveexec_b64 s[42:43], s[12:13]
	s_xor_b64 s[12:13], exec, s[42:43]
; %bb.85:                               ;   in Loop: Header=BB304_12 Depth=1
	v_bfe_u32 v6, v7, 16, 1
	v_add3_u32 v6, v7, v6, s59
                                        ; implicit-def: $vgpr7
; %bb.86:                               ;   in Loop: Header=BB304_12 Depth=1
	s_andn2_saveexec_b64 s[42:43], s[12:13]
; %bb.87:                               ;   in Loop: Header=BB304_12 Depth=1
	v_or_b32_e32 v6, 0x10000, v7
	v_cmp_eq_u32_sdwa s[12:13], v7, v1 src0_sel:WORD_0 src1_sel:DWORD
	s_nop 1
	v_cndmask_b32_e64 v6, v6, v7, s[12:13]
; %bb.88:                               ;   in Loop: Header=BB304_12 Depth=1
	s_or_b64 exec, exec, s[42:43]
	v_add_u32_e32 v48, 2, v0
	v_mov_b32_e32 v49, v1
	v_lshl_add_u64 v[48:49], v[48:49], 1, s[14:15]
	global_store_short_d16_hi v[48:49], v6, off
	s_or_b64 exec, exec, s[40:41]
	s_and_saveexec_b64 s[40:41], s[10:11]
	s_cbranch_execz .LBB304_42
.LBB304_89:                             ;   in Loop: Header=BB304_12 Depth=1
	v_cvt_f32_i32_e32 v6, v43
	s_waitcnt vmcnt(12)
	v_lshlrev_b32_e32 v7, 16, v45
	v_add_f32_e32 v6, v46, v6
	v_add_f32_e32 v7, v6, v7
	v_and_b32_e32 v6, 0x7f800000, v7
	v_cmp_ne_u32_e64 s[12:13], s58, v6
                                        ; implicit-def: $vgpr6
	s_and_saveexec_b64 s[42:43], s[12:13]
	s_xor_b64 s[12:13], exec, s[42:43]
; %bb.90:                               ;   in Loop: Header=BB304_12 Depth=1
	v_bfe_u32 v6, v7, 16, 1
	v_add3_u32 v6, v7, v6, s59
                                        ; implicit-def: $vgpr7
; %bb.91:                               ;   in Loop: Header=BB304_12 Depth=1
	s_andn2_saveexec_b64 s[42:43], s[12:13]
; %bb.92:                               ;   in Loop: Header=BB304_12 Depth=1
	v_or_b32_e32 v6, 0x10000, v7
	v_cmp_eq_u32_sdwa s[12:13], v7, v1 src0_sel:WORD_0 src1_sel:DWORD
	s_nop 1
	v_cndmask_b32_e64 v6, v6, v7, s[12:13]
; %bb.93:                               ;   in Loop: Header=BB304_12 Depth=1
	s_or_b64 exec, exec, s[42:43]
	v_add_u32_e32 v46, 3, v0
	v_mov_b32_e32 v47, v1
	v_lshl_add_u64 v[46:47], v[46:47], 1, s[14:15]
	global_store_short_d16_hi v[46:47], v6, off
	s_or_b64 exec, exec, s[40:41]
	v_add_u32_e32 v0, s27, v0
	s_and_saveexec_b64 s[40:41], vcc
	s_cbranch_execz .LBB304_43
.LBB304_94:                             ;   in Loop: Header=BB304_12 Depth=1
	v_cvt_f32_i32_e32 v6, v39
	s_waitcnt vmcnt(11)
	v_lshlrev_b32_e32 v7, 16, v44
	v_add_f32_e32 v6, v42, v6
	v_add_f32_e32 v7, v6, v7
	v_and_b32_e32 v6, 0x7f800000, v7
	v_cmp_ne_u32_e64 s[12:13], s58, v6
                                        ; implicit-def: $vgpr6
	s_and_saveexec_b64 s[42:43], s[12:13]
	s_xor_b64 s[12:13], exec, s[42:43]
; %bb.95:                               ;   in Loop: Header=BB304_12 Depth=1
	v_bfe_u32 v6, v7, 16, 1
	v_add3_u32 v6, v7, v6, s59
                                        ; implicit-def: $vgpr7
; %bb.96:                               ;   in Loop: Header=BB304_12 Depth=1
	s_andn2_saveexec_b64 s[42:43], s[12:13]
; %bb.97:                               ;   in Loop: Header=BB304_12 Depth=1
	v_or_b32_e32 v6, 0x10000, v7
	v_cmp_eq_u32_sdwa s[12:13], v7, v1 src0_sel:WORD_0 src1_sel:DWORD
	s_nop 1
	v_cndmask_b32_e64 v6, v6, v7, s[12:13]
; %bb.98:                               ;   in Loop: Header=BB304_12 Depth=1
	s_or_b64 exec, exec, s[42:43]
	v_lshl_add_u64 v[42:43], v[0:1], 1, s[14:15]
	global_store_short_d16_hi v[42:43], v6, off
	s_or_b64 exec, exec, s[40:41]
	s_and_saveexec_b64 s[40:41], s[6:7]
	s_cbranch_execz .LBB304_44
.LBB304_99:                             ;   in Loop: Header=BB304_12 Depth=1
	v_cvt_f32_i32_e32 v6, v36
	s_waitcnt vmcnt(10)
	v_lshlrev_b32_e32 v7, 16, v41
	v_add_f32_e32 v6, v38, v6
	v_add_f32_e32 v7, v6, v7
	v_and_b32_e32 v6, 0x7f800000, v7
	v_cmp_ne_u32_e64 s[12:13], s58, v6
                                        ; implicit-def: $vgpr6
	s_and_saveexec_b64 s[42:43], s[12:13]
	s_xor_b64 s[12:13], exec, s[42:43]
; %bb.100:                              ;   in Loop: Header=BB304_12 Depth=1
	v_bfe_u32 v6, v7, 16, 1
	v_add3_u32 v6, v7, v6, s59
                                        ; implicit-def: $vgpr7
; %bb.101:                              ;   in Loop: Header=BB304_12 Depth=1
	s_andn2_saveexec_b64 s[42:43], s[12:13]
; %bb.102:                              ;   in Loop: Header=BB304_12 Depth=1
	v_or_b32_e32 v6, 0x10000, v7
	v_cmp_eq_u32_sdwa s[12:13], v7, v1 src0_sel:WORD_0 src1_sel:DWORD
	s_nop 1
	v_cndmask_b32_e64 v6, v6, v7, s[12:13]
; %bb.103:                              ;   in Loop: Header=BB304_12 Depth=1
	s_or_b64 exec, exec, s[42:43]
	v_add_u32_e32 v38, 1, v0
	v_mov_b32_e32 v39, v1
	v_lshl_add_u64 v[38:39], v[38:39], 1, s[14:15]
	global_store_short_d16_hi v[38:39], v6, off
	s_or_b64 exec, exec, s[40:41]
	s_and_saveexec_b64 s[40:41], s[8:9]
	s_cbranch_execz .LBB304_45
.LBB304_104:                            ;   in Loop: Header=BB304_12 Depth=1
	v_cvt_f32_i32_e32 v6, v35
	s_waitcnt vmcnt(9)
	v_lshlrev_b32_e32 v7, 16, v40
	v_add_f32_e32 v6, v34, v6
	v_add_f32_e32 v7, v6, v7
	v_and_b32_e32 v6, 0x7f800000, v7
	v_cmp_ne_u32_e64 s[12:13], s58, v6
                                        ; implicit-def: $vgpr6
	s_and_saveexec_b64 s[42:43], s[12:13]
	s_xor_b64 s[12:13], exec, s[42:43]
; %bb.105:                              ;   in Loop: Header=BB304_12 Depth=1
	v_bfe_u32 v6, v7, 16, 1
	v_add3_u32 v6, v7, v6, s59
                                        ; implicit-def: $vgpr7
; %bb.106:                              ;   in Loop: Header=BB304_12 Depth=1
	s_andn2_saveexec_b64 s[42:43], s[12:13]
; %bb.107:                              ;   in Loop: Header=BB304_12 Depth=1
	v_or_b32_e32 v6, 0x10000, v7
	v_cmp_eq_u32_sdwa s[12:13], v7, v1 src0_sel:WORD_0 src1_sel:DWORD
	s_nop 1
	v_cndmask_b32_e64 v6, v6, v7, s[12:13]
; %bb.108:                              ;   in Loop: Header=BB304_12 Depth=1
	s_or_b64 exec, exec, s[42:43]
	v_add_u32_e32 v34, 2, v0
	v_mov_b32_e32 v35, v1
	v_lshl_add_u64 v[34:35], v[34:35], 1, s[14:15]
	global_store_short_d16_hi v[34:35], v6, off
	s_or_b64 exec, exec, s[40:41]
	s_and_saveexec_b64 s[40:41], s[10:11]
	s_cbranch_execz .LBB304_46
.LBB304_109:                            ;   in Loop: Header=BB304_12 Depth=1
	v_cvt_f32_i32_e32 v6, v27
	s_waitcnt vmcnt(8)
	v_lshlrev_b32_e32 v7, 16, v37
	v_add_f32_e32 v6, v30, v6
	v_add_f32_e32 v7, v6, v7
	v_and_b32_e32 v6, 0x7f800000, v7
	v_cmp_ne_u32_e64 s[12:13], s58, v6
                                        ; implicit-def: $vgpr6
	s_and_saveexec_b64 s[42:43], s[12:13]
	s_xor_b64 s[12:13], exec, s[42:43]
; %bb.110:                              ;   in Loop: Header=BB304_12 Depth=1
	v_bfe_u32 v6, v7, 16, 1
	v_add3_u32 v6, v7, v6, s59
                                        ; implicit-def: $vgpr7
; %bb.111:                              ;   in Loop: Header=BB304_12 Depth=1
	s_andn2_saveexec_b64 s[42:43], s[12:13]
; %bb.112:                              ;   in Loop: Header=BB304_12 Depth=1
	v_or_b32_e32 v6, 0x10000, v7
	v_cmp_eq_u32_sdwa s[12:13], v7, v1 src0_sel:WORD_0 src1_sel:DWORD
	s_nop 1
	v_cndmask_b32_e64 v6, v6, v7, s[12:13]
; %bb.113:                              ;   in Loop: Header=BB304_12 Depth=1
	s_or_b64 exec, exec, s[42:43]
	v_add_u32_e32 v34, 3, v0
	v_mov_b32_e32 v35, v1
	v_lshl_add_u64 v[34:35], v[34:35], 1, s[14:15]
	global_store_short_d16_hi v[34:35], v6, off
	s_or_b64 exec, exec, s[40:41]
	v_add_u32_e32 v0, s27, v0
	s_and_saveexec_b64 s[40:41], vcc
	s_cbranch_execz .LBB304_47
.LBB304_114:                            ;   in Loop: Header=BB304_12 Depth=1
	v_cvt_f32_i32_e32 v6, v23
	s_waitcnt vmcnt(7)
	v_lshlrev_b32_e32 v7, 16, v33
	v_add_f32_e32 v6, v26, v6
	v_add_f32_e32 v7, v6, v7
	v_and_b32_e32 v6, 0x7f800000, v7
	v_cmp_ne_u32_e64 s[12:13], s58, v6
                                        ; implicit-def: $vgpr6
	s_and_saveexec_b64 s[42:43], s[12:13]
	s_xor_b64 s[12:13], exec, s[42:43]
; %bb.115:                              ;   in Loop: Header=BB304_12 Depth=1
	v_bfe_u32 v6, v7, 16, 1
	v_add3_u32 v6, v7, v6, s59
                                        ; implicit-def: $vgpr7
; %bb.116:                              ;   in Loop: Header=BB304_12 Depth=1
	s_andn2_saveexec_b64 s[42:43], s[12:13]
; %bb.117:                              ;   in Loop: Header=BB304_12 Depth=1
	v_or_b32_e32 v6, 0x10000, v7
	v_cmp_eq_u32_sdwa s[12:13], v7, v1 src0_sel:WORD_0 src1_sel:DWORD
	s_nop 1
	v_cndmask_b32_e64 v6, v6, v7, s[12:13]
; %bb.118:                              ;   in Loop: Header=BB304_12 Depth=1
	s_or_b64 exec, exec, s[42:43]
	v_lshl_add_u64 v[26:27], v[0:1], 1, s[14:15]
	global_store_short_d16_hi v[26:27], v6, off
	s_or_b64 exec, exec, s[40:41]
	s_and_saveexec_b64 s[40:41], s[6:7]
	s_cbranch_execz .LBB304_48
.LBB304_119:                            ;   in Loop: Header=BB304_12 Depth=1
	v_cvt_f32_i32_e32 v6, v21
	s_waitcnt vmcnt(6)
	v_lshlrev_b32_e32 v7, 16, v32
	v_add_f32_e32 v6, v22, v6
	v_add_f32_e32 v7, v6, v7
	v_and_b32_e32 v6, 0x7f800000, v7
	v_cmp_ne_u32_e64 s[12:13], s58, v6
                                        ; implicit-def: $vgpr6
	s_and_saveexec_b64 s[42:43], s[12:13]
	s_xor_b64 s[12:13], exec, s[42:43]
; %bb.120:                              ;   in Loop: Header=BB304_12 Depth=1
	v_bfe_u32 v6, v7, 16, 1
	v_add3_u32 v6, v7, v6, s59
                                        ; implicit-def: $vgpr7
; %bb.121:                              ;   in Loop: Header=BB304_12 Depth=1
	s_andn2_saveexec_b64 s[42:43], s[12:13]
; %bb.122:                              ;   in Loop: Header=BB304_12 Depth=1
	v_or_b32_e32 v6, 0x10000, v7
	v_cmp_eq_u32_sdwa s[12:13], v7, v1 src0_sel:WORD_0 src1_sel:DWORD
	s_nop 1
	v_cndmask_b32_e64 v6, v6, v7, s[12:13]
; %bb.123:                              ;   in Loop: Header=BB304_12 Depth=1
	s_or_b64 exec, exec, s[42:43]
	v_add_u32_e32 v22, 1, v0
	v_mov_b32_e32 v23, v1
	v_lshl_add_u64 v[22:23], v[22:23], 1, s[14:15]
	global_store_short_d16_hi v[22:23], v6, off
	s_or_b64 exec, exec, s[40:41]
	s_and_saveexec_b64 s[40:41], s[8:9]
	s_cbranch_execz .LBB304_49
.LBB304_124:                            ;   in Loop: Header=BB304_12 Depth=1
	v_cvt_f32_i32_e32 v6, v17
	s_waitcnt vmcnt(5)
	v_lshlrev_b32_e32 v7, 16, v31
	v_add_f32_e32 v6, v19, v6
	v_add_f32_e32 v7, v6, v7
	v_and_b32_e32 v6, 0x7f800000, v7
	v_cmp_ne_u32_e64 s[12:13], s58, v6
                                        ; implicit-def: $vgpr6
	s_and_saveexec_b64 s[42:43], s[12:13]
	s_xor_b64 s[12:13], exec, s[42:43]
; %bb.125:                              ;   in Loop: Header=BB304_12 Depth=1
	v_bfe_u32 v6, v7, 16, 1
	v_add3_u32 v6, v7, v6, s59
                                        ; implicit-def: $vgpr7
; %bb.126:                              ;   in Loop: Header=BB304_12 Depth=1
	s_andn2_saveexec_b64 s[42:43], s[12:13]
; %bb.127:                              ;   in Loop: Header=BB304_12 Depth=1
	v_or_b32_e32 v6, 0x10000, v7
	v_cmp_eq_u32_sdwa s[12:13], v7, v1 src0_sel:WORD_0 src1_sel:DWORD
	s_nop 1
	v_cndmask_b32_e64 v6, v6, v7, s[12:13]
; %bb.128:                              ;   in Loop: Header=BB304_12 Depth=1
	s_or_b64 exec, exec, s[42:43]
	v_add_u32_e32 v22, 2, v0
	v_mov_b32_e32 v23, v1
	v_lshl_add_u64 v[22:23], v[22:23], 1, s[14:15]
	global_store_short_d16_hi v[22:23], v6, off
	s_or_b64 exec, exec, s[40:41]
	s_and_saveexec_b64 s[40:41], s[10:11]
	s_cbranch_execz .LBB304_50
.LBB304_129:                            ;   in Loop: Header=BB304_12 Depth=1
	v_cvt_f32_i32_e32 v6, v14
	s_waitcnt vmcnt(4)
	v_lshlrev_b32_e32 v7, 16, v29
	v_add_f32_e32 v6, v18, v6
	v_add_f32_e32 v7, v6, v7
	v_and_b32_e32 v6, 0x7f800000, v7
	v_cmp_ne_u32_e64 s[12:13], s58, v6
                                        ; implicit-def: $vgpr6
	s_and_saveexec_b64 s[42:43], s[12:13]
	s_xor_b64 s[12:13], exec, s[42:43]
; %bb.130:                              ;   in Loop: Header=BB304_12 Depth=1
	v_bfe_u32 v6, v7, 16, 1
	v_add3_u32 v6, v7, v6, s59
                                        ; implicit-def: $vgpr7
; %bb.131:                              ;   in Loop: Header=BB304_12 Depth=1
	s_andn2_saveexec_b64 s[42:43], s[12:13]
; %bb.132:                              ;   in Loop: Header=BB304_12 Depth=1
	v_or_b32_e32 v6, 0x10000, v7
	v_cmp_eq_u32_sdwa s[12:13], v7, v1 src0_sel:WORD_0 src1_sel:DWORD
	s_nop 1
	v_cndmask_b32_e64 v6, v6, v7, s[12:13]
; %bb.133:                              ;   in Loop: Header=BB304_12 Depth=1
	s_or_b64 exec, exec, s[42:43]
	v_add_u32_e32 v18, 3, v0
	v_mov_b32_e32 v19, v1
	v_lshl_add_u64 v[18:19], v[18:19], 1, s[14:15]
	global_store_short_d16_hi v[18:19], v6, off
	s_or_b64 exec, exec, s[40:41]
	v_add_u32_e32 v0, s27, v0
	s_and_saveexec_b64 s[12:13], vcc
	s_cbranch_execz .LBB304_51
.LBB304_134:                            ;   in Loop: Header=BB304_12 Depth=1
	v_cvt_f32_i32_e32 v6, v16
	s_waitcnt vmcnt(3)
	v_lshlrev_b32_e32 v7, 16, v28
	v_add_f32_e32 v6, v15, v6
	v_add_f32_e32 v7, v6, v7
	v_and_b32_e32 v6, 0x7f800000, v7
	v_cmp_ne_u32_e32 vcc, s58, v6
                                        ; implicit-def: $vgpr6
	s_and_saveexec_b64 s[40:41], vcc
	s_xor_b64 s[40:41], exec, s[40:41]
; %bb.135:                              ;   in Loop: Header=BB304_12 Depth=1
	v_bfe_u32 v6, v7, 16, 1
	v_add3_u32 v6, v7, v6, s59
                                        ; implicit-def: $vgpr7
; %bb.136:                              ;   in Loop: Header=BB304_12 Depth=1
	s_andn2_saveexec_b64 s[40:41], s[40:41]
; %bb.137:                              ;   in Loop: Header=BB304_12 Depth=1
	v_or_b32_e32 v6, 0x10000, v7
	v_cmp_eq_u32_sdwa vcc, v7, v1 src0_sel:WORD_0 src1_sel:DWORD
	s_nop 1
	v_cndmask_b32_e32 v6, v6, v7, vcc
; %bb.138:                              ;   in Loop: Header=BB304_12 Depth=1
	s_or_b64 exec, exec, s[40:41]
	v_lshl_add_u64 v[14:15], v[0:1], 1, s[14:15]
	global_store_short_d16_hi v[14:15], v6, off
	s_or_b64 exec, exec, s[12:13]
	s_and_saveexec_b64 s[12:13], s[6:7]
	s_cbranch_execz .LBB304_52
.LBB304_139:                            ;   in Loop: Header=BB304_12 Depth=1
	v_cvt_f32_i32_e32 v6, v13
	s_waitcnt vmcnt(2)
	v_lshlrev_b32_e32 v7, 16, v25
	v_add_f32_e32 v6, v12, v6
	v_add_f32_e32 v7, v6, v7
	v_and_b32_e32 v6, 0x7f800000, v7
	v_cmp_ne_u32_e32 vcc, s58, v6
                                        ; implicit-def: $vgpr6
	s_and_saveexec_b64 s[6:7], vcc
	s_xor_b64 s[6:7], exec, s[6:7]
; %bb.140:                              ;   in Loop: Header=BB304_12 Depth=1
	v_bfe_u32 v6, v7, 16, 1
	v_add3_u32 v6, v7, v6, s59
                                        ; implicit-def: $vgpr7
; %bb.141:                              ;   in Loop: Header=BB304_12 Depth=1
	s_andn2_saveexec_b64 s[6:7], s[6:7]
; %bb.142:                              ;   in Loop: Header=BB304_12 Depth=1
	v_or_b32_e32 v6, 0x10000, v7
	v_cmp_eq_u32_sdwa vcc, v7, v1 src0_sel:WORD_0 src1_sel:DWORD
	s_nop 1
	v_cndmask_b32_e32 v6, v6, v7, vcc
; %bb.143:                              ;   in Loop: Header=BB304_12 Depth=1
	s_or_b64 exec, exec, s[6:7]
	v_add_u32_e32 v12, 1, v0
	v_mov_b32_e32 v13, v1
	v_lshl_add_u64 v[12:13], v[12:13], 1, s[14:15]
	global_store_short_d16_hi v[12:13], v6, off
	s_or_b64 exec, exec, s[12:13]
	s_and_saveexec_b64 s[6:7], s[8:9]
	s_cbranch_execz .LBB304_53
.LBB304_144:                            ;   in Loop: Header=BB304_12 Depth=1
	v_cvt_f32_i32_e32 v6, v11
	s_waitcnt vmcnt(1)
	v_lshlrev_b32_e32 v7, 16, v24
	v_add_f32_e32 v6, v10, v6
	v_add_f32_e32 v7, v6, v7
	v_and_b32_e32 v6, 0x7f800000, v7
	v_cmp_ne_u32_e32 vcc, s58, v6
                                        ; implicit-def: $vgpr6
	s_and_saveexec_b64 s[8:9], vcc
	s_xor_b64 s[8:9], exec, s[8:9]
; %bb.145:                              ;   in Loop: Header=BB304_12 Depth=1
	v_bfe_u32 v6, v7, 16, 1
	v_add3_u32 v6, v7, v6, s59
                                        ; implicit-def: $vgpr7
; %bb.146:                              ;   in Loop: Header=BB304_12 Depth=1
	s_andn2_saveexec_b64 s[8:9], s[8:9]
; %bb.147:                              ;   in Loop: Header=BB304_12 Depth=1
	v_or_b32_e32 v6, 0x10000, v7
	v_cmp_eq_u32_sdwa vcc, v7, v1 src0_sel:WORD_0 src1_sel:DWORD
	s_nop 1
	v_cndmask_b32_e32 v6, v6, v7, vcc
; %bb.148:                              ;   in Loop: Header=BB304_12 Depth=1
	s_or_b64 exec, exec, s[8:9]
	v_add_u32_e32 v10, 2, v0
	v_mov_b32_e32 v11, v1
	v_lshl_add_u64 v[10:11], v[10:11], 1, s[14:15]
	global_store_short_d16_hi v[10:11], v6, off
	s_or_b64 exec, exec, s[6:7]
	s_and_b64 exec, exec, s[10:11]
	s_cbranch_execz .LBB304_154
.LBB304_149:                            ;   in Loop: Header=BB304_12 Depth=1
	v_cvt_f32_i32_e32 v6, v9
	s_waitcnt vmcnt(0)
	v_lshlrev_b32_e32 v7, 16, v20
	v_add_f32_e32 v6, v8, v6
	v_add_f32_e32 v7, v6, v7
	v_and_b32_e32 v6, 0x7f800000, v7
	v_cmp_ne_u32_e32 vcc, s58, v6
                                        ; implicit-def: $vgpr6
	s_and_saveexec_b64 s[6:7], vcc
	s_xor_b64 s[6:7], exec, s[6:7]
; %bb.150:                              ;   in Loop: Header=BB304_12 Depth=1
	v_bfe_u32 v6, v7, 16, 1
	v_add3_u32 v6, v7, v6, s59
                                        ; implicit-def: $vgpr7
; %bb.151:                              ;   in Loop: Header=BB304_12 Depth=1
	s_andn2_saveexec_b64 s[6:7], s[6:7]
; %bb.152:                              ;   in Loop: Header=BB304_12 Depth=1
	v_or_b32_e32 v6, 0x10000, v7
	v_cmp_eq_u32_sdwa vcc, v7, v1 src0_sel:WORD_0 src1_sel:DWORD
	s_nop 1
	v_cndmask_b32_e32 v6, v6, v7, vcc
; %bb.153:                              ;   in Loop: Header=BB304_12 Depth=1
	s_or_b64 exec, exec, s[6:7]
	v_add_u32_e32 v0, 3, v0
	v_lshl_add_u64 v[8:9], v[0:1], 1, s[14:15]
	global_store_short_d16_hi v[8:9], v6, off
.LBB304_154:                            ;   in Loop: Header=BB304_12 Depth=1
	s_or_b64 exec, exec, s[38:39]
	v_add_u32_e32 v86, s48, v86
	v_add_u32_e32 v0, 4, v86
	v_cmp_gt_u32_e32 vcc, s27, v86
	v_cmp_le_u32_e64 s[6:7], s27, v0
	s_and_b64 s[6:7], vcc, s[6:7]
	s_and_saveexec_b64 s[8:9], s[6:7]
	s_cbranch_execz .LBB304_10
; %bb.155:                              ;   in Loop: Header=BB304_12 Depth=1
	v_cmp_ne_u32_e32 vcc, s17, v86
	s_and_saveexec_b64 s[10:11], vcc
	s_cbranch_execz .LBB304_9
; %bb.156:                              ;   in Loop: Header=BB304_12 Depth=1
	v_subrev_u32_e32 v0, s17, v86
	v_cmp_lt_u32_e32 vcc, 1, v0
	s_mov_b64 s[12:13], 0
	s_mov_b64 s[38:39], 0
	v_cndmask_b32_e32 v0, 1, v0, vcc
.LBB304_157:                            ;   Parent Loop BB304_12 Depth=1
                                        ; =>  This Inner Loop Header: Depth=2
	s_cmp_lg_u32 s38, 3
	s_cselect_b64 vcc, -1, 0
	s_cmp_lg_u32 s38, 2
	v_cndmask_b32_e32 v5, 0, v5, vcc
	s_cselect_b64 vcc, -1, 0
	s_cmp_lg_u32 s38, 1
	v_cndmask_b32_e32 v4, 0, v4, vcc
	;; [unrolled: 3-line block ×3, first 2 shown]
	s_cselect_b64 vcc, -1, 0
	s_add_u32 s38, s38, 1
	s_addc_u32 s39, s39, 0
	v_cmp_eq_u32_e64 s[6:7], s38, v0
	s_or_b64 s[12:13], s[6:7], s[12:13]
	v_cndmask_b32_e32 v2, 0, v2, vcc
	s_andn2_b64 exec, exec, s[12:13]
	s_cbranch_execnz .LBB304_157
; %bb.158:                              ;   in Loop: Header=BB304_12 Depth=1
	s_or_b64 exec, exec, s[12:13]
	s_branch .LBB304_9
.LBB304_159:
	s_endpgm
	.section	.rodata,"a",@progbits
	.p2align	6, 0x0
	.amdhsa_kernel _Z16wvSplitK_hf_big_I14__hip_bfloat16Li64ELi4ELi16ELi8ELi1ELi5EEviiiiiiPKT_S3_S3_PS1_ii
		.amdhsa_group_segment_fixed_size 65536
		.amdhsa_private_segment_fixed_size 60
		.amdhsa_kernarg_size 64
		.amdhsa_user_sgpr_count 2
		.amdhsa_user_sgpr_dispatch_ptr 0
		.amdhsa_user_sgpr_queue_ptr 0
		.amdhsa_user_sgpr_kernarg_segment_ptr 1
		.amdhsa_user_sgpr_dispatch_id 0
		.amdhsa_user_sgpr_kernarg_preload_length 0
		.amdhsa_user_sgpr_kernarg_preload_offset 0
		.amdhsa_user_sgpr_private_segment_size 0
		.amdhsa_uses_dynamic_stack 0
		.amdhsa_enable_private_segment 1
		.amdhsa_system_sgpr_workgroup_id_x 1
		.amdhsa_system_sgpr_workgroup_id_y 0
		.amdhsa_system_sgpr_workgroup_id_z 0
		.amdhsa_system_sgpr_workgroup_info 0
		.amdhsa_system_vgpr_workitem_id 1
		.amdhsa_next_free_vgpr 128
		.amdhsa_next_free_sgpr 60
		.amdhsa_accum_offset 128
		.amdhsa_reserve_vcc 1
		.amdhsa_float_round_mode_32 0
		.amdhsa_float_round_mode_16_64 0
		.amdhsa_float_denorm_mode_32 3
		.amdhsa_float_denorm_mode_16_64 3
		.amdhsa_dx10_clamp 1
		.amdhsa_ieee_mode 1
		.amdhsa_fp16_overflow 0
		.amdhsa_tg_split 0
		.amdhsa_exception_fp_ieee_invalid_op 0
		.amdhsa_exception_fp_denorm_src 0
		.amdhsa_exception_fp_ieee_div_zero 0
		.amdhsa_exception_fp_ieee_overflow 0
		.amdhsa_exception_fp_ieee_underflow 0
		.amdhsa_exception_fp_ieee_inexact 0
		.amdhsa_exception_int_div_zero 0
	.end_amdhsa_kernel
	.section	.text._Z16wvSplitK_hf_big_I14__hip_bfloat16Li64ELi4ELi16ELi8ELi1ELi5EEviiiiiiPKT_S3_S3_PS1_ii,"axG",@progbits,_Z16wvSplitK_hf_big_I14__hip_bfloat16Li64ELi4ELi16ELi8ELi1ELi5EEviiiiiiPKT_S3_S3_PS1_ii,comdat
.Lfunc_end304:
	.size	_Z16wvSplitK_hf_big_I14__hip_bfloat16Li64ELi4ELi16ELi8ELi1ELi5EEviiiiiiPKT_S3_S3_PS1_ii, .Lfunc_end304-_Z16wvSplitK_hf_big_I14__hip_bfloat16Li64ELi4ELi16ELi8ELi1ELi5EEviiiiiiPKT_S3_S3_PS1_ii
                                        ; -- End function
	.section	.AMDGPU.csdata,"",@progbits
; Kernel info:
; codeLenInByte = 9016
; NumSgprs: 66
; NumVgprs: 128
; NumAgprs: 0
; TotalNumVgprs: 128
; ScratchSize: 60
; MemoryBound: 0
; FloatMode: 240
; IeeeMode: 1
; LDSByteSize: 65536 bytes/workgroup (compile time only)
; SGPRBlocks: 8
; VGPRBlocks: 15
; NumSGPRsForWavesPerEU: 66
; NumVGPRsForWavesPerEU: 128
; AccumOffset: 128
; Occupancy: 4
; WaveLimiterHint : 0
; COMPUTE_PGM_RSRC2:SCRATCH_EN: 1
; COMPUTE_PGM_RSRC2:USER_SGPR: 2
; COMPUTE_PGM_RSRC2:TRAP_HANDLER: 0
; COMPUTE_PGM_RSRC2:TGID_X_EN: 1
; COMPUTE_PGM_RSRC2:TGID_Y_EN: 0
; COMPUTE_PGM_RSRC2:TGID_Z_EN: 0
; COMPUTE_PGM_RSRC2:TIDIG_COMP_CNT: 1
; COMPUTE_PGM_RSRC3_GFX90A:ACCUM_OFFSET: 31
; COMPUTE_PGM_RSRC3_GFX90A:TG_SPLIT: 0
	.section	.text._Z16wvSplitK_hf_sml_I14__hip_bfloat16Li64ELi4ELi16ELi8ELi2ELi5EEviiiiiiPKT_S3_S3_PS1_ii,"axG",@progbits,_Z16wvSplitK_hf_sml_I14__hip_bfloat16Li64ELi4ELi16ELi8ELi2ELi5EEviiiiiiPKT_S3_S3_PS1_ii,comdat
	.protected	_Z16wvSplitK_hf_sml_I14__hip_bfloat16Li64ELi4ELi16ELi8ELi2ELi5EEviiiiiiPKT_S3_S3_PS1_ii ; -- Begin function _Z16wvSplitK_hf_sml_I14__hip_bfloat16Li64ELi4ELi16ELi8ELi2ELi5EEviiiiiiPKT_S3_S3_PS1_ii
	.globl	_Z16wvSplitK_hf_sml_I14__hip_bfloat16Li64ELi4ELi16ELi8ELi2ELi5EEviiiiiiPKT_S3_S3_PS1_ii
	.p2align	8
	.type	_Z16wvSplitK_hf_sml_I14__hip_bfloat16Li64ELi4ELi16ELi8ELi2ELi5EEviiiiiiPKT_S3_S3_PS1_ii,@function
_Z16wvSplitK_hf_sml_I14__hip_bfloat16Li64ELi4ELi16ELi8ELi2ELi5EEviiiiiiPKT_S3_S3_PS1_ii: ; @_Z16wvSplitK_hf_sml_I14__hip_bfloat16Li64ELi4ELi16ELi8ELi2ELi5EEviiiiiiPKT_S3_S3_PS1_ii
; %bb.0:
	s_load_dwordx4 s[4:7], s[0:1], 0x0
	s_load_dwordx2 s[8:9], s[0:1], 0x10
	s_load_dwordx2 s[10:11], s[0:1], 0x28
	v_and_b32_e32 v2, 0x3ff, v0
	v_bfe_u32 v3, v0, 10, 10
	v_lshlrev_b32_e32 v0, 3, v2
	s_waitcnt lgkmcnt(0)
	s_mul_i32 s3, s6, 5
	v_lshl_add_u32 v4, v3, 9, v0
	s_min_u32 s3, s3, 0x8000
	v_cmp_gt_u32_e32 vcc, s3, v4
	scratch_store_dword off, v0, off offset:200 ; 4-byte Folded Spill
	s_and_saveexec_b64 s[12:13], vcc
	s_cbranch_execz .LBB305_3
; %bb.1:
	s_load_dwordx2 s[14:15], s[0:1], 0x20
	v_mov_b32_e32 v7, 0
	v_lshlrev_b32_e32 v6, 10, v3
	v_lshlrev_b32_e32 v8, 4, v2
	v_mov_b32_e32 v9, v7
	v_lshl_add_u64 v[0:1], v[6:7], 0, v[8:9]
	s_waitcnt lgkmcnt(0)
	v_lshl_add_u64 v[0:1], s[14:15], 0, v[0:1]
	v_add_u32_e32 v5, v6, v8
	s_mov_b64 s[14:15], 0
	s_mov_b64 s[16:17], 0x4000
.LBB305_2:                              ; =>This Inner Loop Header: Depth=1
	global_load_dwordx4 v[6:9], v[0:1], off
	v_add_u32_e32 v4, 0x2000, v4
	v_cmp_le_u32_e32 vcc, s3, v4
	v_lshl_add_u64 v[0:1], v[0:1], 0, s[16:17]
	s_or_b64 s[14:15], vcc, s[14:15]
	s_waitcnt vmcnt(0)
	ds_write_b128 v5, v[6:9]
	v_add_u32_e32 v5, 0x4000, v5
	s_andn2_b64 exec, exec, s[14:15]
	s_cbranch_execnz .LBB305_2
.LBB305_3:
	s_or_b64 exec, exec, s[12:13]
	s_load_dwordx2 s[16:17], s[0:1], 0x38
	s_waitcnt lgkmcnt(0)
	s_barrier
	v_cmp_gt_u32_e32 vcc, s16, v3
	s_and_saveexec_b64 s[12:13], vcc
	s_cbranch_execz .LBB305_100
; %bb.4:
	s_mul_i32 s2, s2, s16
	v_add_lshl_u32 v68, s2, v3, 2
	v_cmp_gt_u32_e32 vcc, s7, v68
	s_and_b64 exec, exec, vcc
	s_cbranch_execz .LBB305_100
; %bb.5:
	s_cmp_lg_u32 s4, 0
	s_cselect_b64 s[2:3], -1, 0
	s_add_i32 s24, s4, -8
	s_add_i32 s25, s7, -1
	s_cmp_lg_u64 s[10:11], 0
	s_cselect_b64 s[18:19], -1, 0
	s_abs_i32 s21, s9
	v_cvt_f32_u32_e32 v0, s8
	v_cvt_f32_u32_e32 v1, s21
	s_mul_i32 s20, s16, s17
	s_lshl_b32 s9, s20, 2
	v_rcp_iflag_f32_e32 v0, v0
	v_rcp_iflag_f32_e32 v1, v1
	s_sub_i32 s20, 0, s8
	s_load_dwordx2 s[12:13], s[0:1], 0x18
	s_load_dwordx2 s[14:15], s[0:1], 0x30
	v_mul_f32_e32 v0, 0x4f7ffffe, v0
	v_mul_f32_e32 v1, 0x4f7ffffe, v1
	v_cvt_u32_f32_e32 v0, v0
	v_cvt_u32_f32_e32 v1, v1
	v_cmp_eq_u32_e64 s[0:1], 63, v2
	s_mov_b64 s[16:17], 0
	v_mul_lo_u32 v3, s20, v0
	s_sub_i32 s20, 0, s21
	v_readfirstlane_b32 s22, v1
	s_mul_i32 s20, s20, s22
	s_mul_hi_u32 s20, s22, s20
	s_add_i32 s22, s22, s20
	s_sub_i32 s20, 1, s21
	s_cmp_lt_u32 s21, 2
	s_cselect_b32 s20, s20, 1
	s_sub_i32 s23, s20, s21
	s_cmp_ge_u32 s20, s21
	s_cselect_b32 s26, s23, s20
	s_lshr_b32 s20, s22, 31
	s_mul_i32 s20, s20, s21
	s_sub_i32 s20, 2, s20
	s_sub_i32 s23, s20, s21
	s_cmp_ge_u32 s20, s21
	s_cselect_b32 s20, s23, s20
	s_sub_i32 s23, s20, s21
	s_cmp_ge_u32 s20, s21
	s_cselect_b32 s27, s23, s20
	s_mul_hi_u32 s20, s22, 3
	s_mul_i32 s20, s20, s21
	s_sub_i32 s20, 3, s20
	s_sub_i32 s23, s20, s21
	s_cmp_ge_u32 s20, s21
	s_cselect_b32 s20, s23, s20
	s_sub_i32 s23, s20, s21
	s_cmp_ge_u32 s20, s21
	s_cselect_b32 s28, s23, s20
	s_lshr_b32 s20, s22, 30
	s_mul_i32 s20, s20, s21
	s_sub_i32 s20, 4, s20
	s_sub_i32 s22, s20, s21
	s_cmp_ge_u32 s20, s21
	v_mul_hi_u32 v3, v0, v3
	s_cselect_b32 s20, s22, s20
	v_add_u32_e32 v0, v0, v3
	s_sub_i32 s22, s20, s21
	scratch_store_dword off, v0, off offset:216 ; 4-byte Folded Spill
	s_cmp_ge_u32 s20, s21
	v_lshlrev_b32_e32 v0, 4, v2
	s_cselect_b32 s29, s22, s20
	scratch_store_dword off, v0, off offset:212 ; 4-byte Folded Spill
	v_cndmask_b32_e64 v0, 0, 1, s[2:3]
	v_mov_b32_e32 v17, 0
	s_mul_i32 s26, s26, s8
	s_mul_i32 s27, s27, s8
	s_mul_i32 s28, s28, s8
	s_mul_i32 s29, s29, s8
	s_lshl_b32 s30, s6, 3
	s_mul_i32 s31, s6, 6
	s_lshl_b32 s33, s6, 2
	s_lshl_b32 s6, s6, 1
	v_cmp_ne_u32_e64 s[2:3], 1, v0
	s_mov_b32 s34, 0x7f800000
	s_movk_i32 s35, 0x7fff
	s_branch .LBB305_8
.LBB305_6:                              ;   in Loop: Header=BB305_8 Depth=1
	s_or_b64 exec, exec, s[22:23]
	global_store_short_d16_hi v[0:1], v3, off offset:6
.LBB305_7:                              ;   in Loop: Header=BB305_8 Depth=1
	s_or_b64 exec, exec, s[20:21]
	s_waitcnt vmcnt(1)
	v_add_u32_e32 v68, s9, v68
	v_cmp_le_u32_e32 vcc, s7, v68
	s_or_b64 s[16:17], vcc, s[16:17]
	s_andn2_b64 exec, exec, s[16:17]
	s_cbranch_execz .LBB305_100
.LBB305_8:                              ; =>This Loop Header: Depth=1
                                        ;     Child Loop BB305_10 Depth 2
	scratch_store_dwordx2 off, v[68:69], off offset:204 ; 8-byte Folded Spill
	s_and_b64 vcc, exec, s[2:3]
	s_waitcnt vmcnt(1)
	v_mov_b32_e32 v87, v17
	v_mov_b32_e32 v86, v17
	;; [unrolled: 1-line block ×80, first 2 shown]
	scratch_store_dwordx2 off, v[2:3], off  ; 8-byte Folded Spill
	s_cbranch_vccnz .LBB305_17
; %bb.9:                                ;   in Loop: Header=BB305_8 Depth=1
	scratch_load_dwordx2 v[0:1], off, off offset:204 ; 8-byte Folded Reload
	scratch_load_dword v27, off, off offset:212 ; 4-byte Folded Reload
	scratch_load_dwordx2 v[10:11], off, off ; 8-byte Folded Reload
	v_mov_b32_e32 v7, 0
	s_mov_b32 s36, 0
	v_mov_b32_e32 v6, 0
	v_mov_b32_e32 v46, 0
	;; [unrolled: 1-line block ×45, first 2 shown]
	s_waitcnt vmcnt(2)
	v_mov_b32_e32 v4, v0
	v_min_u32_e32 v0, s25, v4
	s_waitcnt vmcnt(0)
	v_mul_lo_u32 v10, v0, s5
	v_or_b32_e32 v0, 1, v4
	v_min_u32_e32 v0, s25, v0
	v_or_b32_e32 v2, 2, v4
	v_mul_lo_u32 v0, v0, s5
	v_mov_b32_e32 v1, v11
	v_min_u32_e32 v2, s25, v2
	v_or_b32_e32 v4, 3, v4
	v_mul_lo_u32 v2, v2, s5
	v_mov_b32_e32 v3, v11
	v_min_u32_e32 v4, s25, v4
	v_lshlrev_b64 v[0:1], 1, v[0:1]
	v_mul_lo_u32 v4, v4, s5
	v_mov_b32_e32 v5, v11
	scratch_store_dwordx2 off, v[0:1], off offset:176 ; 8-byte Folded Spill
	v_lshlrev_b64 v[0:1], 1, v[2:3]
	scratch_store_dwordx2 off, v[0:1], off offset:184 ; 8-byte Folded Spill
	v_lshlrev_b64 v[0:1], 1, v[4:5]
	scratch_store_dwordx2 off, v[0:1], off offset:192 ; 8-byte Folded Spill
	v_mov_b32_e32 v0, 0
	v_mov_b32_e32 v1, v7
	;; [unrolled: 1-line block ×4, first 2 shown]
	scratch_store_dwordx4 off, v[0:3], off offset:24 ; 16-byte Folded Spill
	v_lshlrev_b64 v[8:9], 1, v[10:11]
	scratch_store_dwordx2 off, v[8:9], off offset:168 ; 8-byte Folded Spill
	v_mov_b32_e32 v0, 0
	scratch_store_dwordx4 off, v[0:3], off offset:40 ; 16-byte Folded Spill
	v_mov_b32_e32 v8, v7
	v_mov_b32_e32 v9, v7
	;; [unrolled: 1-line block ×3, first 2 shown]
	scratch_store_dwordx4 off, v[0:3], off offset:56 ; 16-byte Folded Spill
	s_nop 1
	v_mov_b32_e32 v0, 0
	scratch_store_dwordx4 off, v[0:3], off offset:152 ; 16-byte Folded Spill
	s_nop 1
	v_mov_b32_e32 v0, 0
	;; [unrolled: 3-line block ×5, first 2 shown]
	scratch_store_dwordx4 off, v[6:9], off offset:8 ; 16-byte Folded Spill
	scratch_store_dwordx4 off, v[0:3], off offset:88 ; 16-byte Folded Spill
.LBB305_10:                             ;   Parent Loop BB305_8 Depth=1
                                        ; =>  This Inner Loop Header: Depth=2
	scratch_load_dword v0, off, off offset:200 ; 4-byte Folded Reload
	s_nop 0
	scratch_load_dwordx2 v[12:13], off, off offset:176 ; 8-byte Folded Reload
	scratch_load_dwordx2 v[8:9], off, off offset:168 ; 8-byte Folded Reload
	v_mov_b32_e32 v86, 0
	scratch_store_dwordx4 off, v[42:45], off offset:72 ; 16-byte Folded Spill
	v_mov_b32_e32 v87, 0
	v_mov_b32_e32 v84, 0
	v_mov_b32_e32 v85, 0
	v_mov_b32_e32 v126, 0
	v_mov_b32_e32 v127, 0
	v_mov_b32_e32 v124, 0
	v_mov_b32_e32 v125, 0
	v_mov_b32_e32 v118, 0
	v_mov_b32_e32 v119, 0
	v_mov_b32_e32 v116, 0
	v_mov_b32_e32 v117, 0
	v_mov_b32_e32 v7, 0
	v_mov_b32_e32 v18, 0
	v_mov_b32_e32 v19, 0
	v_mov_b32_e32 v20, 0
	v_mov_b32_e32 v21, 0
	v_mov_b32_e32 v22, 0
	v_mov_b32_e32 v23, 0
	v_mov_b32_e32 v24, 0
	v_mov_b32_e32 v25, 0
	v_mov_b32_e32 v122, 0
	v_mov_b32_e32 v123, 0
	v_mov_b32_e32 v120, 0
	v_mov_b32_e32 v121, 0
	s_waitcnt vmcnt(3)
	v_add_u32_e32 v6, s36, v0
	v_min_u32_e32 v10, s24, v6
	s_waitcnt lgkmcnt(0)
	v_lshl_add_u64 v[0:1], v[10:11], 1, s[12:13]
	s_waitcnt vmcnt(1)
	v_lshl_add_u64 v[2:3], v[0:1], 0, v[8:9]
	v_lshl_add_u64 v[4:5], v[0:1], 0, v[12:13]
	global_load_dwordx4 v[112:115], v[2:3], off nt
	global_load_dwordx4 v[104:107], v[4:5], off nt
	scratch_load_dwordx2 v[14:15], off, off offset:184 ; 8-byte Folded Reload
	scratch_load_dwordx2 v[16:17], off, off offset:192 ; 8-byte Folded Reload
	v_add_u32_e32 v26, 0x200, v6
	v_min_u32_e32 v10, s24, v26
	v_cmp_gt_u32_e32 vcc, s4, v6
	v_mov_b32_e32 v6, 0
	s_waitcnt vmcnt(1)
	v_lshl_add_u64 v[2:3], v[0:1], 0, v[14:15]
	s_waitcnt vmcnt(0)
	v_lshl_add_u64 v[0:1], v[0:1], 0, v[16:17]
	global_load_dwordx4 v[108:111], v[2:3], off nt
	global_load_dwordx4 v[100:103], v[0:1], off nt
	v_mov_b32_e32 v1, v11
	scratch_store_dwordx2 off, v[0:1], off  ; 8-byte Folded Spill
	v_lshl_add_u64 v[0:1], v[10:11], 1, s[12:13]
	v_lshl_add_u64 v[2:3], v[0:1], 0, v[8:9]
	;; [unrolled: 1-line block ×3, first 2 shown]
	global_load_dwordx4 v[92:95], v[2:3], off nt
	global_load_dwordx4 v[88:91], v[4:5], off nt
	v_lshl_add_u64 v[2:3], v[0:1], 0, v[14:15]
	v_lshl_add_u64 v[0:1], v[0:1], 0, v[16:17]
	global_load_dwordx4 v[96:99], v[2:3], off nt
	global_load_dwordx4 v[80:83], v[0:1], off nt
	v_mov_b32_e32 v4, 0
	v_mov_b32_e32 v5, 0
	v_mov_b32_e32 v10, 0
	v_mov_b32_e32 v11, 0
	v_mov_b32_e32 v8, 0
	v_mov_b32_e32 v9, 0
	v_mov_b32_e32 v2, 0
	v_mov_b32_e32 v3, 0
	v_mov_b32_e32 v0, 0
	v_mov_b32_e32 v1, 0
	v_mov_b32_e32 v14, 0
	v_mov_b32_e32 v15, 0
	v_mov_b32_e32 v12, 0
	v_mov_b32_e32 v13, 0
	s_and_saveexec_b64 s[20:21], vcc
	s_cbranch_execz .LBB305_14
; %bb.11:                               ;   in Loop: Header=BB305_10 Depth=2
	v_add_u32_e32 v16, s6, v27
	v_add_u32_e32 v29, s33, v27
	ds_read_b128 v[8:11], v16
	ds_read2_b32 v[24:25], v29 offset1:1
	v_add_u32_e32 v30, s31, v27
	ds_read2_b32 v[22:23], v29 offset0:2 offset1:3
	ds_read_b128 v[4:7], v30
	v_add_u32_e32 v28, s30, v27
	ds_read_b128 v[12:15], v27
	ds_read2_b64 v[124:127], v28 offset1:1
	v_cmp_gt_u32_e32 vcc, s4, v26
	v_mov_b32_e32 v1, 0
	v_mov_b32_e32 v0, 0
	;; [unrolled: 1-line block ×20, first 2 shown]
	s_and_saveexec_b64 s[22:23], vcc
	s_cbranch_execz .LBB305_13
; %bb.12:                               ;   in Loop: Header=BB305_10 Depth=2
	v_add_u32_e32 v20, 0x400, v29
	v_add_u32_e32 v18, 0x408, v29
	ds_read_b128 v[0:3], v27 offset:1024
	ds_read2_b32 v[18:19], v18 offset1:1
	ds_read_b128 v[120:123], v16 offset:1024
	ds_read_b128 v[116:119], v30 offset:1024
	ds_read2_b32 v[20:21], v20 offset1:1
	ds_read2_b64 v[84:87], v28 offset0:128 offset1:129
.LBB305_13:                             ;   in Loop: Header=BB305_10 Depth=2
	s_or_b64 exec, exec, s[22:23]
.LBB305_14:                             ;   in Loop: Header=BB305_10 Depth=2
	s_or_b64 exec, exec, s[20:21]
	scratch_load_dwordx4 v[40:43], off, off offset:152 ; 16-byte Folded Reload
	s_waitcnt vmcnt(6) lgkmcnt(5)
	v_mfma_f32_4x4x4_16b_bf16 v[48:51], v[8:9], v[100:101], v[46:49]
	s_addk_i32 s36, 0x400
	scratch_load_dwordx4 v[44:47], off, off offset:136 ; 16-byte Folded Reload
	v_mfma_f32_4x4x4_16b_bf16 v[60:63], v[8:9], v[112:113], v[60:63]
	v_add_u32_e32 v27, 0x800, v27
	v_mfma_f32_4x4x4_16b_bf16 v[56:59], v[8:9], v[104:105], v[56:59]
	s_cmp_ge_u32 s36, s4
	v_mfma_f32_4x4x4_16b_bf16 v[52:55], v[8:9], v[108:109], v[52:55]
	v_mfma_f32_4x4x4_16b_bf16 v[60:63], v[10:11], v[114:115], v[60:63]
	;; [unrolled: 1-line block ×5, first 2 shown]
	s_waitcnt lgkmcnt(2)
	v_mfma_f32_4x4x4_16b_bf16 v[48:51], v[4:5], v[112:113], v[36:39]
	s_waitcnt lgkmcnt(1)
	v_mfma_f32_4x4x4_16b_bf16 v[28:31], v[12:13], v[112:113], v[76:79]
	v_mfma_f32_4x4x4_16b_bf16 v[36:39], v[6:7], v[114:115], v[48:51]
	;; [unrolled: 1-line block ×9, first 2 shown]
	s_waitcnt lgkmcnt(0)
	v_mfma_f32_4x4x4_16b_bf16 v[76:79], v[124:125], v[104:105], v[32:35]
	scratch_load_dwordx4 v[64:67], off, off offset:104 ; 16-byte Folded Reload
	s_waitcnt vmcnt(2)
	v_mfma_f32_4x4x4_16b_bf16 v[48:51], v[4:5], v[104:105], v[40:43]
	scratch_load_dwordx4 v[32:35], off, off offset:24 ; 16-byte Folded Reload
	s_nop 0
	v_mfma_f32_4x4x4_16b_bf16 v[40:43], v[6:7], v[106:107], v[48:51]
	s_waitcnt vmcnt(2)
	v_mfma_f32_4x4x4_16b_bf16 v[48:51], v[4:5], v[108:109], v[44:47]
	s_waitcnt vmcnt(1)
	v_mfma_f32_4x4x4_16b_bf16 v[64:67], v[124:125], v[112:113], v[64:67]
	v_mfma_f32_4x4x4_16b_bf16 v[44:47], v[6:7], v[110:111], v[48:51]
	s_nop 1
	scratch_load_dwordx4 v[48:51], off, off offset:120 ; 16-byte Folded Reload
	s_waitcnt vmcnt(0)
	v_mfma_f32_4x4x4_16b_bf16 v[48:51], v[4:5], v[100:101], v[48:51]
	s_nop 1
	v_mfma_f32_4x4x4_16b_bf16 v[4:7], v[6:7], v[102:103], v[48:51]
	s_nop 1
	scratch_load_dwordx4 v[48:51], off, off offset:56 ; 16-byte Folded Reload
	s_waitcnt vmcnt(0)
	v_mfma_f32_4x4x4_16b_bf16 v[48:51], v[24:25], v[112:113], v[48:51]
	s_nop 1
	v_mfma_f32_4x4x4_16b_bf16 v[48:51], v[22:23], v[114:115], v[48:51]
	v_mfma_f32_4x4x4_16b_bf16 v[112:115], v[126:127], v[114:115], v[64:67]
	s_nop 0
	scratch_load_dwordx4 v[64:67], off, off offset:40 ; 16-byte Folded Reload
	v_mfma_f32_4x4x4_16b_bf16 v[28:31], v[0:1], v[92:93], v[28:31]
	v_mfma_f32_4x4x4_16b_bf16 v[12:15], v[0:1], v[80:81], v[12:15]
	s_waitcnt vmcnt(0)
	v_mfma_f32_4x4x4_16b_bf16 v[64:67], v[24:25], v[104:105], v[64:67]
	s_nop 1
	v_mfma_f32_4x4x4_16b_bf16 v[64:67], v[22:23], v[106:107], v[64:67]
	v_mfma_f32_4x4x4_16b_bf16 v[104:107], v[126:127], v[106:107], v[76:79]
	v_mfma_f32_4x4x4_16b_bf16 v[76:79], v[24:25], v[108:109], v[32:35]
	v_mfma_f32_4x4x4_16b_bf16 v[14:17], v[2:3], v[82:83], v[12:15]
	s_nop 0
	v_mfma_f32_4x4x4_16b_bf16 v[32:35], v[22:23], v[110:111], v[76:79]
	s_nop 1
	scratch_load_dwordx4 v[76:79], off, off offset:72 ; 16-byte Folded Reload
	s_waitcnt vmcnt(0)
	v_mfma_f32_4x4x4_16b_bf16 v[76:79], v[124:125], v[108:109], v[76:79]
	s_nop 1
	v_mfma_f32_4x4x4_16b_bf16 v[108:111], v[126:127], v[110:111], v[76:79]
	s_nop 1
	scratch_load_dwordx4 v[76:79], off, off offset:88 ; 16-byte Folded Reload
	s_waitcnt vmcnt(0)
	v_mfma_f32_4x4x4_16b_bf16 v[76:79], v[124:125], v[100:101], v[76:79]
	;; [unrolled: 6-line block ×3, first 2 shown]
	s_nop 1
	v_mfma_f32_4x4x4_16b_bf16 v[22:25], v[22:23], v[102:103], v[76:79]
	v_mfma_f32_4x4x4_16b_bf16 v[76:79], v[2:3], v[94:95], v[28:31]
	;; [unrolled: 1-line block ×3, first 2 shown]
	s_nop 1
	v_mfma_f32_4x4x4_16b_bf16 v[72:75], v[2:3], v[90:91], v[28:31]
	v_mfma_f32_4x4x4_16b_bf16 v[28:31], v[0:1], v[96:97], v[68:71]
	s_nop 1
	v_mfma_f32_4x4x4_16b_bf16 v[68:71], v[2:3], v[98:99], v[28:31]
	v_mfma_f32_4x4x4_16b_bf16 v[0:3], v[120:121], v[92:93], v[60:63]
	;; [unrolled: 3-line block ×6, first 2 shown]
	s_nop 1
	v_mfma_f32_4x4x4_16b_bf16 v[0:3], v[18:19], v[94:95], v[0:3]
	s_nop 4
	scratch_store_dwordx4 off, v[0:3], off offset:56 ; 16-byte Folded Spill
	s_nop 1
	v_mfma_f32_4x4x4_16b_bf16 v[0:3], v[20:21], v[88:89], v[64:67]
	s_nop 1
	v_mfma_f32_4x4x4_16b_bf16 v[0:3], v[18:19], v[90:91], v[0:3]
	s_nop 4
	scratch_store_dwordx4 off, v[0:3], off offset:40 ; 16-byte Folded Spill
	s_nop 1
	v_mfma_f32_4x4x4_16b_bf16 v[0:3], v[20:21], v[96:97], v[32:35]
	;; [unrolled: 6-line block ×4, first 2 shown]
	s_nop 1
	v_mfma_f32_4x4x4_16b_bf16 v[36:39], v[118:119], v[94:95], v[0:3]
	v_mfma_f32_4x4x4_16b_bf16 v[0:3], v[116:117], v[88:89], v[40:43]
	s_nop 1
	v_mfma_f32_4x4x4_16b_bf16 v[10:13], v[118:119], v[90:91], v[0:3]
	v_mfma_f32_4x4x4_16b_bf16 v[0:3], v[116:117], v[96:97], v[44:47]
	;; [unrolled: 3-line block ×7, first 2 shown]
	s_nop 1
	v_mfma_f32_4x4x4_16b_bf16 v[84:87], v[86:87], v[82:83], v[0:3]
	s_cbranch_scc1 .LBB305_16
; %bb.15:                               ;   in Loop: Header=BB305_10 Depth=2
	scratch_store_dwordx4 off, v[10:13], off offset:152 ; 16-byte Folded Spill
	scratch_store_dwordx4 off, v[120:123], off offset:136 ; 16-byte Folded Spill
	;; [unrolled: 1-line block ×5, first 2 shown]
	scratch_load_dwordx2 v[10:11], off, off ; 8-byte Folded Reload
	v_mov_b64_e32 v[48:49], v[30:31]
	v_mov_b64_e32 v[66:67], v[16:17]
	;; [unrolled: 1-line block ×4, first 2 shown]
	s_branch .LBB305_10
.LBB305_16:                             ;   in Loop: Header=BB305_8 Depth=1
	scratch_load_dwordx4 v[88:91], off, off offset:8 ; 16-byte Folded Reload
	scratch_load_dwordx4 v[18:21], off, off offset:24 ; 16-byte Folded Reload
	;; [unrolled: 1-line block ×4, first 2 shown]
	v_mov_b64_e32 v[48:49], v[30:31]
	v_mov_b64_e32 v[46:47], v[28:29]
.LBB305_17:                             ;   in Loop: Header=BB305_8 Depth=1
	v_mov_b64_e32 v[26:27], v[36:37]
	v_mov_b64_e32 v[28:29], v[38:39]
	;; [unrolled: 1-line block ×4, first 2 shown]
	; sched_barrier mask(0x00000000)
	v_cvt_i32_f32_e32 v0, v77
	v_cvt_i32_f32_e32 v1, v78
	;; [unrolled: 1-line block ×4, first 2 shown]
	v_cvt_f32_i32_dpp v0, v0 row_shl:1 row_mask:0xf bank_mask:0xf bound_ctrl:1
	v_cvt_f32_i32_dpp v1, v1 row_shl:2 row_mask:0xf bank_mask:0xf bound_ctrl:1
	;; [unrolled: 1-line block ×3, first 2 shown]
	v_cvt_i32_f32_e32 v4, v74
	v_add_f32_e32 v0, v76, v0
	v_add_f32_e32 v0, v0, v1
	;; [unrolled: 1-line block ×3, first 2 shown]
	v_cvt_i32_f32_e32 v1, v0
	v_cvt_i32_f32_e32 v2, v75
	v_cvt_f32_i32_dpp v3, v3 row_shl:1 row_mask:0xf bank_mask:0xf bound_ctrl:1
	v_cvt_f32_i32_dpp v4, v4 row_shl:2 row_mask:0xf bank_mask:0xf bound_ctrl:1
	;; [unrolled: 1-line block ×4, first 2 shown]
	v_add_f32_e32 v3, v72, v3
	v_add_f32_e32 v3, v3, v4
	;; [unrolled: 1-line block ×3, first 2 shown]
	v_cvt_i32_f32_e32 v1, v0
	v_add_f32_e32 v2, v3, v2
	v_cvt_i32_f32_e32 v3, v2
	v_cvt_i32_f32_e32 v5, v69
	v_cvt_f32_i32_dpp v1, v1 row_shl:8 row_mask:0xf bank_mask:0xf bound_ctrl:1
	v_cvt_i32_f32_e32 v4, v70
	v_cvt_i32_f32_e32 v6, v71
	v_cvt_f32_i32_dpp v3, v3 row_shl:4 row_mask:0xf bank_mask:0xf bound_ctrl:1
	v_add_f32_e32 v0, v0, v1
	v_cvt_f32_i32_dpp v1, v5 row_shl:1 row_mask:0xf bank_mask:0xf bound_ctrl:1
	v_cvt_f32_i32_dpp v4, v4 row_shl:2 row_mask:0xf bank_mask:0xf bound_ctrl:1
	v_add_f32_e32 v2, v2, v3
	v_cvt_f32_i32_dpp v3, v6 row_shl:3 row_mask:0xf bank_mask:0xf bound_ctrl:1
	v_cvt_i32_f32_e32 v0, v0
	v_add_f32_e32 v1, v68, v1
	v_add_f32_e32 v1, v1, v4
	;; [unrolled: 1-line block ×3, first 2 shown]
	v_cvt_i32_f32_e32 v3, v1
	v_cvt_f32_i32_dpp v0, v0 row_shr:15 row_mask:0xf bank_mask:0xf bound_ctrl:1
	v_cvt_i32_f32_e32 v5, v2
	v_cvt_i32_f32_e32 v6, v17
	v_cvt_f32_i32_dpp v3, v3 row_shl:4 row_mask:0xf bank_mask:0xf bound_ctrl:1
	v_cvt_i32_f32_e32 v4, v0
	v_cvt_f32_i32_dpp v5, v5 row_shl:8 row_mask:0xf bank_mask:0xf bound_ctrl:1
	v_cvt_i32_f32_e32 v8, v63
	v_add_f32_e32 v1, v1, v3
	v_cvt_f32_i32_dpp v4, v4 row_bcast:15 row_mask:0xf bank_mask:0xf bound_ctrl:1
	v_cvt_i32_f32_e32 v3, v1
	v_add_f32_e32 v2, v2, v5
	v_cvt_i32_f32_e32 v5, v16
	v_add_f32_e32 v0, v0, v4
	v_cvt_f32_i32_dpp v3, v3 row_shl:8 row_mask:0xf bank_mask:0xf bound_ctrl:1
	v_cvt_i32_f32_e32 v4, v15
	v_cvt_i32_f32_e32 v2, v2
	;; [unrolled: 1-line block ×3, first 2 shown]
	v_add_f32_e32 v1, v1, v3
	v_cvt_f32_i32_dpp v3, v4 row_shl:1 row_mask:0xf bank_mask:0xf bound_ctrl:1
	v_cvt_f32_i32_dpp v4, v5 row_shl:2 row_mask:0xf bank_mask:0xf bound_ctrl:1
	;; [unrolled: 1-line block ×3, first 2 shown]
	v_cvt_i32_f32_e32 v1, v1
	v_add_f32_e32 v3, v14, v3
	v_add_f32_e32 v3, v3, v4
	;; [unrolled: 1-line block ×3, first 2 shown]
	v_cvt_i32_f32_e32 v4, v3
	v_cvt_f32_i32_dpp v2, v2 row_shr:15 row_mask:0xf bank_mask:0xf bound_ctrl:1
	v_cvt_f32_i32_dpp v7, v1 row_shr:15 row_mask:0xf bank_mask:0xf bound_ctrl:1
	v_cvt_i32_f32_e32 v5, v0
	v_cvt_f32_i32_dpp v1, v4 row_shl:4 row_mask:0xf bank_mask:0xf bound_ctrl:1
	v_cvt_i32_f32_e32 v6, v2
	v_cvt_i32_f32_e32 v14, v86
	v_mov_b32_dpp v65, v5 row_bcast:31 row_mask:0xf bank_mask:0xf bound_ctrl:1
	v_add_f32_e32 v1, v3, v1
	v_cvt_f32_i32_dpp v4, v6 row_bcast:15 row_mask:0xf bank_mask:0xf bound_ctrl:1
	v_cvt_i32_f32_e32 v5, v7
	v_cvt_i32_f32_e32 v3, v1
	v_cvt_i32_f32_e32 v6, v62
	v_add_f32_e32 v64, v2, v4
	v_cvt_f32_i32_dpp v4, v5 row_bcast:15 row_mask:0xf bank_mask:0xf bound_ctrl:1
	v_cvt_f32_i32_dpp v3, v3 row_shl:8 row_mask:0xf bank_mask:0xf bound_ctrl:1
	v_cvt_i32_f32_e32 v5, v61
	v_cvt_i32_f32_e32 v2, v64
	;; [unrolled: 1-line block ×3, first 2 shown]
	v_add_f32_e32 v1, v1, v3
	v_cvt_f32_i32_dpp v3, v5 row_shl:1 row_mask:0xf bank_mask:0xf bound_ctrl:1
	v_cvt_f32_i32_dpp v5, v6 row_shl:2 row_mask:0xf bank_mask:0xf bound_ctrl:1
	;; [unrolled: 1-line block ×3, first 2 shown]
	v_cvt_i32_f32_e32 v8, v1
	v_add_f32_e32 v1, v60, v3
	v_add_f32_e32 v1, v1, v5
	;; [unrolled: 1-line block ×3, first 2 shown]
	v_cvt_i32_f32_e32 v5, v3
	v_add_f32_e32 v60, v7, v4
	v_cvt_i32_f32_e32 v6, v58
	v_cvt_i32_f32_e32 v7, v59
	v_cvt_f32_i32_dpp v4, v5 row_shl:4 row_mask:0xf bank_mask:0xf bound_ctrl:1
	v_cvt_i32_f32_e32 v5, v57
	v_mov_b32_dpp v1, v2 row_bcast:31 row_mask:0xf bank_mask:0xf bound_ctrl:1
	v_cvt_f32_i32_dpp v2, v8 row_shr:15 row_mask:0xf bank_mask:0xf bound_ctrl:1
	v_add_f32_e32 v3, v3, v4
	v_cvt_f32_i32_dpp v4, v5 row_shl:1 row_mask:0xf bank_mask:0xf bound_ctrl:1
	v_cvt_f32_i32_dpp v5, v6 row_shl:2 row_mask:0xf bank_mask:0xf bound_ctrl:1
	v_cvt_f32_i32_dpp v6, v7 row_shl:3 row_mask:0xf bank_mask:0xf bound_ctrl:1
	v_cvt_i32_f32_e32 v7, v3
	v_add_f32_e32 v4, v56, v4
	v_add_f32_e32 v4, v4, v5
	;; [unrolled: 1-line block ×3, first 2 shown]
	v_cvt_i32_f32_e32 v5, v4
	v_cvt_f32_i32_dpp v7, v7 row_shl:8 row_mask:0xf bank_mask:0xf bound_ctrl:1
	v_cvt_i32_f32_e32 v6, v2
	v_cvt_i32_f32_e32 v8, v60
	v_cvt_f32_i32_dpp v5, v5 row_shl:4 row_mask:0xf bank_mask:0xf bound_ctrl:1
	v_add_f32_e32 v3, v3, v7
	v_cvt_f32_i32_dpp v6, v6 row_bcast:15 row_mask:0xf bank_mask:0xf bound_ctrl:1
	v_cvt_i32_f32_e32 v3, v3
	v_add_f32_e32 v4, v4, v5
	v_cvt_i32_f32_e32 v5, v4
	v_add_f32_e32 v56, v2, v6
	v_cvt_f32_i32_dpp v2, v3 row_shr:15 row_mask:0xf bank_mask:0xf bound_ctrl:1
	v_cvt_i32_f32_e32 v6, v54
	v_cvt_f32_i32_dpp v3, v5 row_shl:8 row_mask:0xf bank_mask:0xf bound_ctrl:1
	v_cvt_i32_f32_e32 v5, v53
	v_cvt_i32_f32_e32 v7, v55
	v_mov_b32_dpp v57, v8 row_bcast:31 row_mask:0xf bank_mask:0xf bound_ctrl:1
	v_add_f32_e32 v3, v4, v3
	v_cvt_f32_i32_dpp v4, v5 row_shl:1 row_mask:0xf bank_mask:0xf bound_ctrl:1
	v_cvt_f32_i32_dpp v5, v6 row_shl:2 row_mask:0xf bank_mask:0xf bound_ctrl:1
	;; [unrolled: 1-line block ×3, first 2 shown]
	v_cvt_i32_f32_e32 v3, v3
	v_add_f32_e32 v4, v52, v4
	v_add_f32_e32 v4, v4, v5
	;; [unrolled: 1-line block ×3, first 2 shown]
	v_cvt_i32_f32_e32 v5, v4
	v_cvt_i32_f32_e32 v6, v56
	;; [unrolled: 1-line block ×3, first 2 shown]
	v_cvt_f32_i32_dpp v3, v3 row_shr:15 row_mask:0xf bank_mask:0xf bound_ctrl:1
	v_cvt_f32_i32_dpp v5, v5 row_shl:4 row_mask:0xf bank_mask:0xf bound_ctrl:1
	v_mov_b32_dpp v53, v6 row_bcast:31 row_mask:0xf bank_mask:0xf bound_ctrl:1
	v_cvt_f32_i32_dpp v6, v7 row_bcast:15 row_mask:0xf bank_mask:0xf bound_ctrl:1
	v_cvt_i32_f32_e32 v7, v3
	v_add_f32_e32 v4, v4, v5
	v_cvt_i32_f32_e32 v5, v4
	v_add_f32_e32 v52, v2, v6
	v_cvt_f32_i32_dpp v6, v7 row_bcast:15 row_mask:0xf bank_mask:0xf bound_ctrl:1
	v_cvt_i32_f32_e32 v7, v47
	v_cvt_f32_i32_dpp v5, v5 row_shl:8 row_mask:0xf bank_mask:0xf bound_ctrl:1
	v_cvt_i32_f32_e32 v8, v48
	v_add_f32_e32 v48, v3, v6
	v_cvt_i32_f32_e32 v3, v48
	v_add_f32_e32 v4, v4, v5
	v_cvt_f32_i32_dpp v5, v7 row_shl:1 row_mask:0xf bank_mask:0xf bound_ctrl:1
	v_cvt_f32_i32_dpp v7, v8 row_shl:2 row_mask:0xf bank_mask:0xf bound_ctrl:1
	;; [unrolled: 1-line block ×3, first 2 shown]
	v_mov_b32_dpp v49, v3 row_bcast:31 row_mask:0xf bank_mask:0xf bound_ctrl:1
	v_add_f32_e32 v5, v46, v5
	v_add_f32_e32 v5, v5, v7
	;; [unrolled: 1-line block ×3, first 2 shown]
	v_cvt_i32_f32_e32 v7, v5
	v_cvt_i32_f32_e32 v4, v4
	;; [unrolled: 1-line block ×3, first 2 shown]
	s_waitcnt vmcnt(2)
	v_cvt_i32_f32_e32 v9, v21
	v_cvt_f32_i32_dpp v6, v7 row_shl:4 row_mask:0xf bank_mask:0xf bound_ctrl:1
	s_waitcnt vmcnt(0)
	v_cvt_i32_f32_e32 v7, v25
	v_cvt_f32_i32_dpp v4, v4 row_shr:15 row_mask:0xf bank_mask:0xf bound_ctrl:1
	v_mov_b32_dpp v50, v2 row_bcast:31 row_mask:0xf bank_mask:0xf bound_ctrl:1
	v_add_f32_e32 v3, v5, v6
	v_cvt_i32_f32_e32 v5, v23
	v_cvt_i32_f32_e32 v6, v24
	v_cvt_f32_i32_dpp v7, v7 row_shl:3 row_mask:0xf bank_mask:0xf bound_ctrl:1
	v_cvt_i32_f32_e32 v2, v4
	v_cvt_f32_i32_dpp v5, v5 row_shl:1 row_mask:0xf bank_mask:0xf bound_ctrl:1
	v_cvt_f32_i32_dpp v6, v6 row_shl:2 row_mask:0xf bank_mask:0xf bound_ctrl:1
	v_cvt_i32_f32_e32 v8, v3
	v_cvt_f32_i32_dpp v2, v2 row_bcast:15 row_mask:0xf bank_mask:0xf bound_ctrl:1
	v_add_f32_e32 v5, v22, v5
	v_add_f32_e32 v5, v5, v6
	;; [unrolled: 1-line block ×3, first 2 shown]
	v_cvt_i32_f32_e32 v6, v5
	v_add_f32_e32 v25, v4, v2
	v_cvt_i32_f32_e32 v7, v99
	v_cvt_f32_i32_dpp v8, v8 row_shl:8 row_mask:0xf bank_mask:0xf bound_ctrl:1
	v_cvt_f32_i32_dpp v6, v6 row_shl:4 row_mask:0xf bank_mask:0xf bound_ctrl:1
	v_cvt_i32_f32_e32 v2, v25
	v_cvt_f32_i32_dpp v7, v7 row_shl:3 row_mask:0xf bank_mask:0xf bound_ctrl:1
	v_add_f32_e32 v3, v3, v8
	v_add_f32_e32 v4, v5, v6
	v_cvt_i32_f32_e32 v5, v97
	v_cvt_i32_f32_e32 v6, v98
	;; [unrolled: 1-line block ×4, first 2 shown]
	v_cvt_f32_i32_dpp v5, v5 row_shl:1 row_mask:0xf bank_mask:0xf bound_ctrl:1
	v_cvt_f32_i32_dpp v6, v6 row_shl:2 row_mask:0xf bank_mask:0xf bound_ctrl:1
	v_cvt_f32_i32_dpp v3, v3 row_shr:15 row_mask:0xf bank_mask:0xf bound_ctrl:1
	v_cvt_f32_i32_dpp v8, v8 row_shl:8 row_mask:0xf bank_mask:0xf bound_ctrl:1
	v_add_f32_e32 v5, v96, v5
	v_add_f32_e32 v5, v5, v6
	;; [unrolled: 1-line block ×3, first 2 shown]
	v_cvt_i32_f32_e32 v6, v5
	v_cvt_i32_f32_e32 v7, v3
	v_mov_b32_dpp v40, v2 row_bcast:31 row_mask:0xf bank_mask:0xf bound_ctrl:1
	v_add_f32_e32 v4, v4, v8
	v_cvt_f32_i32_dpp v6, v6 row_shl:4 row_mask:0xf bank_mask:0xf bound_ctrl:1
	v_cvt_f32_i32_dpp v2, v7 row_bcast:15 row_mask:0xf bank_mask:0xf bound_ctrl:1
	v_cvt_i32_f32_e32 v7, v19
	v_cvt_i32_f32_e32 v8, v20
	v_add_f32_e32 v5, v5, v6
	v_cvt_i32_f32_e32 v6, v5
	v_add_f32_e32 v24, v3, v2
	v_cvt_i32_f32_e32 v2, v24
	v_cvt_i32_f32_e32 v4, v4
	v_cvt_f32_i32_dpp v6, v6 row_shl:8 row_mask:0xf bank_mask:0xf bound_ctrl:1
	v_mov_b32_dpp v36, v2 row_bcast:31 row_mask:0xf bank_mask:0xf bound_ctrl:1
	v_cvt_f32_i32_dpp v4, v4 row_shr:15 row_mask:0xf bank_mask:0xf bound_ctrl:1
	v_add_f32_e32 v5, v5, v6
	v_cvt_f32_i32_dpp v6, v7 row_shl:1 row_mask:0xf bank_mask:0xf bound_ctrl:1
	v_cvt_f32_i32_dpp v7, v8 row_shl:2 row_mask:0xf bank_mask:0xf bound_ctrl:1
	v_cvt_f32_i32_dpp v8, v9 row_shl:3 row_mask:0xf bank_mask:0xf bound_ctrl:1
	v_cvt_i32_f32_e32 v5, v5
	v_add_f32_e32 v6, v18, v6
	v_add_f32_e32 v6, v6, v7
	;; [unrolled: 1-line block ×3, first 2 shown]
	v_cvt_i32_f32_e32 v7, v6
	v_cvt_f32_i32_dpp v2, v5 row_shr:15 row_mask:0xf bank_mask:0xf bound_ctrl:1
	v_cvt_i32_f32_e32 v3, v4
	v_cvt_i32_f32_e32 v8, v91
	v_cvt_f32_i32_dpp v5, v7 row_shl:4 row_mask:0xf bank_mask:0xf bound_ctrl:1
	v_cvt_i32_f32_e32 v7, v90
	v_cvt_f32_i32_dpp v3, v3 row_bcast:15 row_mask:0xf bank_mask:0xf bound_ctrl:1
	v_cvt_f32_i32_dpp v8, v8 row_shl:3 row_mask:0xf bank_mask:0xf bound_ctrl:1
	v_add_f32_e32 v5, v6, v5
	v_cvt_i32_f32_e32 v6, v89
	v_cvt_i32_f32_e32 v9, v5
	v_cvt_f32_i32_dpp v7, v7 row_shl:2 row_mask:0xf bank_mask:0xf bound_ctrl:1
	v_add_f32_e32 v21, v4, v3
	v_cvt_f32_i32_dpp v6, v6 row_shl:1 row_mask:0xf bank_mask:0xf bound_ctrl:1
	v_cvt_i32_f32_e32 v4, v2
	v_cvt_f32_i32_dpp v9, v9 row_shl:8 row_mask:0xf bank_mask:0xf bound_ctrl:1
	v_cvt_i32_f32_e32 v3, v21
	v_add_f32_e32 v6, v88, v6
	v_add_f32_e32 v6, v6, v7
	;; [unrolled: 1-line block ×3, first 2 shown]
	v_cvt_i32_f32_e32 v7, v6
	v_cvt_f32_i32_dpp v4, v4 row_bcast:15 row_mask:0xf bank_mask:0xf bound_ctrl:1
	v_add_f32_e32 v5, v5, v9
	v_cvt_i32_f32_e32 v5, v5
	v_cvt_f32_i32_dpp v7, v7 row_shl:4 row_mask:0xf bank_mask:0xf bound_ctrl:1
	v_add_f32_e32 v18, v2, v4
	v_cvt_i32_f32_e32 v4, v27
	v_cvt_f32_i32_dpp v2, v5 row_shr:15 row_mask:0xf bank_mask:0xf bound_ctrl:1
	v_cvt_i32_f32_e32 v5, v28
	v_mov_b32_dpp v32, v3 row_bcast:31 row_mask:0xf bank_mask:0xf bound_ctrl:1
	v_add_f32_e32 v3, v6, v7
	v_cvt_i32_f32_e32 v6, v29
	v_cvt_f32_i32_dpp v4, v4 row_shl:1 row_mask:0xf bank_mask:0xf bound_ctrl:1
	v_cvt_f32_i32_dpp v5, v5 row_shl:2 row_mask:0xf bank_mask:0xf bound_ctrl:1
	v_cvt_i32_f32_e32 v7, v3
	v_cvt_f32_i32_dpp v6, v6 row_shl:3 row_mask:0xf bank_mask:0xf bound_ctrl:1
	v_add_f32_e32 v4, v26, v4
	v_add_f32_e32 v4, v4, v5
	v_cvt_f32_i32_dpp v7, v7 row_shl:8 row_mask:0xf bank_mask:0xf bound_ctrl:1
	v_add_f32_e32 v4, v4, v6
	v_cvt_i32_f32_e32 v5, v4
	v_cvt_i32_f32_e32 v6, v2
	v_add_f32_e32 v3, v3, v7
	v_cvt_i32_f32_e32 v3, v3
	v_cvt_f32_i32_dpp v5, v5 row_shl:4 row_mask:0xf bank_mask:0xf bound_ctrl:1
	v_cvt_f32_i32_dpp v6, v6 row_bcast:15 row_mask:0xf bank_mask:0xf bound_ctrl:1
	v_cvt_i32_f32_e32 v7, v18
	v_cvt_f32_i32_dpp v3, v3 row_shr:15 row_mask:0xf bank_mask:0xf bound_ctrl:1
	v_add_f32_e32 v4, v4, v5
	v_cvt_i32_f32_e32 v5, v4
	v_add_f32_e32 v15, v2, v6
	v_cvt_i32_f32_e32 v2, v15
	v_cvt_i32_f32_e32 v6, v3
	v_cvt_f32_i32_dpp v5, v5 row_shl:8 row_mask:0xf bank_mask:0xf bound_ctrl:1
	v_mov_b32_dpp v29, v7 row_bcast:31 row_mask:0xf bank_mask:0xf bound_ctrl:1
	v_mov_b32_dpp v20, v2 row_bcast:31 row_mask:0xf bank_mask:0xf bound_ctrl:1
	v_cvt_f32_i32_dpp v2, v6 row_bcast:15 row_mask:0xf bank_mask:0xf bound_ctrl:1
	v_add_f32_e32 v4, v4, v5
	v_cvt_i32_f32_e32 v5, v11
	v_cvt_i32_f32_e32 v6, v12
	;; [unrolled: 1-line block ×4, first 2 shown]
	v_cvt_f32_i32_dpp v5, v5 row_shl:1 row_mask:0xf bank_mask:0xf bound_ctrl:1
	v_cvt_f32_i32_dpp v6, v6 row_shl:2 row_mask:0xf bank_mask:0xf bound_ctrl:1
	;; [unrolled: 1-line block ×3, first 2 shown]
	v_cvt_i32_f32_e32 v8, v122
	v_add_f32_e32 v5, v10, v5
	v_add_f32_e32 v5, v5, v6
	;; [unrolled: 1-line block ×3, first 2 shown]
	v_cvt_i32_f32_e32 v6, v5
	v_cvt_i32_f32_e32 v7, v121
	;; [unrolled: 1-line block ×3, first 2 shown]
	v_cvt_f32_i32_dpp v4, v4 row_shr:15 row_mask:0xf bank_mask:0xf bound_ctrl:1
	v_cvt_f32_i32_dpp v6, v6 row_shl:4 row_mask:0xf bank_mask:0xf bound_ctrl:1
	v_add_f32_e32 v13, v3, v2
	v_cvt_i32_f32_e32 v2, v13
	v_cvt_i32_f32_e32 v3, v4
	v_add_f32_e32 v5, v5, v6
	v_cvt_f32_i32_dpp v6, v7 row_shl:1 row_mask:0xf bank_mask:0xf bound_ctrl:1
	v_cvt_f32_i32_dpp v7, v8 row_shl:2 row_mask:0xf bank_mask:0xf bound_ctrl:1
	;; [unrolled: 1-line block ×3, first 2 shown]
	v_cvt_i32_f32_e32 v9, v5
	v_add_f32_e32 v6, v120, v6
	v_add_f32_e32 v6, v6, v7
	;; [unrolled: 1-line block ×3, first 2 shown]
	v_cvt_i32_f32_e32 v7, v6
	v_cvt_f32_i32_dpp v3, v3 row_bcast:15 row_mask:0xf bank_mask:0xf bound_ctrl:1
	v_cvt_f32_i32_dpp v8, v9 row_shl:8 row_mask:0xf bank_mask:0xf bound_ctrl:1
	v_mov_b32_dpp v28, v2 row_bcast:31 row_mask:0xf bank_mask:0xf bound_ctrl:1
	v_cvt_f32_i32_dpp v2, v7 row_shl:4 row_mask:0xf bank_mask:0xf bound_ctrl:1
	v_add_f32_e32 v12, v4, v3
	v_cvt_i32_f32_e32 v4, v101
	v_add_f32_e32 v3, v5, v8
	v_cvt_i32_f32_e32 v5, v102
	;; [unrolled: 2-line block ×3, first 2 shown]
	v_cvt_f32_i32_dpp v4, v4 row_shl:1 row_mask:0xf bank_mask:0xf bound_ctrl:1
	v_cvt_f32_i32_dpp v5, v5 row_shl:2 row_mask:0xf bank_mask:0xf bound_ctrl:1
	v_cvt_i32_f32_e32 v3, v3
	v_cvt_f32_i32_dpp v6, v6 row_shl:3 row_mask:0xf bank_mask:0xf bound_ctrl:1
	v_add_f32_e32 v4, v100, v4
	v_add_f32_e32 v4, v4, v5
	v_cvt_i32_f32_e32 v7, v2
	v_add_f32_e32 v4, v4, v6
	v_cvt_i32_f32_e32 v5, v4
	v_cvt_f32_i32_dpp v3, v3 row_shr:15 row_mask:0xf bank_mask:0xf bound_ctrl:1
	v_cvt_f32_i32_dpp v7, v7 row_shl:8 row_mask:0xf bank_mask:0xf bound_ctrl:1
	v_cvt_i32_f32_e32 v8, v95
	v_cvt_f32_i32_dpp v5, v5 row_shl:4 row_mask:0xf bank_mask:0xf bound_ctrl:1
	v_cvt_i32_f32_e32 v6, v12
	v_add_f32_e32 v2, v2, v7
	v_cvt_i32_f32_e32 v7, v3
	v_add_f32_e32 v4, v4, v5
	v_cvt_i32_f32_e32 v5, v4
	v_cvt_i32_f32_e32 v2, v2
	v_cvt_f32_i32_dpp v7, v7 row_bcast:15 row_mask:0xf bank_mask:0xf bound_ctrl:1
	v_cvt_f32_i32_dpp v8, v8 row_shl:3 row_mask:0xf bank_mask:0xf bound_ctrl:1
	v_cvt_f32_i32_dpp v5, v5 row_shl:8 row_mask:0xf bank_mask:0xf bound_ctrl:1
	v_cvt_f32_i32_dpp v2, v2 row_shr:15 row_mask:0xf bank_mask:0xf bound_ctrl:1
	v_add_f32_e32 v11, v3, v7
	v_cvt_i32_f32_e32 v7, v94
	v_add_f32_e32 v4, v4, v5
	v_cvt_i32_f32_e32 v5, v93
	v_cvt_i32_f32_e32 v4, v4
	v_cvt_f32_i32_dpp v7, v7 row_shl:2 row_mask:0xf bank_mask:0xf bound_ctrl:1
	v_mov_b32_dpp v27, v6 row_bcast:31 row_mask:0xf bank_mask:0xf bound_ctrl:1
	v_cvt_f32_i32_dpp v5, v5 row_shl:1 row_mask:0xf bank_mask:0xf bound_ctrl:1
	v_cvt_f32_i32_dpp v4, v4 row_shr:15 row_mask:0xf bank_mask:0xf bound_ctrl:1
	v_cvt_i32_f32_e32 v6, v2
	v_cvt_i32_f32_e32 v3, v11
	v_add_f32_e32 v5, v92, v5
	v_add_f32_e32 v5, v5, v7
	v_cvt_i32_f32_e32 v9, v4
	v_add_f32_e32 v7, v5, v8
	v_cvt_f32_i32_dpp v6, v6 row_bcast:15 row_mask:0xf bank_mask:0xf bound_ctrl:1
	v_cvt_i32_f32_e32 v5, v7
	v_mov_b32_dpp v23, v3 row_bcast:31 row_mask:0xf bank_mask:0xf bound_ctrl:1
	v_cvt_f32_i32_dpp v3, v9 row_bcast:15 row_mask:0xf bank_mask:0xf bound_ctrl:1
	v_add_f32_e32 v9, v2, v6
	v_cvt_f32_i32_dpp v2, v5 row_shl:4 row_mask:0xf bank_mask:0xf bound_ctrl:1
	v_cvt_i32_f32_e32 v8, v83
	v_add_f32_e32 v5, v4, v3
	v_cvt_i32_f32_e32 v4, v81
	v_add_f32_e32 v2, v7, v2
	v_cvt_i32_f32_e32 v7, v82
	v_cvt_f32_i32_dpp v8, v8 row_shl:3 row_mask:0xf bank_mask:0xf bound_ctrl:1
	v_cvt_f32_i32_dpp v4, v4 row_shl:1 row_mask:0xf bank_mask:0xf bound_ctrl:1
	v_cvt_i32_f32_e32 v6, v9
	v_cvt_f32_i32_dpp v7, v7 row_shl:2 row_mask:0xf bank_mask:0xf bound_ctrl:1
	v_cvt_i32_f32_e32 v3, v5
	v_add_f32_e32 v4, v80, v4
	v_mov_b32_dpp v19, v6 row_bcast:31 row_mask:0xf bank_mask:0xf bound_ctrl:1
	v_add_f32_e32 v4, v4, v7
	v_add_f32_e32 v4, v4, v8
	v_cvt_i32_f32_e32 v7, v4
	v_mov_b32_dpp v8, v3 row_bcast:31 row_mask:0xf bank_mask:0xf bound_ctrl:1
	v_cvt_i32_f32_e32 v6, v43
	v_cvt_i32_f32_e32 v10, v2
	v_cvt_f32_i32_dpp v3, v7 row_shl:4 row_mask:0xf bank_mask:0xf bound_ctrl:1
	v_cvt_i32_f32_e32 v7, v44
	v_cvt_f32_i32_dpp v10, v10 row_shl:8 row_mask:0xf bank_mask:0xf bound_ctrl:1
	v_add_f32_e32 v3, v4, v3
	v_cvt_f32_i32_dpp v4, v6 row_shl:1 row_mask:0xf bank_mask:0xf bound_ctrl:1
	v_cvt_f32_i32_dpp v6, v7 row_shl:2 row_mask:0xf bank_mask:0xf bound_ctrl:1
	v_cvt_i32_f32_e32 v7, v45
	v_add_f32_e32 v2, v2, v10
	v_add_f32_e32 v4, v42, v4
	;; [unrolled: 1-line block ×3, first 2 shown]
	v_cvt_f32_i32_dpp v6, v7 row_shl:3 row_mask:0xf bank_mask:0xf bound_ctrl:1
	v_cvt_i32_f32_e32 v7, v85
	v_cvt_i32_f32_e32 v10, v3
	v_cvt_i32_f32_e32 v2, v2
	v_add_f32_e32 v4, v4, v6
	v_cvt_f32_i32_dpp v6, v7 row_shl:1 row_mask:0xf bank_mask:0xf bound_ctrl:1
	v_cvt_f32_i32_dpp v7, v14 row_shl:2 row_mask:0xf bank_mask:0xf bound_ctrl:1
	;; [unrolled: 1-line block ×3, first 2 shown]
	v_cvt_i32_f32_e32 v16, v4
	v_add_f32_e32 v6, v84, v6
	v_add_f32_e32 v6, v6, v7
	;; [unrolled: 1-line block ×3, first 2 shown]
	v_cvt_i32_f32_e32 v7, v6
	v_cvt_f32_i32_dpp v14, v16 row_shl:4 row_mask:0xf bank_mask:0xf bound_ctrl:1
	v_cvt_f32_i32_dpp v10, v10 row_shl:8 row_mask:0xf bank_mask:0xf bound_ctrl:1
	v_cvt_f32_i32_dpp v2, v2 row_shr:15 row_mask:0xf bank_mask:0xf bound_ctrl:1
	v_cvt_f32_i32_dpp v7, v7 row_shl:4 row_mask:0xf bank_mask:0xf bound_ctrl:1
	v_add_f32_e32 v4, v4, v14
	v_add_f32_e32 v3, v3, v10
	v_cvt_i32_f32_e32 v10, v4
	v_add_f32_e32 v6, v6, v7
	v_cvt_i32_f32_e32 v7, v6
	v_cvt_i32_f32_e32 v3, v3
	v_cvt_f32_i32_dpp v10, v10 row_shl:8 row_mask:0xf bank_mask:0xf bound_ctrl:1
	v_cvt_i32_f32_e32 v14, v2
	v_cvt_f32_i32_dpp v7, v7 row_shl:8 row_mask:0xf bank_mask:0xf bound_ctrl:1
	v_cvt_f32_i32_dpp v3, v3 row_shr:15 row_mask:0xf bank_mask:0xf bound_ctrl:1
	v_add_f32_e32 v4, v4, v10
	v_cvt_i32_f32_e32 v4, v4
	v_add_f32_e32 v6, v6, v7
	v_cvt_i32_f32_e32 v6, v6
	v_cvt_f32_i32_dpp v7, v14 row_bcast:15 row_mask:0xf bank_mask:0xf bound_ctrl:1
	v_cvt_f32_i32_dpp v4, v4 row_shr:15 row_mask:0xf bank_mask:0xf bound_ctrl:1
	v_cvt_i32_f32_e32 v10, v3
	v_cvt_f32_i32_dpp v6, v6 row_shr:15 row_mask:0xf bank_mask:0xf bound_ctrl:1
	v_add_f32_e32 v14, v2, v7
	v_cvt_i32_f32_e32 v2, v4
	v_cvt_f32_i32_dpp v7, v10 row_bcast:15 row_mask:0xf bank_mask:0xf bound_ctrl:1
	v_cvt_i32_f32_e32 v10, v6
	v_cvt_i32_f32_e32 v16, v14
	v_cvt_f32_i32_dpp v2, v2 row_bcast:15 row_mask:0xf bank_mask:0xf bound_ctrl:1
	v_add_f32_e32 v7, v3, v7
	v_cvt_f32_i32_dpp v3, v10 row_bcast:15 row_mask:0xf bank_mask:0xf bound_ctrl:1
	v_cvt_i32_f32_e32 v10, v7
	v_add_f32_e32 v4, v4, v2
	v_cvt_i32_f32_e32 v26, v4
	v_add_f32_e32 v2, v6, v3
	v_cvt_i32_f32_e32 v3, v2
	v_mov_b32_dpp v22, v16 row_bcast:31 row_mask:0xf bank_mask:0xf bound_ctrl:1
	v_mov_b32_dpp v10, v10 row_bcast:31 row_mask:0xf bank_mask:0xf bound_ctrl:1
	;; [unrolled: 1-line block ×4, first 2 shown]
	s_mov_b64 s[20:21], exec
	scratch_load_dwordx2 v[68:69], off, off offset:204 ; 8-byte Folded Reload
	scratch_load_dwordx2 v[16:17], off, off ; 8-byte Folded Reload
	s_and_b64 s[22:23], s[20:21], s[0:1]
	s_mov_b64 exec, s[22:23]
	s_cbranch_execz .LBB305_7
; %bb.18:                               ;   in Loop: Header=BB305_8 Depth=1
	s_andn2_b64 vcc, exec, s[18:19]
	v_mov_b32_e32 v59, 0
	v_mov_b32_e32 v58, 0
	;; [unrolled: 1-line block ×20, first 2 shown]
	s_cbranch_vccnz .LBB305_20
; %bb.19:                               ;   in Loop: Header=BB305_8 Depth=1
	scratch_load_dword v37, off, off offset:216 ; 4-byte Folded Reload
	s_waitcnt vmcnt(1)
	v_mov_b32_e32 v55, v17
	v_mov_b32_e32 v63, v17
	;; [unrolled: 1-line block ×5, first 2 shown]
	s_waitcnt vmcnt(0)
	v_mul_hi_u32 v16, v68, v37
	v_mul_lo_u32 v16, v16, s8
	v_sub_u32_e32 v16, v68, v16
	v_subrev_u32_e32 v26, s8, v16
	v_cmp_le_u32_e32 vcc, s8, v16
	s_nop 1
	v_cndmask_b32_e32 v16, v16, v26, vcc
	v_subrev_u32_e32 v26, s8, v16
	v_cmp_le_u32_e32 vcc, s8, v16
	s_nop 1
	v_cndmask_b32_e32 v16, v16, v26, vcc
	v_or_b32_e32 v26, 1, v68
	v_mul_hi_u32 v33, v26, v37
	v_mul_lo_u32 v33, v33, s8
	v_sub_u32_e32 v26, v26, v33
	v_subrev_u32_e32 v33, s8, v26
	v_cmp_le_u32_e32 vcc, s8, v26
	v_add_u32_e32 v46, s26, v16
	v_lshl_add_u64 v[30:31], v[16:17], 1, s[10:11]
	v_cndmask_b32_e32 v26, v26, v33, vcc
	v_subrev_u32_e32 v33, s8, v26
	v_cmp_le_u32_e32 vcc, s8, v26
	v_lshl_add_u64 v[46:47], v[46:47], 1, s[10:11]
	s_nop 0
	v_cndmask_b32_e32 v34, v26, v33, vcc
	v_or_b32_e32 v26, 2, v68
	v_mul_hi_u32 v33, v26, v37
	v_mul_lo_u32 v33, v33, s8
	v_sub_u32_e32 v26, v26, v33
	v_subrev_u32_e32 v33, s8, v26
	v_cmp_le_u32_e32 vcc, s8, v26
	v_add_u32_e32 v54, s26, v34
	v_lshl_add_u64 v[38:39], v[34:35], 1, s[10:11]
	v_cndmask_b32_e32 v26, v26, v33, vcc
	v_subrev_u32_e32 v33, s8, v26
	v_cmp_le_u32_e32 vcc, s8, v26
	s_nop 1
	v_cndmask_b32_e32 v62, v26, v33, vcc
	v_or_b32_e32 v26, 3, v68
	v_mul_hi_u32 v33, v26, v37
	v_mul_lo_u32 v33, v33, s8
	v_sub_u32_e32 v26, v26, v33
	v_subrev_u32_e32 v33, s8, v26
	v_cmp_le_u32_e32 vcc, s8, v26
	v_lshl_add_u64 v[68:69], v[54:55], 1, s[10:11]
	v_add_u32_e32 v54, s26, v62
	v_cndmask_b32_e32 v26, v26, v33, vcc
	v_subrev_u32_e32 v33, s8, v26
	v_cmp_le_u32_e32 vcc, s8, v26
	v_lshl_add_u64 v[42:43], v[62:63], 1, s[10:11]
	v_lshl_add_u64 v[70:71], v[54:55], 1, s[10:11]
	v_cndmask_b32_e32 v66, v26, v33, vcc
	v_lshl_add_u64 v[44:45], v[66:67], 1, s[10:11]
	v_add_u32_e32 v54, s26, v66
	v_lshl_add_u64 v[72:73], v[54:55], 1, s[10:11]
	global_load_ushort v59, v[30:31], off
	global_load_ushort v58, v[38:39], off
	;; [unrolled: 1-line block ×5, first 2 shown]
                                        ; kill: killed $vgpr44_vgpr45
                                        ; kill: killed $vgpr46_vgpr47
	s_nop 0
	global_load_ushort v47, v[68:69], off
	global_load_ushort v46, v[70:71], off
	;; [unrolled: 1-line block ×3, first 2 shown]
	v_add_u32_e32 v42, s27, v62
	v_mov_b32_e32 v43, v17
	v_lshl_add_u64 v[68:69], v[42:43], 1, s[10:11]
	v_add_u32_e32 v42, s27, v66
	v_lshl_add_u64 v[70:71], v[42:43], 1, s[10:11]
	v_add_u32_e32 v42, s28, v16
	;; [unrolled: 2-line block ×3, first 2 shown]
	v_add_u32_e32 v30, s27, v16
	v_mov_b32_e32 v31, v17
	v_add_u32_e32 v38, s27, v34
	v_mov_b32_e32 v39, v17
	v_lshl_add_u64 v[74:75], v[42:43], 1, s[10:11]
	v_add_u32_e32 v42, s28, v62
	v_lshl_add_u64 v[30:31], v[30:31], 1, s[10:11]
	v_lshl_add_u64 v[38:39], v[38:39], 1, s[10:11]
	;; [unrolled: 1-line block ×3, first 2 shown]
	v_add_u32_e32 v42, s28, v66
	v_add_u32_e32 v16, s29, v16
	v_lshl_add_u64 v[78:79], v[42:43], 1, s[10:11]
	global_load_ushort v45, v[30:31], off
	global_load_ushort v43, v[38:39], off
	;; [unrolled: 1-line block ×4, first 2 shown]
	s_nop 0
	global_load_ushort v39, v[72:73], off
	global_load_ushort v38, v[74:75], off
	;; [unrolled: 1-line block ×4, first 2 shown]
	v_lshl_add_u64 v[30:31], v[16:17], 1, s[10:11]
	v_add_u32_e32 v16, s29, v34
	v_lshl_add_u64 v[68:69], v[16:17], 1, s[10:11]
	v_add_u32_e32 v16, s29, v62
	v_lshl_add_u64 v[62:63], v[16:17], 1, s[10:11]
	v_add_u32_e32 v16, s29, v66
	v_lshl_add_u64 v[66:67], v[16:17], 1, s[10:11]
	global_load_ushort v34, v[30:31], off
	global_load_ushort v33, v[68:69], off
	s_nop 0
	scratch_load_dwordx2 v[68:69], off, off offset:204 ; 8-byte Folded Reload
	global_load_ushort v31, v[62:63], off
	global_load_ushort v30, v[66:67], off
.LBB305_20:                             ;   in Loop: Header=BB305_8 Depth=1
	s_waitcnt vmcnt(0)
	v_cvt_f32_i32_e32 v16, v65
	v_add_f32_e32 v0, v0, v16
	v_lshlrev_b32_e32 v16, 16, v59
	v_add_f32_e32 v0, v0, v16
	v_and_b32_e32 v16, 0x7f800000, v0
	v_cmp_ne_u32_e32 vcc, s34, v16
                                        ; implicit-def: $vgpr16
	s_and_saveexec_b64 s[22:23], vcc
	s_xor_b64 s[22:23], exec, s[22:23]
; %bb.21:                               ;   in Loop: Header=BB305_8 Depth=1
	v_bfe_u32 v16, v0, 16, 1
	v_add3_u32 v16, v0, v16, s35
                                        ; implicit-def: $vgpr0
; %bb.22:                               ;   in Loop: Header=BB305_8 Depth=1
	s_andn2_saveexec_b64 s[22:23], s[22:23]
; %bb.23:                               ;   in Loop: Header=BB305_8 Depth=1
	v_or_b32_e32 v16, 0x10000, v0
	v_cmp_eq_u32_sdwa vcc, v0, v17 src0_sel:WORD_0 src1_sel:DWORD
	s_nop 1
	v_cndmask_b32_e32 v16, v16, v0, vcc
; %bb.24:                               ;   in Loop: Header=BB305_8 Depth=1
	s_or_b64 exec, exec, s[22:23]
	v_cvt_f32_i32_e32 v26, v1
	v_mov_b32_e32 v69, v17
	s_waitcnt lgkmcnt(0)
	v_lshl_add_u64 v[0:1], v[68:69], 1, s[14:15]
	global_store_short_d16_hi v[0:1], v16, off
	v_add_f32_e32 v16, v64, v26
	v_lshlrev_b32_e32 v26, 16, v58
	v_add_f32_e32 v16, v16, v26
	v_and_b32_e32 v26, 0x7f800000, v16
	v_cmp_ne_u32_e32 vcc, s34, v26
                                        ; implicit-def: $vgpr26
	s_and_saveexec_b64 s[22:23], vcc
	s_xor_b64 s[22:23], exec, s[22:23]
; %bb.25:                               ;   in Loop: Header=BB305_8 Depth=1
	v_bfe_u32 v26, v16, 16, 1
	v_add3_u32 v26, v16, v26, s35
                                        ; implicit-def: $vgpr16
; %bb.26:                               ;   in Loop: Header=BB305_8 Depth=1
	s_andn2_saveexec_b64 s[22:23], s[22:23]
; %bb.27:                               ;   in Loop: Header=BB305_8 Depth=1
	v_or_b32_e32 v26, 0x10000, v16
	v_cmp_eq_u32_sdwa vcc, v16, v17 src0_sel:WORD_0 src1_sel:DWORD
	s_nop 1
	v_cndmask_b32_e32 v26, v26, v16, vcc
; %bb.28:                               ;   in Loop: Header=BB305_8 Depth=1
	s_or_b64 exec, exec, s[22:23]
	v_cvt_f32_i32_e32 v16, v57
	global_store_short_d16_hi v[0:1], v26, off offset:2
	v_lshlrev_b32_e32 v26, 16, v55
	v_add_f32_e32 v16, v60, v16
	v_add_f32_e32 v16, v16, v26
	v_and_b32_e32 v26, 0x7f800000, v16
	v_cmp_ne_u32_e32 vcc, s34, v26
                                        ; implicit-def: $vgpr26
	s_and_saveexec_b64 s[22:23], vcc
	s_xor_b64 s[22:23], exec, s[22:23]
; %bb.29:                               ;   in Loop: Header=BB305_8 Depth=1
	v_bfe_u32 v26, v16, 16, 1
	v_add3_u32 v26, v16, v26, s35
                                        ; implicit-def: $vgpr16
; %bb.30:                               ;   in Loop: Header=BB305_8 Depth=1
	s_andn2_saveexec_b64 s[22:23], s[22:23]
; %bb.31:                               ;   in Loop: Header=BB305_8 Depth=1
	v_or_b32_e32 v26, 0x10000, v16
	v_cmp_eq_u32_sdwa vcc, v16, v17 src0_sel:WORD_0 src1_sel:DWORD
	s_nop 1
	v_cndmask_b32_e32 v26, v26, v16, vcc
; %bb.32:                               ;   in Loop: Header=BB305_8 Depth=1
	s_or_b64 exec, exec, s[22:23]
	v_cvt_f32_i32_e32 v16, v53
	global_store_short_d16_hi v[0:1], v26, off offset:4
	v_lshlrev_b32_e32 v26, 16, v54
	v_add_f32_e32 v16, v56, v16
	;; [unrolled: 23-line block ×3, first 2 shown]
	v_add_f32_e32 v1, v0, v1
	v_and_b32_e32 v0, 0x7f800000, v1
	v_cmp_ne_u32_e32 vcc, s34, v0
                                        ; implicit-def: $vgpr0
	s_and_saveexec_b64 s[22:23], vcc
	s_xor_b64 s[22:23], exec, s[22:23]
; %bb.37:                               ;   in Loop: Header=BB305_8 Depth=1
	v_bfe_u32 v0, v1, 16, 1
	v_add3_u32 v0, v1, v0, s35
                                        ; implicit-def: $vgpr1
; %bb.38:                               ;   in Loop: Header=BB305_8 Depth=1
	s_andn2_saveexec_b64 s[22:23], s[22:23]
; %bb.39:                               ;   in Loop: Header=BB305_8 Depth=1
	v_or_b32_e32 v0, 0x10000, v1
	v_cmp_eq_u32_sdwa vcc, v1, v17 src0_sel:WORD_0 src1_sel:DWORD
	s_nop 1
	v_cndmask_b32_e32 v0, v0, v1, vcc
; %bb.40:                               ;   in Loop: Header=BB305_8 Depth=1
	s_or_b64 exec, exec, s[22:23]
	v_cvt_f32_i32_e32 v1, v49
	v_add_u32_e32 v16, s7, v68
	v_lshl_add_u64 v[50:51], v[16:17], 1, s[14:15]
	global_store_short_d16_hi v[50:51], v0, off
	v_add_f32_e32 v0, v48, v1
	v_lshlrev_b32_e32 v1, 16, v47
	v_add_f32_e32 v1, v0, v1
	v_and_b32_e32 v0, 0x7f800000, v1
	v_cmp_ne_u32_e32 vcc, s34, v0
                                        ; implicit-def: $vgpr0
	s_and_saveexec_b64 s[22:23], vcc
	s_xor_b64 s[22:23], exec, s[22:23]
; %bb.41:                               ;   in Loop: Header=BB305_8 Depth=1
	v_bfe_u32 v0, v1, 16, 1
	v_add3_u32 v0, v1, v0, s35
                                        ; implicit-def: $vgpr1
; %bb.42:                               ;   in Loop: Header=BB305_8 Depth=1
	s_andn2_saveexec_b64 s[22:23], s[22:23]
; %bb.43:                               ;   in Loop: Header=BB305_8 Depth=1
	v_or_b32_e32 v0, 0x10000, v1
	v_cmp_eq_u32_sdwa vcc, v1, v17 src0_sel:WORD_0 src1_sel:DWORD
	s_nop 1
	v_cndmask_b32_e32 v0, v0, v1, vcc
; %bb.44:                               ;   in Loop: Header=BB305_8 Depth=1
	s_or_b64 exec, exec, s[22:23]
	v_cvt_f32_i32_e32 v1, v40
	v_add_u32_e32 v48, 1, v16
	v_mov_b32_e32 v49, v17
	v_lshl_add_u64 v[48:49], v[48:49], 1, s[14:15]
	v_add_f32_e32 v1, v25, v1
	global_store_short_d16_hi v[48:49], v0, off
	v_lshlrev_b32_e32 v0, 16, v46
	v_add_f32_e32 v1, v1, v0
	v_and_b32_e32 v0, 0x7f800000, v1
	v_cmp_ne_u32_e32 vcc, s34, v0
                                        ; implicit-def: $vgpr0
	s_and_saveexec_b64 s[22:23], vcc
	s_xor_b64 s[22:23], exec, s[22:23]
; %bb.45:                               ;   in Loop: Header=BB305_8 Depth=1
	v_bfe_u32 v0, v1, 16, 1
	v_add3_u32 v0, v1, v0, s35
                                        ; implicit-def: $vgpr1
; %bb.46:                               ;   in Loop: Header=BB305_8 Depth=1
	s_andn2_saveexec_b64 s[22:23], s[22:23]
; %bb.47:                               ;   in Loop: Header=BB305_8 Depth=1
	v_or_b32_e32 v0, 0x10000, v1
	v_cmp_eq_u32_sdwa vcc, v1, v17 src0_sel:WORD_0 src1_sel:DWORD
	s_nop 1
	v_cndmask_b32_e32 v0, v0, v1, vcc
; %bb.48:                               ;   in Loop: Header=BB305_8 Depth=1
	s_or_b64 exec, exec, s[22:23]
	v_cvt_f32_i32_e32 v1, v36
	v_add_u32_e32 v46, 2, v16
	v_mov_b32_e32 v47, v17
	v_lshl_add_u64 v[46:47], v[46:47], 1, s[14:15]
	v_add_f32_e32 v1, v24, v1
	global_store_short_d16_hi v[46:47], v0, off
	;; [unrolled: 26-line block ×3, first 2 shown]
	v_lshlrev_b32_e32 v0, 16, v45
	v_add_f32_e32 v0, v1, v0
	v_and_b32_e32 v1, 0x7f800000, v0
	v_cmp_ne_u32_e32 vcc, s34, v1
                                        ; implicit-def: $vgpr21
	s_and_saveexec_b64 s[22:23], vcc
	s_xor_b64 s[22:23], exec, s[22:23]
; %bb.53:                               ;   in Loop: Header=BB305_8 Depth=1
	v_bfe_u32 v1, v0, 16, 1
	v_add3_u32 v21, v0, v1, s35
                                        ; implicit-def: $vgpr0
; %bb.54:                               ;   in Loop: Header=BB305_8 Depth=1
	s_andn2_saveexec_b64 s[22:23], s[22:23]
; %bb.55:                               ;   in Loop: Header=BB305_8 Depth=1
	v_or_b32_e32 v1, 0x10000, v0
	v_cmp_eq_u32_sdwa vcc, v0, v17 src0_sel:WORD_0 src1_sel:DWORD
	s_nop 1
	v_cndmask_b32_e32 v21, v1, v0, vcc
; %bb.56:                               ;   in Loop: Header=BB305_8 Depth=1
	s_or_b64 exec, exec, s[22:23]
	v_cvt_f32_i32_e32 v24, v29
	v_add_u32_e32 v16, s7, v16
	v_lshl_add_u64 v[0:1], v[16:17], 1, s[14:15]
	global_store_short_d16_hi v[0:1], v21, off
	v_add_f32_e32 v18, v18, v24
	v_lshlrev_b32_e32 v21, 16, v43
	v_add_f32_e32 v18, v18, v21
	v_and_b32_e32 v21, 0x7f800000, v18
	v_cmp_ne_u32_e32 vcc, s34, v21
                                        ; implicit-def: $vgpr21
	s_and_saveexec_b64 s[22:23], vcc
	s_xor_b64 s[22:23], exec, s[22:23]
; %bb.57:                               ;   in Loop: Header=BB305_8 Depth=1
	v_bfe_u32 v21, v18, 16, 1
	v_add3_u32 v21, v18, v21, s35
                                        ; implicit-def: $vgpr18
; %bb.58:                               ;   in Loop: Header=BB305_8 Depth=1
	s_andn2_saveexec_b64 s[22:23], s[22:23]
; %bb.59:                               ;   in Loop: Header=BB305_8 Depth=1
	v_or_b32_e32 v21, 0x10000, v18
	v_cmp_eq_u32_sdwa vcc, v18, v17 src0_sel:WORD_0 src1_sel:DWORD
	s_nop 1
	v_cndmask_b32_e32 v21, v21, v18, vcc
; %bb.60:                               ;   in Loop: Header=BB305_8 Depth=1
	s_or_b64 exec, exec, s[22:23]
	v_cvt_f32_i32_e32 v18, v20
	global_store_short_d16_hi v[0:1], v21, off offset:2
	v_lshlrev_b32_e32 v1, 16, v42
	v_add_f32_e32 v0, v15, v18
	v_add_f32_e32 v1, v0, v1
	v_and_b32_e32 v0, 0x7f800000, v1
	v_cmp_ne_u32_e32 vcc, s34, v0
                                        ; implicit-def: $vgpr0
	s_and_saveexec_b64 s[22:23], vcc
	s_xor_b64 s[22:23], exec, s[22:23]
; %bb.61:                               ;   in Loop: Header=BB305_8 Depth=1
	v_bfe_u32 v0, v1, 16, 1
	v_add3_u32 v0, v1, v0, s35
                                        ; implicit-def: $vgpr1
; %bb.62:                               ;   in Loop: Header=BB305_8 Depth=1
	s_andn2_saveexec_b64 s[22:23], s[22:23]
; %bb.63:                               ;   in Loop: Header=BB305_8 Depth=1
	v_or_b32_e32 v0, 0x10000, v1
	v_cmp_eq_u32_sdwa vcc, v1, v17 src0_sel:WORD_0 src1_sel:DWORD
	s_nop 1
	v_cndmask_b32_e32 v0, v0, v1, vcc
; %bb.64:                               ;   in Loop: Header=BB305_8 Depth=1
	s_or_b64 exec, exec, s[22:23]
	v_cvt_f32_i32_e32 v1, v28
	v_add_u32_e32 v20, 2, v16
	v_mov_b32_e32 v21, v17
	v_lshl_add_u64 v[20:21], v[20:21], 1, s[14:15]
	v_add_f32_e32 v1, v13, v1
	global_store_short_d16_hi v[20:21], v0, off
	v_lshlrev_b32_e32 v0, 16, v41
	v_add_f32_e32 v1, v1, v0
	v_and_b32_e32 v0, 0x7f800000, v1
	v_cmp_ne_u32_e32 vcc, s34, v0
                                        ; implicit-def: $vgpr0
	s_and_saveexec_b64 s[22:23], vcc
	s_xor_b64 s[22:23], exec, s[22:23]
; %bb.65:                               ;   in Loop: Header=BB305_8 Depth=1
	v_bfe_u32 v0, v1, 16, 1
	v_add3_u32 v0, v1, v0, s35
                                        ; implicit-def: $vgpr1
; %bb.66:                               ;   in Loop: Header=BB305_8 Depth=1
	s_andn2_saveexec_b64 s[22:23], s[22:23]
; %bb.67:                               ;   in Loop: Header=BB305_8 Depth=1
	v_or_b32_e32 v0, 0x10000, v1
	v_cmp_eq_u32_sdwa vcc, v1, v17 src0_sel:WORD_0 src1_sel:DWORD
	s_nop 1
	v_cndmask_b32_e32 v0, v0, v1, vcc
; %bb.68:                               ;   in Loop: Header=BB305_8 Depth=1
	s_or_b64 exec, exec, s[22:23]
	v_cvt_f32_i32_e32 v1, v27
	v_add_u32_e32 v20, 3, v16
	v_mov_b32_e32 v21, v17
	v_lshl_add_u64 v[20:21], v[20:21], 1, s[14:15]
	v_add_f32_e32 v1, v12, v1
	global_store_short_d16_hi v[20:21], v0, off
	v_lshlrev_b32_e32 v0, 16, v39
	v_add_f32_e32 v1, v1, v0
	v_and_b32_e32 v0, 0x7f800000, v1
	v_cmp_ne_u32_e32 vcc, s34, v0
                                        ; implicit-def: $vgpr0
	s_and_saveexec_b64 s[22:23], vcc
	s_xor_b64 s[22:23], exec, s[22:23]
; %bb.69:                               ;   in Loop: Header=BB305_8 Depth=1
	v_bfe_u32 v0, v1, 16, 1
	v_add3_u32 v0, v1, v0, s35
                                        ; implicit-def: $vgpr1
; %bb.70:                               ;   in Loop: Header=BB305_8 Depth=1
	s_andn2_saveexec_b64 s[22:23], s[22:23]
; %bb.71:                               ;   in Loop: Header=BB305_8 Depth=1
	v_or_b32_e32 v0, 0x10000, v1
	v_cmp_eq_u32_sdwa vcc, v1, v17 src0_sel:WORD_0 src1_sel:DWORD
	s_nop 1
	v_cndmask_b32_e32 v0, v0, v1, vcc
; %bb.72:                               ;   in Loop: Header=BB305_8 Depth=1
	s_or_b64 exec, exec, s[22:23]
	v_cvt_f32_i32_e32 v1, v23
	v_add_u32_e32 v16, s7, v16
	v_lshl_add_u64 v[12:13], v[16:17], 1, s[14:15]
	global_store_short_d16_hi v[12:13], v0, off
	v_add_f32_e32 v0, v11, v1
	v_lshlrev_b32_e32 v1, 16, v38
	v_add_f32_e32 v1, v0, v1
	v_and_b32_e32 v0, 0x7f800000, v1
	v_cmp_ne_u32_e32 vcc, s34, v0
                                        ; implicit-def: $vgpr0
	s_and_saveexec_b64 s[22:23], vcc
	s_xor_b64 s[22:23], exec, s[22:23]
; %bb.73:                               ;   in Loop: Header=BB305_8 Depth=1
	v_bfe_u32 v0, v1, 16, 1
	v_add3_u32 v0, v1, v0, s35
                                        ; implicit-def: $vgpr1
; %bb.74:                               ;   in Loop: Header=BB305_8 Depth=1
	s_andn2_saveexec_b64 s[22:23], s[22:23]
; %bb.75:                               ;   in Loop: Header=BB305_8 Depth=1
	v_or_b32_e32 v0, 0x10000, v1
	v_cmp_eq_u32_sdwa vcc, v1, v17 src0_sel:WORD_0 src1_sel:DWORD
	s_nop 1
	v_cndmask_b32_e32 v0, v0, v1, vcc
; %bb.76:                               ;   in Loop: Header=BB305_8 Depth=1
	s_or_b64 exec, exec, s[22:23]
	v_cvt_f32_i32_e32 v1, v19
	v_add_u32_e32 v12, 1, v16
	v_mov_b32_e32 v13, v17
	v_lshl_add_u64 v[12:13], v[12:13], 1, s[14:15]
	v_add_f32_e32 v1, v9, v1
	global_store_short_d16_hi v[12:13], v0, off
	v_lshlrev_b32_e32 v0, 16, v37
	v_add_f32_e32 v1, v1, v0
	v_and_b32_e32 v0, 0x7f800000, v1
	v_cmp_ne_u32_e32 vcc, s34, v0
                                        ; implicit-def: $vgpr0
	s_and_saveexec_b64 s[22:23], vcc
	s_xor_b64 s[22:23], exec, s[22:23]
; %bb.77:                               ;   in Loop: Header=BB305_8 Depth=1
	v_bfe_u32 v0, v1, 16, 1
	v_add3_u32 v0, v1, v0, s35
                                        ; implicit-def: $vgpr1
; %bb.78:                               ;   in Loop: Header=BB305_8 Depth=1
	s_andn2_saveexec_b64 s[22:23], s[22:23]
; %bb.79:                               ;   in Loop: Header=BB305_8 Depth=1
	v_or_b32_e32 v0, 0x10000, v1
	v_cmp_eq_u32_sdwa vcc, v1, v17 src0_sel:WORD_0 src1_sel:DWORD
	s_nop 1
	v_cndmask_b32_e32 v0, v0, v1, vcc
; %bb.80:                               ;   in Loop: Header=BB305_8 Depth=1
	s_or_b64 exec, exec, s[22:23]
	v_cvt_f32_i32_e32 v1, v8
	v_add_u32_e32 v8, 2, v16
	v_mov_b32_e32 v9, v17
	v_lshl_add_u64 v[8:9], v[8:9], 1, s[14:15]
	v_add_f32_e32 v1, v5, v1
	global_store_short_d16_hi v[8:9], v0, off
	;; [unrolled: 26-line block ×3, first 2 shown]
	v_lshlrev_b32_e32 v0, 16, v34
	v_add_f32_e32 v0, v1, v0
	v_and_b32_e32 v1, 0x7f800000, v0
	v_cmp_ne_u32_e32 vcc, s34, v1
                                        ; implicit-def: $vgpr5
	s_and_saveexec_b64 s[22:23], vcc
	s_xor_b64 s[22:23], exec, s[22:23]
; %bb.85:                               ;   in Loop: Header=BB305_8 Depth=1
	v_bfe_u32 v1, v0, 16, 1
	v_add3_u32 v5, v0, v1, s35
                                        ; implicit-def: $vgpr0
; %bb.86:                               ;   in Loop: Header=BB305_8 Depth=1
	s_andn2_saveexec_b64 s[22:23], s[22:23]
; %bb.87:                               ;   in Loop: Header=BB305_8 Depth=1
	v_or_b32_e32 v1, 0x10000, v0
	v_cmp_eq_u32_sdwa vcc, v0, v17 src0_sel:WORD_0 src1_sel:DWORD
	s_nop 1
	v_cndmask_b32_e32 v5, v1, v0, vcc
; %bb.88:                               ;   in Loop: Header=BB305_8 Depth=1
	s_or_b64 exec, exec, s[22:23]
	v_cvt_f32_i32_e32 v8, v10
	v_add_u32_e32 v16, s7, v16
	v_lshl_add_u64 v[0:1], v[16:17], 1, s[14:15]
	global_store_short_d16_hi v[0:1], v5, off
	v_add_f32_e32 v5, v7, v8
	v_lshlrev_b32_e32 v7, 16, v33
	v_add_f32_e32 v5, v5, v7
	v_and_b32_e32 v7, 0x7f800000, v5
	v_cmp_ne_u32_e32 vcc, s34, v7
                                        ; implicit-def: $vgpr7
	s_and_saveexec_b64 s[22:23], vcc
	s_xor_b64 s[22:23], exec, s[22:23]
; %bb.89:                               ;   in Loop: Header=BB305_8 Depth=1
	v_bfe_u32 v7, v5, 16, 1
	v_add3_u32 v7, v5, v7, s35
                                        ; implicit-def: $vgpr5
; %bb.90:                               ;   in Loop: Header=BB305_8 Depth=1
	s_andn2_saveexec_b64 s[22:23], s[22:23]
; %bb.91:                               ;   in Loop: Header=BB305_8 Depth=1
	v_or_b32_e32 v7, 0x10000, v5
	v_cmp_eq_u32_sdwa vcc, v5, v17 src0_sel:WORD_0 src1_sel:DWORD
	s_nop 1
	v_cndmask_b32_e32 v7, v7, v5, vcc
; %bb.92:                               ;   in Loop: Header=BB305_8 Depth=1
	s_or_b64 exec, exec, s[22:23]
	v_cvt_f32_i32_e32 v5, v6
	global_store_short_d16_hi v[0:1], v7, off offset:2
	v_add_f32_e32 v4, v4, v5
	v_lshlrev_b32_e32 v5, 16, v31
	v_add_f32_e32 v4, v4, v5
	v_and_b32_e32 v5, 0x7f800000, v4
	v_cmp_ne_u32_e32 vcc, s34, v5
                                        ; implicit-def: $vgpr5
	s_and_saveexec_b64 s[22:23], vcc
	s_xor_b64 s[22:23], exec, s[22:23]
; %bb.93:                               ;   in Loop: Header=BB305_8 Depth=1
	v_bfe_u32 v5, v4, 16, 1
	v_add3_u32 v5, v4, v5, s35
                                        ; implicit-def: $vgpr4
; %bb.94:                               ;   in Loop: Header=BB305_8 Depth=1
	s_andn2_saveexec_b64 s[22:23], s[22:23]
; %bb.95:                               ;   in Loop: Header=BB305_8 Depth=1
	v_or_b32_e32 v5, 0x10000, v4
	v_cmp_eq_u32_sdwa vcc, v4, v17 src0_sel:WORD_0 src1_sel:DWORD
	s_nop 1
	v_cndmask_b32_e32 v5, v5, v4, vcc
; %bb.96:                               ;   in Loop: Header=BB305_8 Depth=1
	s_or_b64 exec, exec, s[22:23]
	v_cvt_f32_i32_e32 v3, v3
	global_store_short_d16_hi v[0:1], v5, off offset:4
	v_add_f32_e32 v2, v2, v3
	v_lshlrev_b32_e32 v3, 16, v30
	v_add_f32_e32 v2, v2, v3
	v_and_b32_e32 v3, 0x7f800000, v2
	v_cmp_ne_u32_e32 vcc, s34, v3
                                        ; implicit-def: $vgpr3
	s_and_saveexec_b64 s[22:23], vcc
	s_xor_b64 s[22:23], exec, s[22:23]
; %bb.97:                               ;   in Loop: Header=BB305_8 Depth=1
	v_bfe_u32 v3, v2, 16, 1
	v_add3_u32 v3, v2, v3, s35
                                        ; implicit-def: $vgpr2
; %bb.98:                               ;   in Loop: Header=BB305_8 Depth=1
	s_andn2_saveexec_b64 s[22:23], s[22:23]
	s_cbranch_execz .LBB305_6
; %bb.99:                               ;   in Loop: Header=BB305_8 Depth=1
	v_or_b32_e32 v3, 0x10000, v2
	v_cmp_eq_u32_sdwa vcc, v2, v17 src0_sel:WORD_0 src1_sel:DWORD
	s_nop 1
	v_cndmask_b32_e32 v3, v3, v2, vcc
	s_branch .LBB305_6
.LBB305_100:
	s_endpgm
	.section	.rodata,"a",@progbits
	.p2align	6, 0x0
	.amdhsa_kernel _Z16wvSplitK_hf_sml_I14__hip_bfloat16Li64ELi4ELi16ELi8ELi2ELi5EEviiiiiiPKT_S3_S3_PS1_ii
		.amdhsa_group_segment_fixed_size 65536
		.amdhsa_private_segment_fixed_size 224
		.amdhsa_kernarg_size 64
		.amdhsa_user_sgpr_count 2
		.amdhsa_user_sgpr_dispatch_ptr 0
		.amdhsa_user_sgpr_queue_ptr 0
		.amdhsa_user_sgpr_kernarg_segment_ptr 1
		.amdhsa_user_sgpr_dispatch_id 0
		.amdhsa_user_sgpr_kernarg_preload_length 0
		.amdhsa_user_sgpr_kernarg_preload_offset 0
		.amdhsa_user_sgpr_private_segment_size 0
		.amdhsa_uses_dynamic_stack 0
		.amdhsa_enable_private_segment 1
		.amdhsa_system_sgpr_workgroup_id_x 1
		.amdhsa_system_sgpr_workgroup_id_y 0
		.amdhsa_system_sgpr_workgroup_id_z 0
		.amdhsa_system_sgpr_workgroup_info 0
		.amdhsa_system_vgpr_workitem_id 1
		.amdhsa_next_free_vgpr 128
		.amdhsa_next_free_sgpr 37
		.amdhsa_accum_offset 128
		.amdhsa_reserve_vcc 1
		.amdhsa_float_round_mode_32 0
		.amdhsa_float_round_mode_16_64 0
		.amdhsa_float_denorm_mode_32 3
		.amdhsa_float_denorm_mode_16_64 3
		.amdhsa_dx10_clamp 1
		.amdhsa_ieee_mode 1
		.amdhsa_fp16_overflow 0
		.amdhsa_tg_split 0
		.amdhsa_exception_fp_ieee_invalid_op 0
		.amdhsa_exception_fp_denorm_src 0
		.amdhsa_exception_fp_ieee_div_zero 0
		.amdhsa_exception_fp_ieee_overflow 0
		.amdhsa_exception_fp_ieee_underflow 0
		.amdhsa_exception_fp_ieee_inexact 0
		.amdhsa_exception_int_div_zero 0
	.end_amdhsa_kernel
	.section	.text._Z16wvSplitK_hf_sml_I14__hip_bfloat16Li64ELi4ELi16ELi8ELi2ELi5EEviiiiiiPKT_S3_S3_PS1_ii,"axG",@progbits,_Z16wvSplitK_hf_sml_I14__hip_bfloat16Li64ELi4ELi16ELi8ELi2ELi5EEviiiiiiPKT_S3_S3_PS1_ii,comdat
.Lfunc_end305:
	.size	_Z16wvSplitK_hf_sml_I14__hip_bfloat16Li64ELi4ELi16ELi8ELi2ELi5EEviiiiiiPKT_S3_S3_PS1_ii, .Lfunc_end305-_Z16wvSplitK_hf_sml_I14__hip_bfloat16Li64ELi4ELi16ELi8ELi2ELi5EEviiiiiiPKT_S3_S3_PS1_ii
                                        ; -- End function
	.section	.AMDGPU.csdata,"",@progbits
; Kernel info:
; codeLenInByte = 8500
; NumSgprs: 43
; NumVgprs: 128
; NumAgprs: 0
; TotalNumVgprs: 128
; ScratchSize: 224
; MemoryBound: 0
; FloatMode: 240
; IeeeMode: 1
; LDSByteSize: 65536 bytes/workgroup (compile time only)
; SGPRBlocks: 5
; VGPRBlocks: 15
; NumSGPRsForWavesPerEU: 43
; NumVGPRsForWavesPerEU: 128
; AccumOffset: 128
; Occupancy: 4
; WaveLimiterHint : 0
; COMPUTE_PGM_RSRC2:SCRATCH_EN: 1
; COMPUTE_PGM_RSRC2:USER_SGPR: 2
; COMPUTE_PGM_RSRC2:TRAP_HANDLER: 0
; COMPUTE_PGM_RSRC2:TGID_X_EN: 1
; COMPUTE_PGM_RSRC2:TGID_Y_EN: 0
; COMPUTE_PGM_RSRC2:TGID_Z_EN: 0
; COMPUTE_PGM_RSRC2:TIDIG_COMP_CNT: 1
; COMPUTE_PGM_RSRC3_GFX90A:ACCUM_OFFSET: 31
; COMPUTE_PGM_RSRC3_GFX90A:TG_SPLIT: 0
	.section	.text._Z12wvSplitK_hf_I14__hip_bfloat16Li64ELi4ELi16ELi8ELi2ELi5EEviiiiiiPKT_S3_S3_PS1_ii,"axG",@progbits,_Z12wvSplitK_hf_I14__hip_bfloat16Li64ELi4ELi16ELi8ELi2ELi5EEviiiiiiPKT_S3_S3_PS1_ii,comdat
	.protected	_Z12wvSplitK_hf_I14__hip_bfloat16Li64ELi4ELi16ELi8ELi2ELi5EEviiiiiiPKT_S3_S3_PS1_ii ; -- Begin function _Z12wvSplitK_hf_I14__hip_bfloat16Li64ELi4ELi16ELi8ELi2ELi5EEviiiiiiPKT_S3_S3_PS1_ii
	.globl	_Z12wvSplitK_hf_I14__hip_bfloat16Li64ELi4ELi16ELi8ELi2ELi5EEviiiiiiPKT_S3_S3_PS1_ii
	.p2align	8
	.type	_Z12wvSplitK_hf_I14__hip_bfloat16Li64ELi4ELi16ELi8ELi2ELi5EEviiiiiiPKT_S3_S3_PS1_ii,@function
_Z12wvSplitK_hf_I14__hip_bfloat16Li64ELi4ELi16ELi8ELi2ELi5EEviiiiiiPKT_S3_S3_PS1_ii: ; @_Z12wvSplitK_hf_I14__hip_bfloat16Li64ELi4ELi16ELi8ELi2ELi5EEviiiiiiPKT_S3_S3_PS1_ii
; %bb.0:
	s_load_dwordx2 s[8:9], s[0:1], 0x38
	s_load_dwordx4 s[12:15], s[0:1], 0x0
	s_load_dwordx2 s[20:21], s[0:1], 0x10
	v_mov_b32_e32 v1, v0
	v_bfe_u32 v2, v1, 10, 10
	s_waitcnt lgkmcnt(0)
	s_mul_i32 s2, s2, s8
	v_add_lshl_u32 v90, s2, v2, 2
	s_mov_b32 s4, 1
	v_add_u32_e32 v0, 4, v90
	s_mov_b32 s6, s4
	s_mov_b32 s7, s4
	v_cmp_gt_u32_e32 vcc, s15, v90
	v_cmp_le_u32_e64 s[2:3], s15, v0
	s_mov_b32 s5, s4
	v_mov_b64_e32 v[88:89], s[6:7]
	s_and_b64 s[10:11], vcc, s[2:3]
	v_mov_b64_e32 v[86:87], s[4:5]
	s_and_saveexec_b64 s[2:3], s[10:11]
	s_cbranch_execz .LBB306_6
; %bb.1:
	s_add_i32 s22, s15, -4
	v_mov_b64_e32 v[88:89], s[6:7]
	v_cmp_ne_u32_e32 vcc, s22, v90
	v_mov_b64_e32 v[86:87], s[4:5]
	s_and_saveexec_b64 s[10:11], vcc
	s_cbranch_execz .LBB306_5
; %bb.2:
	v_subrev_u32_e32 v0, s22, v90
	v_cmp_lt_u32_e32 vcc, 1, v0
	s_mov_b64 s[16:17], 0
	s_mov_b64 s[18:19], 0
	v_cndmask_b32_e32 v0, 1, v0, vcc
	s_mov_b32 s5, s4
	s_mov_b32 s6, s4
	;; [unrolled: 1-line block ×3, first 2 shown]
.LBB306_3:                              ; =>This Inner Loop Header: Depth=1
	s_cmp_lg_u32 s18, 3
	s_cselect_b32 s7, s7, 0
	s_cmp_lg_u32 s18, 2
	s_cselect_b32 s6, s6, 0
	;; [unrolled: 2-line block ×4, first 2 shown]
	s_add_u32 s18, s18, 1
	s_addc_u32 s19, s19, 0
	v_cmp_eq_u32_e32 vcc, s18, v0
	v_mov_b64_e32 v[88:89], s[6:7]
	s_or_b64 s[16:17], vcc, s[16:17]
	v_mov_b64_e32 v[86:87], s[4:5]
	s_andn2_b64 exec, exec, s[16:17]
	s_cbranch_execnz .LBB306_3
; %bb.4:
	s_or_b64 exec, exec, s[16:17]
	v_mov_b32_e32 v90, s22
.LBB306_5:
	s_or_b64 exec, exec, s[10:11]
.LBB306_6:
	s_or_b64 exec, exec, s[2:3]
	s_load_dwordx4 s[16:19], s[0:1], 0x20
	v_and_b32_e32 v3, 0x3ff, v1
	v_lshlrev_b32_e32 v4, 3, v3
	s_mul_i32 s2, s14, 5
	v_mov_b32_e32 v0, v4
	v_lshl_add_u32 v4, v2, 9, v4
	s_min_u32 s10, s2, 0x8000
	v_cmp_gt_u32_e32 vcc, s10, v4
	scratch_store_dwordx2 off, v[0:1], off offset:176 ; 8-byte Folded Spill
	s_and_saveexec_b64 s[2:3], vcc
	s_cbranch_execz .LBB306_9
; %bb.7:
	v_mov_b32_e32 v7, 0
	v_lshlrev_b32_e32 v6, 10, v2
	v_lshlrev_b32_e32 v8, 4, v3
	v_mov_b32_e32 v9, v7
	v_lshl_add_u64 v[0:1], v[6:7], 0, v[8:9]
	s_waitcnt lgkmcnt(0)
	v_lshl_add_u64 v[0:1], s[16:17], 0, v[0:1]
	v_add_u32_e32 v5, v6, v8
	s_mov_b64 s[4:5], 0
	s_mov_b64 s[6:7], 0x4000
.LBB306_8:                              ; =>This Inner Loop Header: Depth=1
	global_load_dwordx4 v[6:9], v[0:1], off
	v_add_u32_e32 v4, 0x2000, v4
	v_cmp_le_u32_e32 vcc, s10, v4
	v_lshl_add_u64 v[0:1], v[0:1], 0, s[6:7]
	s_or_b64 s[4:5], vcc, s[4:5]
	s_waitcnt vmcnt(0)
	ds_write_b128 v5, v[6:9]
	v_add_u32_e32 v5, 0x4000, v5
	s_andn2_b64 exec, exec, s[4:5]
	s_cbranch_execnz .LBB306_8
.LBB306_9:
	s_or_b64 exec, exec, s[2:3]
	v_cmp_gt_u32_e32 vcc, s8, v2
	v_cmp_gt_u32_e64 s[2:3], s15, v90
	s_and_b64 s[2:3], vcc, s[2:3]
	s_waitcnt lgkmcnt(0)
	s_barrier
	s_and_saveexec_b64 s[4:5], s[2:3]
	s_cbranch_execz .LBB306_190
; %bb.10:
	s_cmp_lg_u32 s12, 0
	v_cvt_f32_u32_e32 v0, s20
	s_cselect_b64 s[2:3], -1, 0
	s_add_i32 s33, s12, -8
	s_add_i32 s40, s15, -1
	s_mul_i32 s4, s8, s9
	s_cmp_lg_u64 s[18:19], 0
	s_cselect_b64 s[28:29], -1, 0
	s_lshl_b32 s41, s4, 2
	s_abs_i32 s4, s21
	v_rcp_iflag_f32_e32 v0, v0
	v_cvt_f32_u32_e32 v1, s4
	s_sub_i32 s5, 0, s20
	s_load_dwordx2 s[22:23], s[0:1], 0x18
	s_load_dwordx2 s[24:25], s[0:1], 0x30
	v_mul_f32_e32 v0, 0x4f7ffffe, v0
	v_rcp_iflag_f32_e32 v1, v1
	v_cvt_u32_f32_e32 v0, v0
	s_add_i32 s42, s15, -4
	s_lshl_b32 s21, s14, 1
	v_mul_f32_e32 v1, 0x4f7ffffe, v1
	v_mul_lo_u32 v2, s5, v0
	v_cvt_u32_f32_e32 v1, v1
	v_mul_hi_u32 v2, v0, v2
	v_add_u32_e32 v0, v0, v2
	scratch_store_dword off, v0, off offset:248 ; 4-byte Folded Spill
	v_lshlrev_b32_e32 v0, 4, v3
	v_readfirstlane_b32 s6, v1
	scratch_store_dword off, v0, off offset:244 ; 4-byte Folded Spill
	scratch_load_dwordx2 v[0:1], off, off offset:176 ; 8-byte Folded Reload
	s_sub_i32 s5, 0, s4
	s_mul_i32 s5, s5, s6
	s_mul_hi_u32 s5, s6, s5
	s_add_i32 s6, s6, s5
	s_sub_i32 s5, 1, s4
	s_cmp_lt_u32 s4, 2
	s_cselect_b32 s5, s5, 1
	s_sub_i32 s7, s5, s4
	s_cmp_ge_u32 s5, s4
	s_cselect_b32 s43, s7, s5
	s_lshr_b32 s5, s6, 31
	s_mul_i32 s5, s5, s4
	s_sub_i32 s5, 2, s5
	s_sub_i32 s7, s5, s4
	s_cmp_ge_u32 s5, s4
	s_cselect_b32 s5, s7, s5
	s_sub_i32 s7, s5, s4
	s_cmp_ge_u32 s5, s4
	s_cselect_b32 s44, s7, s5
	s_mul_hi_u32 s5, s6, 3
	s_mul_i32 s5, s5, s4
	s_sub_i32 s5, 3, s5
	s_sub_i32 s7, s5, s4
	s_cmp_ge_u32 s5, s4
	s_cselect_b32 s5, s7, s5
	s_sub_i32 s7, s5, s4
	s_cmp_ge_u32 s5, s4
	s_cselect_b32 s45, s7, s5
	s_lshr_b32 s5, s6, 30
	s_mul_i32 s5, s5, s4
	s_sub_i32 s5, 4, s5
	s_sub_i32 s6, s5, s4
	s_cmp_ge_u32 s5, s4
	s_cselect_b32 s5, s6, s5
	s_sub_i32 s6, s5, s4
	s_cmp_ge_u32 s5, s4
	s_cselect_b32 s46, s6, s5
	s_lshl_b32 s47, s14, 2
	v_cmp_eq_u32_e64 s[0:1], 63, v3
	s_mov_b64 s[26:27], 0
	v_mov_b32_e32 v43, 0
	s_mul_i32 s43, s43, s20
	s_mul_i32 s44, s44, s20
	;; [unrolled: 1-line block ×5, first 2 shown]
	s_lshl_b32 s49, s14, 3
	s_mov_b32 s50, 0x7f800000
	s_mov_b32 s30, 0
	s_waitcnt vmcnt(0)
	v_add_u32_e32 v127, s21, v0
	v_mad_u64_u32 v[2:3], s[4:5], s14, 3, v[0:1]
	v_add_u32_e32 v1, s47, v0
	v_add_u32_e32 v45, s14, v0
	v_cndmask_b32_e64 v0, 0, 1, s[2:3]
	v_cmp_ne_u32_e64 s[2:3], 1, v0
	s_movk_i32 s14, 0x7fff
	scratch_store_dwordx2 off, v[2:3], off offset:184 ; 8-byte Folded Spill
	scratch_store_dword off, v1, off offset:192 ; 4-byte Folded Spill
	s_branch .LBB306_13
.LBB306_11:                             ;   in Loop: Header=BB306_13 Depth=1
	s_or_b64 exec, exec, s[8:9]
	v_mov_b32_e32 v90, s42
.LBB306_12:                             ;   in Loop: Header=BB306_13 Depth=1
	s_or_b64 exec, exec, s[6:7]
	v_cmp_le_u32_e32 vcc, s15, v90
	s_or_b64 s[26:27], vcc, s[26:27]
	s_andn2_b64 exec, exec, s[26:27]
	s_cbranch_execz .LBB306_190
.LBB306_13:                             ; =>This Loop Header: Depth=1
                                        ;     Child Loop BB306_15 Depth 2
                                        ;     Child Loop BB306_188 Depth 2
	s_and_b64 vcc, exec, s[2:3]
	v_add_u32_e32 v96, 1, v90
	v_add_u32_e32 v94, 2, v90
	;; [unrolled: 1-line block ×3, first 2 shown]
	v_mov_b32_e32 v109, v43
	v_mov_b32_e32 v108, v43
	;; [unrolled: 1-line block ×24, first 2 shown]
	s_waitcnt vmcnt(11)
	v_mov_b32_e32 v49, v43
	s_waitcnt vmcnt(10)
	v_mov_b32_e32 v48, v43
	s_waitcnt vmcnt(9)
	v_mov_b32_e32 v47, v43
	s_waitcnt vmcnt(8)
	v_mov_b32_e32 v46, v43
	v_mov_b32_e32 v53, v43
	v_mov_b32_e32 v52, v43
	;; [unrolled: 1-line block ×36, first 2 shown]
	s_waitcnt vmcnt(2)
	v_mov_b32_e32 v27, v43
	v_mov_b32_e32 v26, v43
	;; [unrolled: 1-line block ×5, first 2 shown]
	s_waitcnt vmcnt(1)
	v_mov_b32_e32 v22, v43
	v_mov_b32_e32 v21, v43
	;; [unrolled: 1-line block ×11, first 2 shown]
	s_cbranch_vccnz .LBB306_62
; %bb.14:                               ;   in Loop: Header=BB306_13 Depth=1
	scratch_load_dword v44, off, off offset:244 ; 4-byte Folded Reload
	v_mov_b32_e32 v0, v90
	scratch_store_dwordx2 off, v[0:1], off offset:212 ; 8-byte Folded Spill
	v_min_u32_e32 v0, s40, v90
	v_mul_lo_u32 v42, v0, s13
	v_mov_b32_e32 v0, v96
	scratch_store_dwordx2 off, v[0:1], off offset:236 ; 8-byte Folded Spill
	v_min_u32_e32 v0, s40, v96
	v_mov_b32_e32 v2, v94
	v_mul_lo_u32 v0, v0, s13
	v_mov_b32_e32 v1, v43
	scratch_store_dwordx2 off, v[2:3], off offset:228 ; 8-byte Folded Spill
	v_min_u32_e32 v2, s40, v94
	v_mov_b32_e32 v4, v92
	v_mul_lo_u32 v2, v2, s13
	v_mov_b32_e32 v3, v43
	scratch_store_dwordx2 off, v[4:5], off offset:220 ; 8-byte Folded Spill
	v_min_u32_e32 v4, s40, v92
	v_lshlrev_b64 v[0:1], 1, v[0:1]
	v_mul_lo_u32 v4, v4, s13
	v_mov_b32_e32 v5, v43
	scratch_store_dwordx2 off, v[0:1], off offset:152 ; 8-byte Folded Spill
	v_lshlrev_b64 v[0:1], 1, v[2:3]
	v_mov_b32_e32 v38, 0
	scratch_store_dwordx2 off, v[0:1], off offset:160 ; 8-byte Folded Spill
	v_lshlrev_b64 v[0:1], 1, v[4:5]
	s_mov_b32 s4, 0
	v_lshlrev_b64 v[6:7], 1, v[42:43]
	scratch_store_dwordx2 off, v[0:1], off offset:168 ; 8-byte Folded Spill
	s_mov_b32 s34, 0
	v_mov_b32_e32 v39, v38
	v_mov_b32_e32 v40, v38
	;; [unrolled: 1-line block ×47, first 2 shown]
	scratch_store_dwordx4 off, v[86:89], off offset:196 ; 16-byte Folded Spill
	scratch_store_dwordx2 off, v[6:7], off offset:144 ; 8-byte Folded Spill
	scratch_store_dwordx4 off, v[0:3], off  ; 16-byte Folded Spill
	scratch_store_dwordx4 off, v[0:3], off offset:16 ; 16-byte Folded Spill
	scratch_store_dwordx4 off, v[0:3], off offset:32 ; 16-byte Folded Spill
	;; [unrolled: 1-line block ×8, first 2 shown]
.LBB306_15:                             ;   Parent Loop BB306_13 Depth=1
                                        ; =>  This Inner Loop Header: Depth=2
	scratch_load_dwordx2 v[0:1], off, off offset:176 ; 8-byte Folded Reload
	s_nop 0
	scratch_load_dwordx2 v[10:11], off, off offset:152 ; 8-byte Folded Reload
	scratch_load_dwordx2 v[8:9], off, off offset:144 ; 8-byte Folded Reload
	s_mov_b32 s5, s4
	v_mov_b64_e32 v[118:119], s[4:5]
	v_mov_b32_e32 v27, 0
	v_mov_b32_e32 v26, 0
	;; [unrolled: 1-line block ×4, first 2 shown]
	v_mov_b64_e32 v[120:121], s[4:5]
	v_mov_b64_e32 v[22:23], s[4:5]
	;; [unrolled: 1-line block ×12, first 2 shown]
	s_waitcnt vmcnt(2)
	v_add_u32_e32 v0, s34, v0
	v_min_u32_e32 v42, s33, v0
	s_waitcnt lgkmcnt(0)
	v_lshl_add_u64 v[2:3], v[42:43], 1, s[22:23]
	s_waitcnt vmcnt(0)
	v_lshl_add_u64 v[4:5], v[2:3], 0, v[8:9]
	v_lshl_add_u64 v[6:7], v[2:3], 0, v[10:11]
	global_load_dwordx4 v[94:97], v[4:5], off nt
	global_load_dwordx4 v[90:93], v[6:7], off nt
	scratch_load_dwordx2 v[12:13], off, off offset:160 ; 8-byte Folded Reload
	scratch_load_dwordx2 v[14:15], off, off offset:168 ; 8-byte Folded Reload
	v_add_u32_e32 v126, 0x200, v0
	v_min_u32_e32 v42, s33, v126
	v_cmp_gt_u32_e32 vcc, s12, v0
	s_waitcnt vmcnt(1)
	v_lshl_add_u64 v[4:5], v[2:3], 0, v[12:13]
	s_waitcnt vmcnt(0)
	v_lshl_add_u64 v[2:3], v[2:3], 0, v[14:15]
	global_load_dwordx4 v[102:105], v[4:5], off nt
	global_load_dwordx4 v[98:101], v[2:3], off nt
	v_lshl_add_u64 v[2:3], v[42:43], 1, s[22:23]
	v_lshl_add_u64 v[4:5], v[2:3], 0, v[8:9]
	;; [unrolled: 1-line block ×3, first 2 shown]
	global_load_dwordx4 v[110:113], v[4:5], off nt
	global_load_dwordx4 v[106:109], v[6:7], off nt
	v_lshl_add_u64 v[4:5], v[2:3], 0, v[12:13]
	v_lshl_add_u64 v[2:3], v[2:3], 0, v[14:15]
	global_load_dwordx4 v[114:117], v[4:5], off nt
	global_load_dwordx4 v[86:89], v[2:3], off nt
	v_mov_b64_e32 v[6:7], s[4:5]
	v_mov_b64_e32 v[8:9], s[4:5]
	;; [unrolled: 1-line block ×5, first 2 shown]
	s_and_saveexec_b64 s[6:7], vcc
	s_cbranch_execz .LBB306_59
; %bb.16:                               ;   in Loop: Header=BB306_15 Depth=2
	v_cmp_lt_u32_e32 vcc, s14, v0
                                        ; implicit-def: $vgpr118_vgpr119
	s_and_saveexec_b64 s[8:9], vcc
	s_xor_b64 s[8:9], exec, s[8:9]
	s_cbranch_execz .LBB306_18
; %bb.17:                               ;   in Loop: Header=BB306_15 Depth=2
	v_mov_b32_e32 v1, v43
	v_lshl_add_u64 v[0:1], v[0:1], 1, s[16:17]
	global_load_dwordx4 v[118:121], v[0:1], off
.LBB306_18:                             ;   in Loop: Header=BB306_15 Depth=2
	s_andn2_saveexec_b64 s[8:9], s[8:9]
	s_cbranch_execz .LBB306_20
; %bb.19:                               ;   in Loop: Header=BB306_15 Depth=2
	s_waitcnt vmcnt(0)
	ds_read_b128 v[118:121], v44
.LBB306_20:                             ;   in Loop: Header=BB306_15 Depth=2
	s_or_b64 exec, exec, s[8:9]
	v_add_u32_e32 v42, s34, v45
	v_cmp_lt_u32_e32 vcc, s14, v42
                                        ; implicit-def: $vgpr122_vgpr123
	s_and_saveexec_b64 s[8:9], vcc
	s_xor_b64 s[8:9], exec, s[8:9]
	s_cbranch_execz .LBB306_22
; %bb.21:                               ;   in Loop: Header=BB306_15 Depth=2
	v_lshl_add_u64 v[0:1], v[42:43], 1, s[16:17]
	global_load_dwordx4 v[122:125], v[0:1], off
.LBB306_22:                             ;   in Loop: Header=BB306_15 Depth=2
	s_andn2_saveexec_b64 s[8:9], s[8:9]
	s_cbranch_execz .LBB306_24
; %bb.23:                               ;   in Loop: Header=BB306_15 Depth=2
	v_add_u32_e32 v0, s21, v44
	s_waitcnt vmcnt(0)
	ds_read_b128 v[122:125], v0
.LBB306_24:                             ;   in Loop: Header=BB306_15 Depth=2
	s_or_b64 exec, exec, s[8:9]
	v_add_u32_e32 v2, s34, v127
	v_cmp_lt_u32_e32 vcc, s14, v2
                                        ; implicit-def: $vgpr6_vgpr7
	s_and_saveexec_b64 s[8:9], vcc
	s_xor_b64 s[8:9], exec, s[8:9]
	s_cbranch_execz .LBB306_26
; %bb.25:                               ;   in Loop: Header=BB306_15 Depth=2
	v_mov_b32_e32 v3, v43
	v_lshl_add_u64 v[0:1], v[2:3], 1, s[16:17]
	global_load_dwordx4 v[6:9], v[0:1], off
.LBB306_26:                             ;   in Loop: Header=BB306_15 Depth=2
	s_andn2_saveexec_b64 s[8:9], s[8:9]
	s_cbranch_execz .LBB306_28
; %bb.27:                               ;   in Loop: Header=BB306_15 Depth=2
	v_add_u32_e32 v0, s47, v44
	s_waitcnt vmcnt(0)
	ds_read2_b32 v[6:7], v0 offset1:1
	ds_read2_b32 v[8:9], v0 offset0:2 offset1:3
.LBB306_28:                             ;   in Loop: Header=BB306_15 Depth=2
	s_or_b64 exec, exec, s[8:9]
	scratch_load_dwordx2 v[0:1], off, off offset:184 ; 8-byte Folded Reload
                                        ; implicit-def: $vgpr10_vgpr11
	s_waitcnt vmcnt(0)
	v_add_u32_e32 v4, s34, v0
	v_cmp_lt_u32_e32 vcc, s14, v4
	s_and_saveexec_b64 s[8:9], vcc
	s_xor_b64 s[8:9], exec, s[8:9]
	s_cbranch_execz .LBB306_30
; %bb.29:                               ;   in Loop: Header=BB306_15 Depth=2
	v_mov_b32_e32 v5, v43
	v_lshl_add_u64 v[0:1], v[4:5], 1, s[16:17]
	global_load_dwordx4 v[10:13], v[0:1], off
.LBB306_30:                             ;   in Loop: Header=BB306_15 Depth=2
	s_andn2_saveexec_b64 s[8:9], s[8:9]
	s_cbranch_execz .LBB306_32
; %bb.31:                               ;   in Loop: Header=BB306_15 Depth=2
	v_add_u32_e32 v0, s48, v44
	s_waitcnt vmcnt(0)
	ds_read_b128 v[10:13], v0
.LBB306_32:                             ;   in Loop: Header=BB306_15 Depth=2
	s_or_b64 exec, exec, s[8:9]
	scratch_load_dword v0, off, off offset:192 ; 4-byte Folded Reload
                                        ; implicit-def: $vgpr14_vgpr15
	s_waitcnt vmcnt(0)
	v_add_u32_e32 v0, s34, v0
	v_cmp_lt_u32_e32 vcc, s14, v0
	s_and_saveexec_b64 s[8:9], vcc
	s_xor_b64 s[8:9], exec, s[8:9]
	s_cbranch_execz .LBB306_34
; %bb.33:                               ;   in Loop: Header=BB306_15 Depth=2
	v_mov_b32_e32 v1, v43
	v_lshl_add_u64 v[14:15], v[0:1], 1, s[16:17]
	global_load_dwordx4 v[14:17], v[14:15], off
.LBB306_34:                             ;   in Loop: Header=BB306_15 Depth=2
	s_andn2_saveexec_b64 s[8:9], s[8:9]
	s_cbranch_execz .LBB306_36
; %bb.35:                               ;   in Loop: Header=BB306_15 Depth=2
	v_add_u32_e32 v1, s49, v44
	s_waitcnt vmcnt(0)
	ds_read2_b64 v[14:17], v1 offset1:1
.LBB306_36:                             ;   in Loop: Header=BB306_15 Depth=2
	s_or_b64 exec, exec, s[8:9]
	s_mov_b32 s31, s30
	v_cmp_gt_u32_e32 vcc, s12, v126
	v_mov_b32_e32 v27, 0
	v_mov_b64_e32 v[22:23], s[30:31]
	v_mov_b32_e32 v26, 0
	v_mov_b32_e32 v29, 0
	;; [unrolled: 1-line block ×3, first 2 shown]
	v_mov_b64_e32 v[24:25], s[30:31]
	v_mov_b64_e32 v[34:35], s[30:31]
	;; [unrolled: 1-line block ×7, first 2 shown]
	s_and_saveexec_b64 s[8:9], vcc
	s_cbranch_execz .LBB306_58
; %bb.37:                               ;   in Loop: Header=BB306_15 Depth=2
	v_cmp_lt_u32_e32 vcc, s14, v126
                                        ; implicit-def: $vgpr22_vgpr23
	s_and_saveexec_b64 s[10:11], vcc
	s_xor_b64 s[10:11], exec, s[10:11]
	s_cbranch_execz .LBB306_39
; %bb.38:                               ;   in Loop: Header=BB306_15 Depth=2
	v_mov_b32_e32 v1, v127
	v_mov_b32_e32 v127, v43
	v_lshl_add_u64 v[18:19], v[126:127], 1, s[16:17]
	global_load_dwordx4 v[22:25], v[18:19], off
	v_mov_b32_e32 v127, v1
.LBB306_39:                             ;   in Loop: Header=BB306_15 Depth=2
	s_andn2_saveexec_b64 s[10:11], s[10:11]
	s_cbranch_execz .LBB306_41
; %bb.40:                               ;   in Loop: Header=BB306_15 Depth=2
	s_waitcnt vmcnt(0)
	ds_read_b128 v[22:25], v44 offset:1024
.LBB306_41:                             ;   in Loop: Header=BB306_15 Depth=2
	s_or_b64 exec, exec, s[10:11]
	v_add_u32_e32 v42, 0x200, v42
	v_cmp_lt_u32_e32 vcc, s14, v42
                                        ; implicit-def: $vgpr34_vgpr35
	s_and_saveexec_b64 s[10:11], vcc
	s_xor_b64 s[10:11], exec, s[10:11]
	s_cbranch_execz .LBB306_43
; %bb.42:                               ;   in Loop: Header=BB306_15 Depth=2
	v_lshl_add_u64 v[18:19], v[42:43], 1, s[16:17]
	global_load_dwordx4 v[34:37], v[18:19], off
.LBB306_43:                             ;   in Loop: Header=BB306_15 Depth=2
	s_andn2_saveexec_b64 s[10:11], s[10:11]
	s_cbranch_execz .LBB306_45
; %bb.44:                               ;   in Loop: Header=BB306_15 Depth=2
	v_add_u32_e32 v1, s21, v44
	s_waitcnt vmcnt(0)
	ds_read_b128 v[34:37], v1 offset:1024
.LBB306_45:                             ;   in Loop: Header=BB306_15 Depth=2
	s_or_b64 exec, exec, s[10:11]
	v_add_u32_e32 v42, 0x200, v2
	v_cmp_lt_u32_e32 vcc, s14, v42
                                        ; implicit-def: $vgpr30_vgpr31
	s_and_saveexec_b64 s[10:11], vcc
	s_xor_b64 s[10:11], exec, s[10:11]
	s_cbranch_execz .LBB306_47
; %bb.46:                               ;   in Loop: Header=BB306_15 Depth=2
	v_lshl_add_u64 v[2:3], v[42:43], 1, s[16:17]
	global_load_dwordx4 v[30:33], v[2:3], off
.LBB306_47:                             ;   in Loop: Header=BB306_15 Depth=2
	s_andn2_saveexec_b64 s[10:11], s[10:11]
	s_cbranch_execz .LBB306_49
; %bb.48:                               ;   in Loop: Header=BB306_15 Depth=2
	v_add_u32_e32 v1, s47, v44
	v_add_u32_e32 v2, 0x400, v1
	;; [unrolled: 1-line block ×3, first 2 shown]
	s_waitcnt vmcnt(0)
	ds_read2_b32 v[30:31], v2 offset1:1
	ds_read2_b32 v[32:33], v1 offset1:1
.LBB306_49:                             ;   in Loop: Header=BB306_15 Depth=2
	s_or_b64 exec, exec, s[10:11]
	v_add_u32_e32 v42, 0x200, v4
	v_cmp_lt_u32_e32 vcc, s14, v42
                                        ; implicit-def: $vgpr18_vgpr19
	s_and_saveexec_b64 s[10:11], vcc
	s_xor_b64 s[10:11], exec, s[10:11]
	s_cbranch_execz .LBB306_51
; %bb.50:                               ;   in Loop: Header=BB306_15 Depth=2
	v_lshl_add_u64 v[2:3], v[42:43], 1, s[16:17]
	global_load_dwordx4 v[18:21], v[2:3], off
.LBB306_51:                             ;   in Loop: Header=BB306_15 Depth=2
	s_andn2_saveexec_b64 s[10:11], s[10:11]
	s_cbranch_execz .LBB306_53
; %bb.52:                               ;   in Loop: Header=BB306_15 Depth=2
	v_add_u32_e32 v1, s48, v44
	s_waitcnt vmcnt(0)
	ds_read_b128 v[18:21], v1 offset:1024
.LBB306_53:                             ;   in Loop: Header=BB306_15 Depth=2
	s_or_b64 exec, exec, s[10:11]
	v_add_u32_e32 v42, 0x200, v0
	v_cmp_lt_u32_e32 vcc, s14, v42
                                        ; implicit-def: $vgpr27
	s_and_saveexec_b64 s[10:11], vcc
	s_xor_b64 s[10:11], exec, s[10:11]
	s_cbranch_execz .LBB306_55
; %bb.54:                               ;   in Loop: Header=BB306_15 Depth=2
	v_lshl_add_u64 v[0:1], v[42:43], 1, s[16:17]
	global_load_dwordx4 v[26:29], v[0:1], off
.LBB306_55:                             ;   in Loop: Header=BB306_15 Depth=2
	s_andn2_saveexec_b64 s[10:11], s[10:11]
	s_cbranch_execz .LBB306_57
; %bb.56:                               ;   in Loop: Header=BB306_15 Depth=2
	v_add_u32_e32 v0, s49, v44
	s_waitcnt vmcnt(0)
	ds_read2_b64 v[26:29], v0 offset0:128 offset1:129
.LBB306_57:                             ;   in Loop: Header=BB306_15 Depth=2
	s_or_b64 exec, exec, s[10:11]
.LBB306_58:                             ;   in Loop: Header=BB306_15 Depth=2
	s_or_b64 exec, exec, s[8:9]
.LBB306_59:                             ;   in Loop: Header=BB306_15 Depth=2
	s_or_b64 exec, exec, s[6:7]
	s_waitcnt lgkmcnt(0)
	v_mfma_f32_4x4x4_16b_bf16 v[0:3], v[118:119], v[94:95], v[82:85]
	s_addk_i32 s34, 0x400
	v_mfma_f32_4x4x4_16b_bf16 v[78:81], v[118:119], v[90:91], v[78:81]
	v_add_u32_e32 v44, 0x800, v44
	v_mfma_f32_4x4x4_16b_bf16 v[0:3], v[120:121], v[96:97], v[0:3]
	s_cmp_ge_u32 s34, s12
	v_mfma_f32_4x4x4_16b_bf16 v[78:81], v[120:121], v[92:93], v[78:81]
	s_waitcnt vmcnt(5)
	v_mfma_f32_4x4x4_16b_bf16 v[74:77], v[118:119], v[102:103], v[74:77]
	s_waitcnt vmcnt(0)
	v_mfma_f32_4x4x4_16b_bf16 v[0:3], v[22:23], v[110:111], v[0:3]
	v_mfma_f32_4x4x4_16b_bf16 v[74:77], v[120:121], v[104:105], v[74:77]
	;; [unrolled: 1-line block ×6, first 2 shown]
	s_nop 0
	v_mfma_f32_4x4x4_16b_bf16 v[78:81], v[24:25], v[108:109], v[0:3]
	v_mfma_f32_4x4x4_16b_bf16 v[0:3], v[22:23], v[114:115], v[74:77]
	v_mfma_f32_4x4x4_16b_bf16 v[58:61], v[122:123], v[102:103], v[58:61]
	s_nop 0
	v_mfma_f32_4x4x4_16b_bf16 v[74:77], v[24:25], v[116:117], v[0:3]
	v_mfma_f32_4x4x4_16b_bf16 v[0:3], v[22:23], v[86:87], v[70:73]
	v_mfma_f32_4x4x4_16b_bf16 v[58:61], v[124:125], v[104:105], v[58:61]
	;; [unrolled: 4-line block ×3, first 2 shown]
	s_nop 0
	v_mfma_f32_4x4x4_16b_bf16 v[0:3], v[124:125], v[96:97], v[0:3]
	v_mfma_f32_4x4x4_16b_bf16 v[22:25], v[124:125], v[92:93], v[22:25]
	s_nop 0
	v_mfma_f32_4x4x4_16b_bf16 v[0:3], v[34:35], v[110:111], v[0:3]
	v_mfma_f32_4x4x4_16b_bf16 v[54:57], v[122:123], v[98:99], v[54:57]
	;; [unrolled: 3-line block ×3, first 2 shown]
	v_mfma_f32_4x4x4_16b_bf16 v[54:57], v[124:125], v[100:101], v[54:57]
	scratch_load_dwordx4 v[22:25], off, off offset:16 ; 16-byte Folded Reload
	v_mfma_f32_4x4x4_16b_bf16 v[62:65], v[36:37], v[108:109], v[0:3]
	v_mfma_f32_4x4x4_16b_bf16 v[0:3], v[34:35], v[114:115], v[58:61]
	s_nop 1
	v_mfma_f32_4x4x4_16b_bf16 v[58:61], v[36:37], v[116:117], v[0:3]
	v_mfma_f32_4x4x4_16b_bf16 v[0:3], v[34:35], v[86:87], v[54:57]
	s_nop 1
	v_mfma_f32_4x4x4_16b_bf16 v[54:57], v[36:37], v[88:89], v[0:3]
	scratch_load_dwordx4 v[34:37], off, off ; 16-byte Folded Reload
	s_waitcnt vmcnt(1)
	v_mfma_f32_4x4x4_16b_bf16 v[22:25], v[6:7], v[90:91], v[22:25]
	scratch_load_dwordx4 v[0:3], off, off offset:32 ; 16-byte Folded Reload
	s_waitcnt vmcnt(0)
	v_mfma_f32_4x4x4_16b_bf16 v[0:3], v[6:7], v[94:95], v[0:3]
	s_nop 1
	v_mfma_f32_4x4x4_16b_bf16 v[0:3], v[8:9], v[96:97], v[0:3]
	v_mfma_f32_4x4x4_16b_bf16 v[22:25], v[8:9], v[92:93], v[22:25]
	s_nop 0
	v_mfma_f32_4x4x4_16b_bf16 v[0:3], v[30:31], v[110:111], v[0:3]
	v_mfma_f32_4x4x4_16b_bf16 v[34:37], v[6:7], v[102:103], v[34:37]
	s_nop 0
	v_mfma_f32_4x4x4_16b_bf16 v[0:3], v[32:33], v[112:113], v[0:3]
	v_mfma_f32_4x4x4_16b_bf16 v[34:37], v[8:9], v[104:105], v[34:37]
	v_mfma_f32_4x4x4_16b_bf16 v[4:7], v[6:7], v[98:99], v[38:41]
	s_nop 2
	scratch_store_dwordx4 off, v[0:3], off offset:32 ; 16-byte Folded Spill
	v_mfma_f32_4x4x4_16b_bf16 v[4:7], v[8:9], v[100:101], v[4:7]
	s_nop 0
	v_mfma_f32_4x4x4_16b_bf16 v[0:3], v[30:31], v[106:107], v[22:25]
	s_nop 0
	scratch_load_dwordx4 v[22:25], off, off offset:128 ; 16-byte Folded Reload
	v_mfma_f32_4x4x4_16b_bf16 v[0:3], v[32:33], v[108:109], v[0:3]
	s_nop 4
	scratch_store_dwordx4 off, v[0:3], off offset:16 ; 16-byte Folded Spill
	s_nop 1
	v_mfma_f32_4x4x4_16b_bf16 v[0:3], v[30:31], v[114:115], v[34:37]
	s_nop 1
	v_mfma_f32_4x4x4_16b_bf16 v[0:3], v[32:33], v[116:117], v[0:3]
	s_nop 4
	scratch_store_dwordx4 off, v[0:3], off  ; 16-byte Folded Spill
	s_nop 1
	v_mfma_f32_4x4x4_16b_bf16 v[0:3], v[30:31], v[86:87], v[4:7]
	v_mfma_f32_4x4x4_16b_bf16 v[4:7], v[10:11], v[90:91], v[46:49]
	s_nop 0
	v_mfma_f32_4x4x4_16b_bf16 v[38:41], v[32:33], v[88:89], v[0:3]
	scratch_load_dwordx4 v[30:33], off, off offset:112 ; 16-byte Folded Reload
	v_mfma_f32_4x4x4_16b_bf16 v[0:3], v[10:11], v[94:95], v[50:53]
	v_mfma_f32_4x4x4_16b_bf16 v[4:7], v[12:13], v[92:93], v[4:7]
	s_nop 0
	v_mfma_f32_4x4x4_16b_bf16 v[0:3], v[12:13], v[96:97], v[0:3]
	s_waitcnt vmcnt(3)
	v_mfma_f32_4x4x4_16b_bf16 v[22:25], v[10:11], v[102:103], v[22:25]
	v_mfma_f32_4x4x4_16b_bf16 v[0:3], v[18:19], v[110:111], v[0:3]
	s_nop 0
	v_mfma_f32_4x4x4_16b_bf16 v[22:25], v[12:13], v[104:105], v[22:25]
	s_waitcnt vmcnt(0)
	v_mfma_f32_4x4x4_16b_bf16 v[8:11], v[10:11], v[98:99], v[30:33]
	v_mfma_f32_4x4x4_16b_bf16 v[50:53], v[20:21], v[112:113], v[0:3]
	;; [unrolled: 1-line block ×4, first 2 shown]
	scratch_load_dwordx4 v[4:7], off, off offset:64 ; 16-byte Folded Reload
	v_mfma_f32_4x4x4_16b_bf16 v[46:49], v[20:21], v[108:109], v[0:3]
	v_mfma_f32_4x4x4_16b_bf16 v[0:3], v[18:19], v[114:115], v[22:25]
	s_nop 1
	v_mfma_f32_4x4x4_16b_bf16 v[122:125], v[20:21], v[116:117], v[0:3]
	v_mfma_f32_4x4x4_16b_bf16 v[0:3], v[18:19], v[86:87], v[8:11]
	s_nop 0
	scratch_load_dwordx4 v[8:11], off, off offset:48 ; 16-byte Folded Reload
	v_mfma_f32_4x4x4_16b_bf16 v[118:121], v[20:21], v[88:89], v[0:3]
	scratch_load_dwordx4 v[18:21], off, off offset:80 ; 16-byte Folded Reload
	s_waitcnt vmcnt(2)
	v_mfma_f32_4x4x4_16b_bf16 v[4:7], v[14:15], v[90:91], v[4:7]
	scratch_load_dwordx4 v[0:3], off, off offset:96 ; 16-byte Folded Reload
	s_waitcnt vmcnt(0)
	v_mfma_f32_4x4x4_16b_bf16 v[0:3], v[14:15], v[94:95], v[0:3]
	s_nop 1
	v_mfma_f32_4x4x4_16b_bf16 v[0:3], v[16:17], v[96:97], v[0:3]
	v_mfma_f32_4x4x4_16b_bf16 v[4:7], v[16:17], v[92:93], v[4:7]
	;; [unrolled: 1-line block ×4, first 2 shown]
	s_nop 0
	v_mfma_f32_4x4x4_16b_bf16 v[8:11], v[16:17], v[104:105], v[8:11]
	v_mfma_f32_4x4x4_16b_bf16 v[12:15], v[14:15], v[98:99], v[18:21]
	;; [unrolled: 1-line block ×5, first 2 shown]
	s_nop 0
	v_mfma_f32_4x4x4_16b_bf16 v[102:105], v[28:29], v[108:109], v[0:3]
	v_mfma_f32_4x4x4_16b_bf16 v[0:3], v[26:27], v[114:115], v[8:11]
	s_nop 1
	v_mfma_f32_4x4x4_16b_bf16 v[98:101], v[28:29], v[116:117], v[0:3]
	v_mfma_f32_4x4x4_16b_bf16 v[0:3], v[26:27], v[86:87], v[12:15]
	s_nop 1
	v_mfma_f32_4x4x4_16b_bf16 v[106:109], v[28:29], v[88:89], v[0:3]
	s_cbranch_scc1 .LBB306_61
; %bb.60:                               ;   in Loop: Header=BB306_15 Depth=2
	scratch_store_dwordx4 off, v[122:125], off offset:128 ; 16-byte Folded Spill
	scratch_store_dwordx4 off, v[118:121], off offset:112 ; 16-byte Folded Spill
	;; [unrolled: 1-line block ×3, first 2 shown]
	s_nop 0
	scratch_store_dwordx4 off, v[106:109], off offset:80 ; 16-byte Folded Spill
	scratch_store_dwordx4 off, v[102:105], off offset:64 ; 16-byte Folded Spill
	;; [unrolled: 1-line block ×3, first 2 shown]
	s_branch .LBB306_15
.LBB306_61:                             ;   in Loop: Header=BB306_13 Depth=1
	scratch_load_dwordx4 v[86:89], off, off offset:196 ; 16-byte Folded Reload
	scratch_load_dwordx2 v[90:91], off, off offset:212 ; 8-byte Folded Reload
	scratch_load_dwordx2 v[92:93], off, off offset:220 ; 8-byte Folded Reload
	;; [unrolled: 1-line block ×4, first 2 shown]
	scratch_load_dwordx4 v[16:19], off, off ; 16-byte Folded Reload
	scratch_load_dwordx4 v[20:23], off, off offset:16 ; 16-byte Folded Reload
	scratch_load_dwordx4 v[24:27], off, off offset:32 ; 16-byte Folded Reload
.LBB306_62:                             ;   in Loop: Header=BB306_13 Depth=1
	v_cvt_i32_f32_e32 v0, v83
	v_cvt_i32_f32_e32 v1, v84
	;; [unrolled: 1-line block ×4, first 2 shown]
	v_cvt_f32_i32_dpp v0, v0 row_shl:1 row_mask:0xf bank_mask:0xf bound_ctrl:1
	v_cvt_f32_i32_dpp v1, v1 row_shl:2 row_mask:0xf bank_mask:0xf bound_ctrl:1
	;; [unrolled: 1-line block ×3, first 2 shown]
	v_cvt_i32_f32_e32 v4, v80
	v_add_f32_e32 v0, v82, v0
	v_add_f32_e32 v0, v0, v1
	;; [unrolled: 1-line block ×3, first 2 shown]
	v_cvt_i32_f32_e32 v1, v0
	v_cvt_i32_f32_e32 v2, v81
	v_cvt_f32_i32_dpp v3, v3 row_shl:1 row_mask:0xf bank_mask:0xf bound_ctrl:1
	v_cvt_f32_i32_dpp v4, v4 row_shl:2 row_mask:0xf bank_mask:0xf bound_ctrl:1
	;; [unrolled: 1-line block ×4, first 2 shown]
	v_add_f32_e32 v3, v78, v3
	v_add_f32_e32 v3, v3, v4
	;; [unrolled: 1-line block ×3, first 2 shown]
	v_cvt_i32_f32_e32 v1, v0
	v_add_f32_e32 v2, v3, v2
	v_cvt_i32_f32_e32 v3, v2
	v_cvt_i32_f32_e32 v5, v75
	v_cvt_f32_i32_dpp v1, v1 row_shl:8 row_mask:0xf bank_mask:0xf bound_ctrl:1
	v_cvt_i32_f32_e32 v4, v76
	v_cvt_i32_f32_e32 v6, v77
	v_cvt_f32_i32_dpp v3, v3 row_shl:4 row_mask:0xf bank_mask:0xf bound_ctrl:1
	v_add_f32_e32 v0, v0, v1
	v_cvt_f32_i32_dpp v1, v5 row_shl:1 row_mask:0xf bank_mask:0xf bound_ctrl:1
	v_cvt_f32_i32_dpp v4, v4 row_shl:2 row_mask:0xf bank_mask:0xf bound_ctrl:1
	v_add_f32_e32 v2, v2, v3
	v_cvt_f32_i32_dpp v3, v6 row_shl:3 row_mask:0xf bank_mask:0xf bound_ctrl:1
	v_cvt_i32_f32_e32 v0, v0
	v_add_f32_e32 v1, v74, v1
	v_add_f32_e32 v1, v1, v4
	v_add_f32_e32 v1, v1, v3
	v_cvt_i32_f32_e32 v5, v2
	v_cvt_i32_f32_e32 v3, v1
	v_cvt_f32_i32_dpp v0, v0 row_shr:15 row_mask:0xf bank_mask:0xf bound_ctrl:1
	v_cvt_i32_f32_e32 v6, v68
	v_cvt_f32_i32_dpp v5, v5 row_shl:8 row_mask:0xf bank_mask:0xf bound_ctrl:1
	v_cvt_f32_i32_dpp v3, v3 row_shl:4 row_mask:0xf bank_mask:0xf bound_ctrl:1
	v_cvt_i32_f32_e32 v4, v0
	v_cvt_i32_f32_e32 v7, v69
	v_add_f32_e32 v2, v2, v5
	v_add_f32_e32 v1, v1, v3
	v_cvt_f32_i32_dpp v4, v4 row_bcast:15 row_mask:0xf bank_mask:0xf bound_ctrl:1
	v_cvt_i32_f32_e32 v2, v2
	v_cvt_i32_f32_e32 v3, v1
	;; [unrolled: 1-line block ×3, first 2 shown]
	v_add_f32_e32 v74, v0, v4
	v_cvt_f32_i32_dpp v0, v2 row_shr:15 row_mask:0xf bank_mask:0xf bound_ctrl:1
	v_cvt_f32_i32_dpp v2, v3 row_shl:8 row_mask:0xf bank_mask:0xf bound_ctrl:1
	v_cvt_i32_f32_e32 v3, v71
	v_cvt_i32_f32_e32 v4, v72
	;; [unrolled: 1-line block ×3, first 2 shown]
	v_add_f32_e32 v1, v1, v2
	v_cvt_f32_i32_dpp v2, v3 row_shl:1 row_mask:0xf bank_mask:0xf bound_ctrl:1
	v_cvt_f32_i32_dpp v3, v4 row_shl:2 row_mask:0xf bank_mask:0xf bound_ctrl:1
	;; [unrolled: 1-line block ×3, first 2 shown]
	v_cvt_i32_f32_e32 v1, v1
	v_add_f32_e32 v2, v70, v2
	v_add_f32_e32 v2, v2, v3
	;; [unrolled: 1-line block ×3, first 2 shown]
	v_cvt_i32_f32_e32 v3, v2
	v_cvt_i32_f32_e32 v4, v74
	v_cvt_i32_f32_e32 v5, v0
	v_cvt_f32_i32_dpp v1, v1 row_shr:15 row_mask:0xf bank_mask:0xf bound_ctrl:1
	v_cvt_f32_i32_dpp v3, v3 row_shl:4 row_mask:0xf bank_mask:0xf bound_ctrl:1
	v_mov_b32_dpp v71, v4 row_bcast:31 row_mask:0xf bank_mask:0xf bound_ctrl:1
	v_cvt_f32_i32_dpp v4, v5 row_bcast:15 row_mask:0xf bank_mask:0xf bound_ctrl:1
	v_cvt_i32_f32_e32 v5, v1
	v_add_f32_e32 v2, v2, v3
	v_cvt_i32_f32_e32 v3, v2
	v_add_f32_e32 v70, v0, v4
	v_cvt_f32_i32_dpp v4, v5 row_bcast:15 row_mask:0xf bank_mask:0xf bound_ctrl:1
	v_cvt_i32_f32_e32 v5, v67
	v_cvt_f32_i32_dpp v3, v3 row_shl:8 row_mask:0xf bank_mask:0xf bound_ctrl:1
	v_cvt_i32_f32_e32 v0, v70
	v_add_f32_e32 v36, v1, v4
	v_cvt_i32_f32_e32 v4, v64
	v_add_f32_e32 v2, v2, v3
	v_cvt_f32_i32_dpp v3, v5 row_shl:1 row_mask:0xf bank_mask:0xf bound_ctrl:1
	v_cvt_f32_i32_dpp v5, v6 row_shl:2 row_mask:0xf bank_mask:0xf bound_ctrl:1
	;; [unrolled: 1-line block ×3, first 2 shown]
	v_cvt_i32_f32_e32 v2, v2
	v_add_f32_e32 v3, v66, v3
	v_add_f32_e32 v3, v3, v5
	;; [unrolled: 1-line block ×3, first 2 shown]
	v_cvt_i32_f32_e32 v5, v3
	v_mov_b32_dpp v66, v0 row_bcast:31 row_mask:0xf bank_mask:0xf bound_ctrl:1
	v_cvt_f32_i32_dpp v0, v2 row_shr:15 row_mask:0xf bank_mask:0xf bound_ctrl:1
	v_cvt_i32_f32_e32 v2, v63
	v_cvt_f32_i32_dpp v1, v5 row_shl:4 row_mask:0xf bank_mask:0xf bound_ctrl:1
	v_cvt_i32_f32_e32 v5, v65
	v_cvt_i32_f32_e32 v6, v36
	v_cvt_f32_i32_dpp v2, v2 row_shl:1 row_mask:0xf bank_mask:0xf bound_ctrl:1
	v_add_f32_e32 v1, v3, v1
	v_cvt_f32_i32_dpp v3, v4 row_shl:2 row_mask:0xf bank_mask:0xf bound_ctrl:1
	v_cvt_f32_i32_dpp v4, v5 row_shl:3 row_mask:0xf bank_mask:0xf bound_ctrl:1
	v_add_f32_e32 v2, v62, v2
	v_cvt_i32_f32_e32 v5, v1
	v_add_f32_e32 v2, v2, v3
	v_add_f32_e32 v2, v2, v4
	v_cvt_i32_f32_e32 v3, v2
	v_cvt_f32_i32_dpp v5, v5 row_shl:8 row_mask:0xf bank_mask:0xf bound_ctrl:1
	v_cvt_i32_f32_e32 v4, v0
	v_mov_b32_dpp v62, v6 row_bcast:31 row_mask:0xf bank_mask:0xf bound_ctrl:1
	v_cvt_f32_i32_dpp v3, v3 row_shl:4 row_mask:0xf bank_mask:0xf bound_ctrl:1
	v_add_f32_e32 v1, v1, v5
	v_cvt_f32_i32_dpp v4, v4 row_bcast:15 row_mask:0xf bank_mask:0xf bound_ctrl:1
	v_cvt_i32_f32_e32 v1, v1
	v_add_f32_e32 v2, v2, v3
	v_cvt_i32_f32_e32 v3, v2
	v_add_f32_e32 v35, v0, v4
	v_cvt_f32_i32_dpp v0, v1 row_shr:15 row_mask:0xf bank_mask:0xf bound_ctrl:1
	v_cvt_i32_f32_e32 v4, v60
	v_cvt_f32_i32_dpp v1, v3 row_shl:8 row_mask:0xf bank_mask:0xf bound_ctrl:1
	v_cvt_i32_f32_e32 v3, v59
	v_cvt_i32_f32_e32 v5, v61
	;; [unrolled: 1-line block ×3, first 2 shown]
	v_add_f32_e32 v1, v2, v1
	v_cvt_f32_i32_dpp v2, v3 row_shl:1 row_mask:0xf bank_mask:0xf bound_ctrl:1
	v_cvt_f32_i32_dpp v3, v4 row_shl:2 row_mask:0xf bank_mask:0xf bound_ctrl:1
	;; [unrolled: 1-line block ×3, first 2 shown]
	v_cvt_i32_f32_e32 v1, v1
	v_add_f32_e32 v2, v58, v2
	v_add_f32_e32 v2, v2, v3
	;; [unrolled: 1-line block ×3, first 2 shown]
	v_cvt_i32_f32_e32 v3, v2
	v_cvt_i32_f32_e32 v4, v35
	;; [unrolled: 1-line block ×3, first 2 shown]
	v_cvt_f32_i32_dpp v1, v1 row_shr:15 row_mask:0xf bank_mask:0xf bound_ctrl:1
	v_cvt_f32_i32_dpp v3, v3 row_shl:4 row_mask:0xf bank_mask:0xf bound_ctrl:1
	v_mov_b32_dpp v44, v4 row_bcast:31 row_mask:0xf bank_mask:0xf bound_ctrl:1
	v_cvt_f32_i32_dpp v4, v5 row_bcast:15 row_mask:0xf bank_mask:0xf bound_ctrl:1
	v_cvt_i32_f32_e32 v5, v1
	v_add_f32_e32 v2, v2, v3
	v_cvt_i32_f32_e32 v3, v2
	v_add_f32_e32 v33, v0, v4
	v_cvt_f32_i32_dpp v4, v5 row_bcast:15 row_mask:0xf bank_mask:0xf bound_ctrl:1
	v_cvt_i32_f32_e32 v5, v55
	v_cvt_f32_i32_dpp v3, v3 row_shl:8 row_mask:0xf bank_mask:0xf bound_ctrl:1
	v_cvt_i32_f32_e32 v7, v57
	v_add_f32_e32 v30, v1, v4
	v_cvt_i32_f32_e32 v1, v30
	v_add_f32_e32 v2, v2, v3
	v_cvt_f32_i32_dpp v3, v5 row_shl:1 row_mask:0xf bank_mask:0xf bound_ctrl:1
	v_cvt_f32_i32_dpp v5, v6 row_shl:2 row_mask:0xf bank_mask:0xf bound_ctrl:1
	;; [unrolled: 1-line block ×3, first 2 shown]
	v_mov_b32_dpp v31, v1 row_bcast:31 row_mask:0xf bank_mask:0xf bound_ctrl:1
	v_add_f32_e32 v3, v54, v3
	v_add_f32_e32 v3, v3, v5
	;; [unrolled: 1-line block ×3, first 2 shown]
	v_cvt_i32_f32_e32 v5, v3
	v_cvt_i32_f32_e32 v2, v2
	;; [unrolled: 1-line block ×3, first 2 shown]
	s_waitcnt vmcnt(2)
	v_cvt_i32_f32_e32 v7, v19
	v_cvt_f32_i32_dpp v4, v5 row_shl:4 row_mask:0xf bank_mask:0xf bound_ctrl:1
	s_waitcnt vmcnt(0)
	v_cvt_i32_f32_e32 v5, v27
	v_cvt_f32_i32_dpp v2, v2 row_shr:15 row_mask:0xf bank_mask:0xf bound_ctrl:1
	v_mov_b32_dpp v37, v0 row_bcast:31 row_mask:0xf bank_mask:0xf bound_ctrl:1
	v_add_f32_e32 v1, v3, v4
	v_cvt_i32_f32_e32 v3, v25
	v_cvt_i32_f32_e32 v4, v26
	v_cvt_f32_i32_dpp v5, v5 row_shl:3 row_mask:0xf bank_mask:0xf bound_ctrl:1
	v_cvt_i32_f32_e32 v0, v2
	v_cvt_f32_i32_dpp v3, v3 row_shl:1 row_mask:0xf bank_mask:0xf bound_ctrl:1
	v_cvt_f32_i32_dpp v4, v4 row_shl:2 row_mask:0xf bank_mask:0xf bound_ctrl:1
	v_cvt_i32_f32_e32 v6, v1
	v_cvt_f32_i32_dpp v0, v0 row_bcast:15 row_mask:0xf bank_mask:0xf bound_ctrl:1
	v_add_f32_e32 v3, v24, v3
	v_add_f32_e32 v3, v3, v4
	;; [unrolled: 1-line block ×3, first 2 shown]
	v_cvt_i32_f32_e32 v4, v3
	v_add_f32_e32 v28, v2, v0
	v_cvt_i32_f32_e32 v5, v23
	v_cvt_f32_i32_dpp v6, v6 row_shl:8 row_mask:0xf bank_mask:0xf bound_ctrl:1
	v_cvt_f32_i32_dpp v4, v4 row_shl:4 row_mask:0xf bank_mask:0xf bound_ctrl:1
	v_cvt_i32_f32_e32 v0, v28
	v_cvt_f32_i32_dpp v5, v5 row_shl:3 row_mask:0xf bank_mask:0xf bound_ctrl:1
	v_add_f32_e32 v1, v1, v6
	v_add_f32_e32 v2, v3, v4
	v_cvt_i32_f32_e32 v3, v21
	v_cvt_i32_f32_e32 v4, v22
	v_cvt_i32_f32_e32 v1, v1
	v_cvt_i32_f32_e32 v6, v2
	v_cvt_f32_i32_dpp v3, v3 row_shl:1 row_mask:0xf bank_mask:0xf bound_ctrl:1
	v_cvt_f32_i32_dpp v4, v4 row_shl:2 row_mask:0xf bank_mask:0xf bound_ctrl:1
	v_cvt_f32_i32_dpp v1, v1 row_shr:15 row_mask:0xf bank_mask:0xf bound_ctrl:1
	v_cvt_f32_i32_dpp v6, v6 row_shl:8 row_mask:0xf bank_mask:0xf bound_ctrl:1
	v_add_f32_e32 v3, v20, v3
	v_add_f32_e32 v3, v3, v4
	;; [unrolled: 1-line block ×3, first 2 shown]
	v_cvt_i32_f32_e32 v4, v3
	v_cvt_i32_f32_e32 v5, v1
	v_mov_b32_dpp v32, v0 row_bcast:31 row_mask:0xf bank_mask:0xf bound_ctrl:1
	v_add_f32_e32 v2, v2, v6
	v_cvt_f32_i32_dpp v4, v4 row_shl:4 row_mask:0xf bank_mask:0xf bound_ctrl:1
	v_cvt_f32_i32_dpp v0, v5 row_bcast:15 row_mask:0xf bank_mask:0xf bound_ctrl:1
	v_cvt_i32_f32_e32 v5, v17
	v_cvt_i32_f32_e32 v6, v18
	v_add_f32_e32 v3, v3, v4
	v_cvt_i32_f32_e32 v4, v3
	v_add_f32_e32 v24, v1, v0
	v_cvt_i32_f32_e32 v0, v24
	v_cvt_i32_f32_e32 v2, v2
	v_cvt_f32_i32_dpp v4, v4 row_shl:8 row_mask:0xf bank_mask:0xf bound_ctrl:1
	v_mov_b32_dpp v29, v0 row_bcast:31 row_mask:0xf bank_mask:0xf bound_ctrl:1
	v_cvt_f32_i32_dpp v2, v2 row_shr:15 row_mask:0xf bank_mask:0xf bound_ctrl:1
	v_add_f32_e32 v3, v3, v4
	v_cvt_f32_i32_dpp v4, v5 row_shl:1 row_mask:0xf bank_mask:0xf bound_ctrl:1
	v_cvt_f32_i32_dpp v5, v6 row_shl:2 row_mask:0xf bank_mask:0xf bound_ctrl:1
	v_cvt_f32_i32_dpp v6, v7 row_shl:3 row_mask:0xf bank_mask:0xf bound_ctrl:1
	v_cvt_i32_f32_e32 v3, v3
	v_add_f32_e32 v4, v16, v4
	v_add_f32_e32 v4, v4, v5
	;; [unrolled: 1-line block ×3, first 2 shown]
	v_cvt_i32_f32_e32 v5, v4
	v_cvt_f32_i32_dpp v0, v3 row_shr:15 row_mask:0xf bank_mask:0xf bound_ctrl:1
	v_cvt_i32_f32_e32 v1, v2
	v_cvt_i32_f32_e32 v6, v41
	v_cvt_f32_i32_dpp v3, v5 row_shl:4 row_mask:0xf bank_mask:0xf bound_ctrl:1
	v_cvt_i32_f32_e32 v5, v40
	v_cvt_f32_i32_dpp v1, v1 row_bcast:15 row_mask:0xf bank_mask:0xf bound_ctrl:1
	v_cvt_f32_i32_dpp v6, v6 row_shl:3 row_mask:0xf bank_mask:0xf bound_ctrl:1
	v_add_f32_e32 v3, v4, v3
	v_cvt_i32_f32_e32 v4, v39
	v_cvt_i32_f32_e32 v7, v3
	v_cvt_f32_i32_dpp v5, v5 row_shl:2 row_mask:0xf bank_mask:0xf bound_ctrl:1
	v_add_f32_e32 v23, v2, v1
	v_cvt_f32_i32_dpp v4, v4 row_shl:1 row_mask:0xf bank_mask:0xf bound_ctrl:1
	v_cvt_i32_f32_e32 v2, v0
	v_cvt_f32_i32_dpp v7, v7 row_shl:8 row_mask:0xf bank_mask:0xf bound_ctrl:1
	v_cvt_i32_f32_e32 v1, v23
	v_add_f32_e32 v4, v38, v4
	v_add_f32_e32 v4, v4, v5
	;; [unrolled: 1-line block ×3, first 2 shown]
	v_cvt_i32_f32_e32 v5, v4
	v_cvt_f32_i32_dpp v2, v2 row_bcast:15 row_mask:0xf bank_mask:0xf bound_ctrl:1
	v_add_f32_e32 v3, v3, v7
	v_cvt_i32_f32_e32 v3, v3
	v_cvt_f32_i32_dpp v5, v5 row_shl:4 row_mask:0xf bank_mask:0xf bound_ctrl:1
	v_add_f32_e32 v21, v0, v2
	v_cvt_i32_f32_e32 v2, v51
	v_cvt_f32_i32_dpp v0, v3 row_shr:15 row_mask:0xf bank_mask:0xf bound_ctrl:1
	v_cvt_i32_f32_e32 v3, v52
	v_mov_b32_dpp v26, v1 row_bcast:31 row_mask:0xf bank_mask:0xf bound_ctrl:1
	v_add_f32_e32 v1, v4, v5
	v_cvt_i32_f32_e32 v4, v53
	v_cvt_f32_i32_dpp v2, v2 row_shl:1 row_mask:0xf bank_mask:0xf bound_ctrl:1
	v_cvt_f32_i32_dpp v3, v3 row_shl:2 row_mask:0xf bank_mask:0xf bound_ctrl:1
	v_cvt_i32_f32_e32 v5, v1
	v_cvt_f32_i32_dpp v4, v4 row_shl:3 row_mask:0xf bank_mask:0xf bound_ctrl:1
	v_add_f32_e32 v2, v50, v2
	v_add_f32_e32 v2, v2, v3
	v_cvt_f32_i32_dpp v5, v5 row_shl:8 row_mask:0xf bank_mask:0xf bound_ctrl:1
	v_add_f32_e32 v2, v2, v4
	v_cvt_i32_f32_e32 v3, v2
	v_cvt_i32_f32_e32 v4, v0
	v_add_f32_e32 v1, v1, v5
	v_cvt_i32_f32_e32 v1, v1
	v_cvt_f32_i32_dpp v3, v3 row_shl:4 row_mask:0xf bank_mask:0xf bound_ctrl:1
	v_cvt_f32_i32_dpp v4, v4 row_bcast:15 row_mask:0xf bank_mask:0xf bound_ctrl:1
	v_cvt_i32_f32_e32 v5, v21
	v_cvt_f32_i32_dpp v1, v1 row_shr:15 row_mask:0xf bank_mask:0xf bound_ctrl:1
	v_add_f32_e32 v2, v2, v3
	v_cvt_i32_f32_e32 v3, v2
	v_add_f32_e32 v18, v0, v4
	v_cvt_i32_f32_e32 v0, v18
	v_cvt_i32_f32_e32 v4, v1
	v_cvt_f32_i32_dpp v3, v3 row_shl:8 row_mask:0xf bank_mask:0xf bound_ctrl:1
	v_mov_b32_dpp v25, v5 row_bcast:31 row_mask:0xf bank_mask:0xf bound_ctrl:1
	v_mov_b32_dpp v19, v0 row_bcast:31 row_mask:0xf bank_mask:0xf bound_ctrl:1
	v_cvt_f32_i32_dpp v0, v4 row_bcast:15 row_mask:0xf bank_mask:0xf bound_ctrl:1
	v_add_f32_e32 v2, v2, v3
	v_cvt_i32_f32_e32 v3, v47
	v_cvt_i32_f32_e32 v4, v48
	;; [unrolled: 1-line block ×4, first 2 shown]
	v_cvt_f32_i32_dpp v3, v3 row_shl:1 row_mask:0xf bank_mask:0xf bound_ctrl:1
	v_cvt_f32_i32_dpp v4, v4 row_shl:2 row_mask:0xf bank_mask:0xf bound_ctrl:1
	;; [unrolled: 1-line block ×3, first 2 shown]
	v_cvt_i32_f32_e32 v6, v124
	v_add_f32_e32 v3, v46, v3
	v_add_f32_e32 v3, v3, v4
	v_add_f32_e32 v3, v3, v5
	v_cvt_i32_f32_e32 v4, v3
	v_cvt_i32_f32_e32 v5, v123
	;; [unrolled: 1-line block ×3, first 2 shown]
	v_cvt_f32_i32_dpp v2, v2 row_shr:15 row_mask:0xf bank_mask:0xf bound_ctrl:1
	v_cvt_f32_i32_dpp v4, v4 row_shl:4 row_mask:0xf bank_mask:0xf bound_ctrl:1
	v_add_f32_e32 v16, v1, v0
	v_cvt_i32_f32_e32 v0, v16
	v_cvt_i32_f32_e32 v1, v2
	v_add_f32_e32 v3, v3, v4
	v_cvt_f32_i32_dpp v4, v5 row_shl:1 row_mask:0xf bank_mask:0xf bound_ctrl:1
	v_cvt_f32_i32_dpp v5, v6 row_shl:2 row_mask:0xf bank_mask:0xf bound_ctrl:1
	;; [unrolled: 1-line block ×3, first 2 shown]
	v_cvt_i32_f32_e32 v7, v3
	v_add_f32_e32 v4, v122, v4
	v_add_f32_e32 v4, v4, v5
	;; [unrolled: 1-line block ×3, first 2 shown]
	v_cvt_i32_f32_e32 v5, v4
	v_cvt_f32_i32_dpp v1, v1 row_bcast:15 row_mask:0xf bank_mask:0xf bound_ctrl:1
	v_cvt_f32_i32_dpp v6, v7 row_shl:8 row_mask:0xf bank_mask:0xf bound_ctrl:1
	v_mov_b32_dpp v20, v0 row_bcast:31 row_mask:0xf bank_mask:0xf bound_ctrl:1
	v_cvt_f32_i32_dpp v0, v5 row_shl:4 row_mask:0xf bank_mask:0xf bound_ctrl:1
	v_add_f32_e32 v13, v2, v1
	v_cvt_i32_f32_e32 v2, v119
	v_add_f32_e32 v1, v3, v6
	v_cvt_i32_f32_e32 v3, v120
	;; [unrolled: 2-line block ×3, first 2 shown]
	v_cvt_f32_i32_dpp v2, v2 row_shl:1 row_mask:0xf bank_mask:0xf bound_ctrl:1
	v_cvt_f32_i32_dpp v3, v3 row_shl:2 row_mask:0xf bank_mask:0xf bound_ctrl:1
	v_cvt_i32_f32_e32 v1, v1
	v_cvt_f32_i32_dpp v4, v4 row_shl:3 row_mask:0xf bank_mask:0xf bound_ctrl:1
	v_add_f32_e32 v2, v118, v2
	v_add_f32_e32 v2, v2, v3
	v_cvt_i32_f32_e32 v5, v0
	v_add_f32_e32 v2, v2, v4
	v_cvt_i32_f32_e32 v3, v2
	v_cvt_f32_i32_dpp v1, v1 row_shr:15 row_mask:0xf bank_mask:0xf bound_ctrl:1
	v_cvt_f32_i32_dpp v5, v5 row_shl:8 row_mask:0xf bank_mask:0xf bound_ctrl:1
	v_cvt_i32_f32_e32 v6, v113
	v_cvt_f32_i32_dpp v3, v3 row_shl:4 row_mask:0xf bank_mask:0xf bound_ctrl:1
	v_cvt_i32_f32_e32 v4, v13
	v_add_f32_e32 v0, v0, v5
	v_cvt_i32_f32_e32 v5, v1
	v_add_f32_e32 v2, v2, v3
	v_cvt_i32_f32_e32 v3, v2
	v_cvt_i32_f32_e32 v0, v0
	v_cvt_f32_i32_dpp v5, v5 row_bcast:15 row_mask:0xf bank_mask:0xf bound_ctrl:1
	v_cvt_f32_i32_dpp v6, v6 row_shl:3 row_mask:0xf bank_mask:0xf bound_ctrl:1
	v_cvt_f32_i32_dpp v3, v3 row_shl:8 row_mask:0xf bank_mask:0xf bound_ctrl:1
	v_cvt_f32_i32_dpp v0, v0 row_shr:15 row_mask:0xf bank_mask:0xf bound_ctrl:1
	v_add_f32_e32 v11, v1, v5
	v_cvt_i32_f32_e32 v5, v112
	v_add_f32_e32 v2, v2, v3
	v_cvt_i32_f32_e32 v3, v111
	v_cvt_i32_f32_e32 v2, v2
	v_cvt_f32_i32_dpp v5, v5 row_shl:2 row_mask:0xf bank_mask:0xf bound_ctrl:1
	v_mov_b32_dpp v17, v4 row_bcast:31 row_mask:0xf bank_mask:0xf bound_ctrl:1
	v_cvt_f32_i32_dpp v3, v3 row_shl:1 row_mask:0xf bank_mask:0xf bound_ctrl:1
	v_cvt_f32_i32_dpp v2, v2 row_shr:15 row_mask:0xf bank_mask:0xf bound_ctrl:1
	v_cvt_i32_f32_e32 v4, v0
	v_cvt_i32_f32_e32 v1, v11
	v_add_f32_e32 v3, v110, v3
	v_add_f32_e32 v3, v3, v5
	v_cvt_i32_f32_e32 v7, v2
	v_add_f32_e32 v3, v3, v6
	v_cvt_f32_i32_dpp v4, v4 row_bcast:15 row_mask:0xf bank_mask:0xf bound_ctrl:1
	v_cvt_i32_f32_e32 v5, v3
	v_mov_b32_dpp v15, v1 row_bcast:31 row_mask:0xf bank_mask:0xf bound_ctrl:1
	v_cvt_f32_i32_dpp v1, v7 row_bcast:15 row_mask:0xf bank_mask:0xf bound_ctrl:1
	v_add_f32_e32 v8, v0, v4
	v_cvt_f32_i32_dpp v0, v5 row_shl:4 row_mask:0xf bank_mask:0xf bound_ctrl:1
	v_cvt_i32_f32_e32 v6, v105
	v_add_f32_e32 v4, v2, v1
	v_cvt_i32_f32_e32 v2, v103
	v_add_f32_e32 v0, v3, v0
	v_cvt_i32_f32_e32 v3, v104
	v_cvt_f32_i32_dpp v6, v6 row_shl:3 row_mask:0xf bank_mask:0xf bound_ctrl:1
	v_cvt_f32_i32_dpp v2, v2 row_shl:1 row_mask:0xf bank_mask:0xf bound_ctrl:1
	v_cvt_i32_f32_e32 v1, v4
	v_cvt_f32_i32_dpp v3, v3 row_shl:2 row_mask:0xf bank_mask:0xf bound_ctrl:1
	v_cvt_i32_f32_e32 v7, v0
	v_add_f32_e32 v2, v102, v2
	v_cvt_i32_f32_e32 v5, v8
	v_add_f32_e32 v2, v2, v3
	v_add_f32_e32 v2, v2, v6
	v_cvt_i32_f32_e32 v3, v2
	v_cvt_f32_i32_dpp v9, v7 row_shl:8 row_mask:0xf bank_mask:0xf bound_ctrl:1
	v_mov_b32_dpp v7, v1 row_bcast:31 row_mask:0xf bank_mask:0xf bound_ctrl:1
	v_mov_b32_dpp v12, v5 row_bcast:31 row_mask:0xf bank_mask:0xf bound_ctrl:1
	v_cvt_f32_i32_dpp v1, v3 row_shl:4 row_mask:0xf bank_mask:0xf bound_ctrl:1
	v_cvt_i32_f32_e32 v3, v99
	v_cvt_i32_f32_e32 v5, v100
	v_add_f32_e32 v0, v0, v9
	v_add_f32_e32 v1, v2, v1
	v_cvt_f32_i32_dpp v2, v3 row_shl:1 row_mask:0xf bank_mask:0xf bound_ctrl:1
	v_cvt_f32_i32_dpp v3, v5 row_shl:2 row_mask:0xf bank_mask:0xf bound_ctrl:1
	v_cvt_i32_f32_e32 v5, v101
	v_cvt_i32_f32_e32 v9, v108
	v_add_f32_e32 v2, v98, v2
	v_add_f32_e32 v2, v2, v3
	v_cvt_f32_i32_dpp v3, v5 row_shl:3 row_mask:0xf bank_mask:0xf bound_ctrl:1
	v_cvt_i32_f32_e32 v5, v107
	v_cvt_i32_f32_e32 v6, v1
	;; [unrolled: 1-line block ×3, first 2 shown]
	v_add_f32_e32 v2, v2, v3
	v_cvt_f32_i32_dpp v3, v5 row_shl:1 row_mask:0xf bank_mask:0xf bound_ctrl:1
	v_cvt_f32_i32_dpp v5, v9 row_shl:2 row_mask:0xf bank_mask:0xf bound_ctrl:1
	;; [unrolled: 1-line block ×3, first 2 shown]
	v_cvt_i32_f32_e32 v10, v2
	v_add_f32_e32 v3, v106, v3
	v_add_f32_e32 v3, v3, v5
	;; [unrolled: 1-line block ×3, first 2 shown]
	v_cvt_i32_f32_e32 v5, v3
	v_cvt_f32_i32_dpp v9, v10 row_shl:4 row_mask:0xf bank_mask:0xf bound_ctrl:1
	v_cvt_f32_i32_dpp v6, v6 row_shl:8 row_mask:0xf bank_mask:0xf bound_ctrl:1
	v_cvt_f32_i32_dpp v0, v0 row_shr:15 row_mask:0xf bank_mask:0xf bound_ctrl:1
	v_cvt_f32_i32_dpp v5, v5 row_shl:4 row_mask:0xf bank_mask:0xf bound_ctrl:1
	v_add_f32_e32 v2, v2, v9
	v_add_f32_e32 v1, v1, v6
	v_cvt_i32_f32_e32 v6, v2
	v_add_f32_e32 v3, v3, v5
	v_cvt_i32_f32_e32 v5, v3
	v_cvt_i32_f32_e32 v1, v1
	v_cvt_f32_i32_dpp v6, v6 row_shl:8 row_mask:0xf bank_mask:0xf bound_ctrl:1
	v_cvt_i32_f32_e32 v9, v0
	v_cvt_f32_i32_dpp v5, v5 row_shl:8 row_mask:0xf bank_mask:0xf bound_ctrl:1
	v_cvt_f32_i32_dpp v1, v1 row_shr:15 row_mask:0xf bank_mask:0xf bound_ctrl:1
	v_add_f32_e32 v2, v2, v6
	v_cvt_i32_f32_e32 v2, v2
	v_add_f32_e32 v3, v3, v5
	v_cvt_i32_f32_e32 v3, v3
	v_cvt_f32_i32_dpp v5, v9 row_bcast:15 row_mask:0xf bank_mask:0xf bound_ctrl:1
	v_cvt_f32_i32_dpp v2, v2 row_shr:15 row_mask:0xf bank_mask:0xf bound_ctrl:1
	v_cvt_i32_f32_e32 v6, v1
	v_cvt_f32_i32_dpp v3, v3 row_shr:15 row_mask:0xf bank_mask:0xf bound_ctrl:1
	v_add_f32_e32 v9, v0, v5
	v_cvt_i32_f32_e32 v0, v2
	v_cvt_f32_i32_dpp v5, v6 row_bcast:15 row_mask:0xf bank_mask:0xf bound_ctrl:1
	v_cvt_i32_f32_e32 v6, v3
	v_cvt_i32_f32_e32 v10, v9
	v_cvt_f32_i32_dpp v0, v0 row_bcast:15 row_mask:0xf bank_mask:0xf bound_ctrl:1
	v_add_f32_e32 v5, v1, v5
	v_cvt_f32_i32_dpp v1, v6 row_bcast:15 row_mask:0xf bank_mask:0xf bound_ctrl:1
	v_cvt_i32_f32_e32 v6, v5
	v_add_f32_e32 v2, v2, v0
	v_cvt_i32_f32_e32 v14, v2
	v_add_f32_e32 v0, v3, v1
	v_cvt_i32_f32_e32 v1, v0
	v_mov_b32_dpp v10, v10 row_bcast:31 row_mask:0xf bank_mask:0xf bound_ctrl:1
	v_mov_b32_dpp v6, v6 row_bcast:31 row_mask:0xf bank_mask:0xf bound_ctrl:1
	;; [unrolled: 1-line block ×4, first 2 shown]
	s_and_saveexec_b64 s[34:35], s[0:1]
	s_cbranch_execz .LBB306_185
; %bb.63:                               ;   in Loop: Header=BB306_13 Depth=1
	s_andn2_b64 vcc, exec, s[28:29]
	v_mov_b32_e32 v57, 0
	v_mov_b32_e32 v56, 0
	;; [unrolled: 1-line block ×20, first 2 shown]
	s_cbranch_vccnz .LBB306_65
; %bb.64:                               ;   in Loop: Header=BB306_13 Depth=1
	scratch_load_dword v27, off, off offset:248 ; 4-byte Folded Reload
	v_mov_b32_e32 v53, v43
	v_mov_b32_e32 v65, v43
	v_mov_b32_e32 v51, v43
	v_mov_b32_e32 v59, v43
	v_mov_b32_e32 v61, v43
	s_waitcnt vmcnt(0)
	v_mul_hi_u32 v14, v90, v27
	v_mul_lo_u32 v14, v14, s20
	v_sub_u32_e32 v14, v90, v14
	v_subrev_u32_e32 v22, s20, v14
	v_cmp_le_u32_e32 vcc, s20, v14
	s_nop 1
	v_cndmask_b32_e32 v14, v14, v22, vcc
	v_subrev_u32_e32 v22, s20, v14
	v_cmp_le_u32_e32 vcc, s20, v14
	s_nop 1
	v_cndmask_b32_e32 v42, v14, v22, vcc
	v_mul_hi_u32 v14, v96, v27
	v_mul_lo_u32 v14, v14, s20
	v_sub_u32_e32 v14, v96, v14
	v_subrev_u32_e32 v22, s20, v14
	v_cmp_le_u32_e32 vcc, s20, v14
	v_add_u32_e32 v50, s43, v42
	v_lshl_add_u64 v[38:39], v[42:43], 1, s[18:19]
	v_cndmask_b32_e32 v14, v14, v22, vcc
	v_subrev_u32_e32 v22, s20, v14
	v_cmp_le_u32_e32 vcc, s20, v14
	v_lshl_add_u64 v[50:51], v[50:51], 1, s[18:19]
	s_nop 0
	v_cndmask_b32_e32 v58, v14, v22, vcc
	v_mul_hi_u32 v14, v94, v27
	v_mul_lo_u32 v14, v14, s20
	v_sub_u32_e32 v14, v94, v14
	v_subrev_u32_e32 v22, s20, v14
	v_cmp_le_u32_e32 vcc, s20, v14
	v_add_u32_e32 v52, s43, v58
	v_lshl_add_u64 v[68:69], v[52:53], 1, s[18:19]
	v_cndmask_b32_e32 v14, v14, v22, vcc
	v_subrev_u32_e32 v22, s20, v14
	v_cmp_le_u32_e32 vcc, s20, v14
	v_lshl_add_u64 v[40:41], v[58:59], 1, s[18:19]
	;; [unrolled: 13-line block ×3, first 2 shown]
	s_nop 0
	v_cndmask_b32_e32 v64, v14, v22, vcc
	v_lshl_add_u64 v[48:49], v[64:65], 1, s[18:19]
	v_add_u32_e32 v52, s43, v64
	v_lshl_add_u64 v[76:77], v[52:53], 1, s[18:19]
	global_load_ushort v57, v[38:39], off
	global_load_ushort v56, v[40:41], off
	;; [unrolled: 1-line block ×6, first 2 shown]
	s_nop 0
	global_load_ushort v51, v[72:73], off
	global_load_ushort v50, v[76:77], off
	v_add_u32_e32 v48, s44, v64
	v_mov_b32_e32 v49, v43
	v_lshl_add_u64 v[68:69], v[48:49], 1, s[18:19]
	v_add_u32_e32 v48, s45, v42
	v_lshl_add_u64 v[72:73], v[48:49], 1, s[18:19]
	v_add_u32_e32 v48, s45, v58
	v_add_u32_e32 v38, s44, v42
	v_mov_b32_e32 v39, v43
	v_add_u32_e32 v40, s44, v58
	v_mov_b32_e32 v41, v43
	;; [unrolled: 2-line block ×3, first 2 shown]
	v_lshl_add_u64 v[76:77], v[48:49], 1, s[18:19]
	v_add_u32_e32 v48, s45, v60
	v_lshl_add_u64 v[38:39], v[38:39], 1, s[18:19]
	v_lshl_add_u64 v[40:41], v[40:41], 1, s[18:19]
	;; [unrolled: 1-line block ×4, first 2 shown]
	v_add_u32_e32 v48, s45, v64
	v_lshl_add_u64 v[80:81], v[48:49], 1, s[18:19]
	global_load_ushort v49, v[38:39], off
	global_load_ushort v48, v[40:41], off
	s_nop 0
	global_load_ushort v47, v[46:47], off
	s_nop 0
	global_load_ushort v46, v[68:69], off
	global_load_ushort v41, v[72:73], off
	global_load_ushort v40, v[76:77], off
	global_load_ushort v39, v[78:79], off
	global_load_ushort v38, v[80:81], off
	v_add_u32_e32 v42, s46, v42
	v_lshl_add_u64 v[68:69], v[42:43], 1, s[18:19]
	v_add_u32_e32 v42, s46, v58
	v_lshl_add_u64 v[58:59], v[42:43], 1, s[18:19]
	;; [unrolled: 2-line block ×4, first 2 shown]
	global_load_ushort v34, v[68:69], off
	global_load_ushort v27, v[58:59], off
	;; [unrolled: 1-line block ×4, first 2 shown]
.LBB306_65:                             ;   in Loop: Header=BB306_13 Depth=1
	v_cmp_ne_u32_e32 vcc, 0, v86
	s_and_saveexec_b64 s[6:7], vcc
	s_cbranch_execnz .LBB306_85
; %bb.66:                               ;   in Loop: Header=BB306_13 Depth=1
	s_or_b64 exec, exec, s[6:7]
	v_cmp_ne_u32_e64 s[4:5], 0, v87
	s_and_saveexec_b64 s[8:9], s[4:5]
	s_cbranch_execnz .LBB306_90
.LBB306_67:                             ;   in Loop: Header=BB306_13 Depth=1
	s_or_b64 exec, exec, s[8:9]
	v_cmp_ne_u32_e64 s[6:7], 0, v88
	s_and_saveexec_b64 s[10:11], s[6:7]
	s_cbranch_execnz .LBB306_95
.LBB306_68:                             ;   in Loop: Header=BB306_13 Depth=1
	s_or_b64 exec, exec, s[10:11]
	v_cmp_ne_u32_e64 s[8:9], 0, v89
	s_and_saveexec_b64 s[36:37], s[8:9]
	s_cbranch_execnz .LBB306_100
.LBB306_69:                             ;   in Loop: Header=BB306_13 Depth=1
	s_or_b64 exec, exec, s[36:37]
	v_add_u32_e32 v42, s15, v90
	s_and_saveexec_b64 s[36:37], vcc
	s_cbranch_execnz .LBB306_105
.LBB306_70:                             ;   in Loop: Header=BB306_13 Depth=1
	s_or_b64 exec, exec, s[36:37]
	s_and_saveexec_b64 s[36:37], s[4:5]
	s_cbranch_execnz .LBB306_110
.LBB306_71:                             ;   in Loop: Header=BB306_13 Depth=1
	s_or_b64 exec, exec, s[36:37]
	s_and_saveexec_b64 s[36:37], s[6:7]
	s_cbranch_execnz .LBB306_115
.LBB306_72:                             ;   in Loop: Header=BB306_13 Depth=1
	s_or_b64 exec, exec, s[36:37]
	s_and_saveexec_b64 s[36:37], s[8:9]
	s_cbranch_execnz .LBB306_120
.LBB306_73:                             ;   in Loop: Header=BB306_13 Depth=1
	s_or_b64 exec, exec, s[36:37]
	v_add_u32_e32 v42, s15, v42
	s_and_saveexec_b64 s[36:37], vcc
	s_cbranch_execnz .LBB306_125
.LBB306_74:                             ;   in Loop: Header=BB306_13 Depth=1
	s_or_b64 exec, exec, s[36:37]
	s_and_saveexec_b64 s[36:37], s[4:5]
	s_cbranch_execnz .LBB306_130
.LBB306_75:                             ;   in Loop: Header=BB306_13 Depth=1
	s_or_b64 exec, exec, s[36:37]
	s_and_saveexec_b64 s[36:37], s[6:7]
	s_cbranch_execnz .LBB306_135
.LBB306_76:                             ;   in Loop: Header=BB306_13 Depth=1
	s_or_b64 exec, exec, s[36:37]
	s_and_saveexec_b64 s[36:37], s[8:9]
	s_cbranch_execnz .LBB306_140
.LBB306_77:                             ;   in Loop: Header=BB306_13 Depth=1
	s_or_b64 exec, exec, s[36:37]
	v_add_u32_e32 v42, s15, v42
	s_and_saveexec_b64 s[36:37], vcc
	s_cbranch_execnz .LBB306_145
.LBB306_78:                             ;   in Loop: Header=BB306_13 Depth=1
	s_or_b64 exec, exec, s[36:37]
	s_and_saveexec_b64 s[36:37], s[4:5]
	s_cbranch_execnz .LBB306_150
.LBB306_79:                             ;   in Loop: Header=BB306_13 Depth=1
	s_or_b64 exec, exec, s[36:37]
	s_and_saveexec_b64 s[36:37], s[6:7]
	s_cbranch_execnz .LBB306_155
.LBB306_80:                             ;   in Loop: Header=BB306_13 Depth=1
	s_or_b64 exec, exec, s[36:37]
	s_and_saveexec_b64 s[36:37], s[8:9]
	s_cbranch_execnz .LBB306_160
.LBB306_81:                             ;   in Loop: Header=BB306_13 Depth=1
	s_or_b64 exec, exec, s[36:37]
	v_add_u32_e32 v42, s15, v42
	s_and_saveexec_b64 s[10:11], vcc
	s_cbranch_execnz .LBB306_165
.LBB306_82:                             ;   in Loop: Header=BB306_13 Depth=1
	s_or_b64 exec, exec, s[10:11]
	s_and_saveexec_b64 s[10:11], s[4:5]
	s_cbranch_execnz .LBB306_170
.LBB306_83:                             ;   in Loop: Header=BB306_13 Depth=1
	s_or_b64 exec, exec, s[10:11]
	s_and_saveexec_b64 s[4:5], s[6:7]
	s_cbranch_execnz .LBB306_175
.LBB306_84:                             ;   in Loop: Header=BB306_13 Depth=1
	s_or_b64 exec, exec, s[4:5]
	s_and_b64 exec, exec, s[8:9]
	s_cbranch_execnz .LBB306_180
	s_branch .LBB306_185
.LBB306_85:                             ;   in Loop: Header=BB306_13 Depth=1
	v_cvt_f32_i32_e32 v42, v71
	s_waitcnt vmcnt(19)
	v_lshlrev_b32_e32 v57, 16, v57
	v_add_f32_e32 v42, v74, v42
	v_add_f32_e32 v57, v42, v57
	v_and_b32_e32 v42, 0x7f800000, v57
	v_cmp_ne_u32_e64 s[4:5], s50, v42
                                        ; implicit-def: $vgpr42
	s_and_saveexec_b64 s[8:9], s[4:5]
	s_xor_b64 s[4:5], exec, s[8:9]
; %bb.86:                               ;   in Loop: Header=BB306_13 Depth=1
	v_bfe_u32 v42, v57, 16, 1
	v_add3_u32 v42, v57, v42, s14
                                        ; implicit-def: $vgpr57
; %bb.87:                               ;   in Loop: Header=BB306_13 Depth=1
	s_andn2_saveexec_b64 s[8:9], s[4:5]
; %bb.88:                               ;   in Loop: Header=BB306_13 Depth=1
	v_or_b32_e32 v42, 0x10000, v57
	v_cmp_eq_u32_sdwa s[4:5], v57, v43 src0_sel:WORD_0 src1_sel:DWORD
	s_nop 1
	v_cndmask_b32_e64 v42, v42, v57, s[4:5]
; %bb.89:                               ;   in Loop: Header=BB306_13 Depth=1
	s_or_b64 exec, exec, s[8:9]
	v_mov_b32_e32 v91, v43
	s_waitcnt lgkmcnt(0)
	v_lshl_add_u64 v[58:59], v[90:91], 1, s[24:25]
	global_store_short_d16_hi v[58:59], v42, off
	s_or_b64 exec, exec, s[6:7]
	v_cmp_ne_u32_e64 s[4:5], 0, v87
	s_and_saveexec_b64 s[8:9], s[4:5]
	s_cbranch_execz .LBB306_67
.LBB306_90:                             ;   in Loop: Header=BB306_13 Depth=1
	v_cvt_f32_i32_e32 v42, v66
	s_waitcnt vmcnt(18)
	v_lshlrev_b32_e32 v56, 16, v56
	v_add_f32_e32 v42, v70, v42
	v_add_f32_e32 v56, v42, v56
	v_and_b32_e32 v42, 0x7f800000, v56
	v_cmp_ne_u32_e64 s[6:7], s50, v42
                                        ; implicit-def: $vgpr42
	s_and_saveexec_b64 s[10:11], s[6:7]
	s_xor_b64 s[6:7], exec, s[10:11]
; %bb.91:                               ;   in Loop: Header=BB306_13 Depth=1
	v_bfe_u32 v42, v56, 16, 1
	v_add3_u32 v42, v56, v42, s14
                                        ; implicit-def: $vgpr56
; %bb.92:                               ;   in Loop: Header=BB306_13 Depth=1
	s_andn2_saveexec_b64 s[10:11], s[6:7]
; %bb.93:                               ;   in Loop: Header=BB306_13 Depth=1
	v_or_b32_e32 v42, 0x10000, v56
	v_cmp_eq_u32_sdwa s[6:7], v56, v43 src0_sel:WORD_0 src1_sel:DWORD
	s_nop 1
	v_cndmask_b32_e64 v42, v42, v56, s[6:7]
; %bb.94:                               ;   in Loop: Header=BB306_13 Depth=1
	s_or_b64 exec, exec, s[10:11]
	v_mov_b32_e32 v97, v43
	s_waitcnt lgkmcnt(0)
	v_lshl_add_u64 v[56:57], v[96:97], 1, s[24:25]
	global_store_short_d16_hi v[56:57], v42, off
	s_or_b64 exec, exec, s[8:9]
	v_cmp_ne_u32_e64 s[6:7], 0, v88
	s_and_saveexec_b64 s[10:11], s[6:7]
	s_cbranch_execz .LBB306_68
.LBB306_95:                             ;   in Loop: Header=BB306_13 Depth=1
	v_cvt_f32_i32_e32 v42, v62
	v_add_f32_e32 v36, v36, v42
	s_waitcnt vmcnt(17)
	v_lshlrev_b32_e32 v42, 16, v55
	v_add_f32_e32 v42, v36, v42
	v_and_b32_e32 v36, 0x7f800000, v42
	v_cmp_ne_u32_e64 s[8:9], s50, v36
                                        ; implicit-def: $vgpr36
	s_and_saveexec_b64 s[36:37], s[8:9]
	s_xor_b64 s[8:9], exec, s[36:37]
; %bb.96:                               ;   in Loop: Header=BB306_13 Depth=1
	v_bfe_u32 v36, v42, 16, 1
	v_add3_u32 v36, v42, v36, s14
                                        ; implicit-def: $vgpr42
; %bb.97:                               ;   in Loop: Header=BB306_13 Depth=1
	s_andn2_saveexec_b64 s[36:37], s[8:9]
; %bb.98:                               ;   in Loop: Header=BB306_13 Depth=1
	v_or_b32_e32 v36, 0x10000, v42
	v_cmp_eq_u32_sdwa s[8:9], v42, v43 src0_sel:WORD_0 src1_sel:DWORD
	s_nop 1
	v_cndmask_b32_e64 v36, v36, v42, s[8:9]
; %bb.99:                               ;   in Loop: Header=BB306_13 Depth=1
	s_or_b64 exec, exec, s[36:37]
	v_mov_b32_e32 v95, v43
	s_waitcnt lgkmcnt(0)
	v_lshl_add_u64 v[56:57], v[94:95], 1, s[24:25]
	global_store_short_d16_hi v[56:57], v36, off
	s_or_b64 exec, exec, s[10:11]
	v_cmp_ne_u32_e64 s[8:9], 0, v89
	s_and_saveexec_b64 s[36:37], s[8:9]
	s_cbranch_execz .LBB306_69
.LBB306_100:                            ;   in Loop: Header=BB306_13 Depth=1
	v_cvt_f32_i32_e32 v36, v44
	v_add_f32_e32 v35, v35, v36
	s_waitcnt vmcnt(16)
	v_lshlrev_b32_e32 v36, 16, v54
	v_add_f32_e32 v36, v35, v36
	v_and_b32_e32 v35, 0x7f800000, v36
	v_cmp_ne_u32_e64 s[10:11], s50, v35
                                        ; implicit-def: $vgpr35
	s_and_saveexec_b64 s[38:39], s[10:11]
	s_xor_b64 s[10:11], exec, s[38:39]
; %bb.101:                              ;   in Loop: Header=BB306_13 Depth=1
	v_bfe_u32 v35, v36, 16, 1
	v_add3_u32 v35, v36, v35, s14
                                        ; implicit-def: $vgpr36
; %bb.102:                              ;   in Loop: Header=BB306_13 Depth=1
	s_andn2_saveexec_b64 s[38:39], s[10:11]
; %bb.103:                              ;   in Loop: Header=BB306_13 Depth=1
	v_or_b32_e32 v35, 0x10000, v36
	v_cmp_eq_u32_sdwa s[10:11], v36, v43 src0_sel:WORD_0 src1_sel:DWORD
	s_nop 1
	v_cndmask_b32_e64 v35, v35, v36, s[10:11]
; %bb.104:                              ;   in Loop: Header=BB306_13 Depth=1
	s_or_b64 exec, exec, s[38:39]
	v_mov_b32_e32 v93, v43
	s_waitcnt lgkmcnt(0)
	v_lshl_add_u64 v[54:55], v[92:93], 1, s[24:25]
	global_store_short_d16_hi v[54:55], v35, off
	s_or_b64 exec, exec, s[36:37]
	v_add_u32_e32 v42, s15, v90
	s_and_saveexec_b64 s[36:37], vcc
	s_cbranch_execz .LBB306_70
.LBB306_105:                            ;   in Loop: Header=BB306_13 Depth=1
	v_cvt_f32_i32_e32 v35, v37
	v_add_f32_e32 v33, v33, v35
	s_waitcnt vmcnt(15)
	v_lshlrev_b32_e32 v35, 16, v53
	v_add_f32_e32 v35, v33, v35
	v_and_b32_e32 v33, 0x7f800000, v35
	v_cmp_ne_u32_e64 s[10:11], s50, v33
                                        ; implicit-def: $vgpr33
	s_and_saveexec_b64 s[38:39], s[10:11]
	s_xor_b64 s[10:11], exec, s[38:39]
; %bb.106:                              ;   in Loop: Header=BB306_13 Depth=1
	v_bfe_u32 v33, v35, 16, 1
	v_add3_u32 v33, v35, v33, s14
                                        ; implicit-def: $vgpr35
; %bb.107:                              ;   in Loop: Header=BB306_13 Depth=1
	s_andn2_saveexec_b64 s[38:39], s[10:11]
; %bb.108:                              ;   in Loop: Header=BB306_13 Depth=1
	v_or_b32_e32 v33, 0x10000, v35
	v_cmp_eq_u32_sdwa s[10:11], v35, v43 src0_sel:WORD_0 src1_sel:DWORD
	s_nop 1
	v_cndmask_b32_e64 v33, v33, v35, s[10:11]
; %bb.109:                              ;   in Loop: Header=BB306_13 Depth=1
	s_or_b64 exec, exec, s[38:39]
	s_waitcnt lgkmcnt(0)
	v_lshl_add_u64 v[36:37], v[42:43], 1, s[24:25]
	global_store_short_d16_hi v[36:37], v33, off
	s_or_b64 exec, exec, s[36:37]
	s_and_saveexec_b64 s[36:37], s[4:5]
	s_cbranch_execz .LBB306_71
.LBB306_110:                            ;   in Loop: Header=BB306_13 Depth=1
	v_cvt_f32_i32_e32 v31, v31
	v_add_f32_e32 v30, v30, v31
	s_waitcnt vmcnt(14)
	v_lshlrev_b32_e32 v31, 16, v52
	v_add_f32_e32 v31, v30, v31
	v_and_b32_e32 v30, 0x7f800000, v31
	v_cmp_ne_u32_e64 s[10:11], s50, v30
                                        ; implicit-def: $vgpr30
	s_and_saveexec_b64 s[38:39], s[10:11]
	s_xor_b64 s[10:11], exec, s[38:39]
; %bb.111:                              ;   in Loop: Header=BB306_13 Depth=1
	v_bfe_u32 v30, v31, 16, 1
	v_add3_u32 v30, v31, v30, s14
                                        ; implicit-def: $vgpr31
; %bb.112:                              ;   in Loop: Header=BB306_13 Depth=1
	s_andn2_saveexec_b64 s[38:39], s[10:11]
; %bb.113:                              ;   in Loop: Header=BB306_13 Depth=1
	v_or_b32_e32 v30, 0x10000, v31
	v_cmp_eq_u32_sdwa s[10:11], v31, v43 src0_sel:WORD_0 src1_sel:DWORD
	s_nop 1
	v_cndmask_b32_e64 v30, v30, v31, s[10:11]
; %bb.114:                              ;   in Loop: Header=BB306_13 Depth=1
	s_or_b64 exec, exec, s[38:39]
	v_add_u32_e32 v36, 1, v42
	v_mov_b32_e32 v37, v43
	s_waitcnt lgkmcnt(0)
	v_lshl_add_u64 v[36:37], v[36:37], 1, s[24:25]
	global_store_short_d16_hi v[36:37], v30, off
	s_or_b64 exec, exec, s[36:37]
	s_and_saveexec_b64 s[36:37], s[6:7]
	s_cbranch_execz .LBB306_72
.LBB306_115:                            ;   in Loop: Header=BB306_13 Depth=1
	v_cvt_f32_i32_e32 v30, v32
	v_add_f32_e32 v28, v28, v30
	s_waitcnt vmcnt(13)
	v_lshlrev_b32_e32 v30, 16, v51
	v_add_f32_e32 v30, v28, v30
	v_and_b32_e32 v28, 0x7f800000, v30
	v_cmp_ne_u32_e64 s[10:11], s50, v28
                                        ; implicit-def: $vgpr28
	s_and_saveexec_b64 s[38:39], s[10:11]
	s_xor_b64 s[10:11], exec, s[38:39]
; %bb.116:                              ;   in Loop: Header=BB306_13 Depth=1
	v_bfe_u32 v28, v30, 16, 1
	v_add3_u32 v28, v30, v28, s14
                                        ; implicit-def: $vgpr30
; %bb.117:                              ;   in Loop: Header=BB306_13 Depth=1
	s_andn2_saveexec_b64 s[38:39], s[10:11]
; %bb.118:                              ;   in Loop: Header=BB306_13 Depth=1
	v_or_b32_e32 v28, 0x10000, v30
	v_cmp_eq_u32_sdwa s[10:11], v30, v43 src0_sel:WORD_0 src1_sel:DWORD
	s_nop 1
	v_cndmask_b32_e64 v28, v28, v30, s[10:11]
; %bb.119:                              ;   in Loop: Header=BB306_13 Depth=1
	s_or_b64 exec, exec, s[38:39]
	v_add_u32_e32 v30, 2, v42
	v_mov_b32_e32 v31, v43
	s_waitcnt lgkmcnt(0)
	v_lshl_add_u64 v[30:31], v[30:31], 1, s[24:25]
	global_store_short_d16_hi v[30:31], v28, off
	s_or_b64 exec, exec, s[36:37]
	s_and_saveexec_b64 s[36:37], s[8:9]
	s_cbranch_execz .LBB306_73
.LBB306_120:                            ;   in Loop: Header=BB306_13 Depth=1
	v_cvt_f32_i32_e32 v28, v29
	v_add_f32_e32 v24, v24, v28
	s_waitcnt vmcnt(12)
	v_lshlrev_b32_e32 v28, 16, v50
	v_add_f32_e32 v28, v24, v28
	v_and_b32_e32 v24, 0x7f800000, v28
	v_cmp_ne_u32_e64 s[10:11], s50, v24
                                        ; implicit-def: $vgpr24
	s_and_saveexec_b64 s[38:39], s[10:11]
	s_xor_b64 s[10:11], exec, s[38:39]
; %bb.121:                              ;   in Loop: Header=BB306_13 Depth=1
	v_bfe_u32 v24, v28, 16, 1
	v_add3_u32 v24, v28, v24, s14
                                        ; implicit-def: $vgpr28
; %bb.122:                              ;   in Loop: Header=BB306_13 Depth=1
	s_andn2_saveexec_b64 s[38:39], s[10:11]
; %bb.123:                              ;   in Loop: Header=BB306_13 Depth=1
	v_or_b32_e32 v24, 0x10000, v28
	v_cmp_eq_u32_sdwa s[10:11], v28, v43 src0_sel:WORD_0 src1_sel:DWORD
	s_nop 1
	v_cndmask_b32_e64 v24, v24, v28, s[10:11]
; %bb.124:                              ;   in Loop: Header=BB306_13 Depth=1
	s_or_b64 exec, exec, s[38:39]
	v_add_u32_e32 v28, 3, v42
	v_mov_b32_e32 v29, v43
	s_waitcnt lgkmcnt(0)
	v_lshl_add_u64 v[28:29], v[28:29], 1, s[24:25]
	global_store_short_d16_hi v[28:29], v24, off
	s_or_b64 exec, exec, s[36:37]
	v_add_u32_e32 v42, s15, v42
	s_and_saveexec_b64 s[36:37], vcc
	s_cbranch_execz .LBB306_74
.LBB306_125:                            ;   in Loop: Header=BB306_13 Depth=1
	v_cvt_f32_i32_e32 v24, v26
	v_add_f32_e32 v23, v23, v24
	s_waitcnt vmcnt(11)
	v_lshlrev_b32_e32 v24, 16, v49
	v_add_f32_e32 v24, v23, v24
	v_and_b32_e32 v23, 0x7f800000, v24
	v_cmp_ne_u32_e64 s[10:11], s50, v23
                                        ; implicit-def: $vgpr23
	s_and_saveexec_b64 s[38:39], s[10:11]
	s_xor_b64 s[10:11], exec, s[38:39]
; %bb.126:                              ;   in Loop: Header=BB306_13 Depth=1
	v_bfe_u32 v23, v24, 16, 1
	v_add3_u32 v23, v24, v23, s14
                                        ; implicit-def: $vgpr24
; %bb.127:                              ;   in Loop: Header=BB306_13 Depth=1
	s_andn2_saveexec_b64 s[38:39], s[10:11]
; %bb.128:                              ;   in Loop: Header=BB306_13 Depth=1
	v_or_b32_e32 v23, 0x10000, v24
	v_cmp_eq_u32_sdwa s[10:11], v24, v43 src0_sel:WORD_0 src1_sel:DWORD
	s_nop 1
	v_cndmask_b32_e64 v23, v23, v24, s[10:11]
; %bb.129:                              ;   in Loop: Header=BB306_13 Depth=1
	s_or_b64 exec, exec, s[38:39]
	s_waitcnt lgkmcnt(0)
	v_lshl_add_u64 v[28:29], v[42:43], 1, s[24:25]
	global_store_short_d16_hi v[28:29], v23, off
	s_or_b64 exec, exec, s[36:37]
	s_and_saveexec_b64 s[36:37], s[4:5]
	s_cbranch_execz .LBB306_75
.LBB306_130:                            ;   in Loop: Header=BB306_13 Depth=1
	v_cvt_f32_i32_e32 v23, v25
	v_add_f32_e32 v21, v21, v23
	s_waitcnt vmcnt(10)
	v_lshlrev_b32_e32 v23, 16, v48
	v_add_f32_e32 v23, v21, v23
	v_and_b32_e32 v21, 0x7f800000, v23
	v_cmp_ne_u32_e64 s[10:11], s50, v21
                                        ; implicit-def: $vgpr21
	s_and_saveexec_b64 s[38:39], s[10:11]
	s_xor_b64 s[10:11], exec, s[38:39]
; %bb.131:                              ;   in Loop: Header=BB306_13 Depth=1
	v_bfe_u32 v21, v23, 16, 1
	v_add3_u32 v21, v23, v21, s14
                                        ; implicit-def: $vgpr23
; %bb.132:                              ;   in Loop: Header=BB306_13 Depth=1
	s_andn2_saveexec_b64 s[38:39], s[10:11]
; %bb.133:                              ;   in Loop: Header=BB306_13 Depth=1
	v_or_b32_e32 v21, 0x10000, v23
	v_cmp_eq_u32_sdwa s[10:11], v23, v43 src0_sel:WORD_0 src1_sel:DWORD
	s_nop 1
	v_cndmask_b32_e64 v21, v21, v23, s[10:11]
; %bb.134:                              ;   in Loop: Header=BB306_13 Depth=1
	s_or_b64 exec, exec, s[38:39]
	v_add_u32_e32 v24, 1, v42
	v_mov_b32_e32 v25, v43
	s_waitcnt lgkmcnt(0)
	v_lshl_add_u64 v[24:25], v[24:25], 1, s[24:25]
	global_store_short_d16_hi v[24:25], v21, off
	s_or_b64 exec, exec, s[36:37]
	s_and_saveexec_b64 s[36:37], s[6:7]
	s_cbranch_execz .LBB306_76
.LBB306_135:                            ;   in Loop: Header=BB306_13 Depth=1
	v_cvt_f32_i32_e32 v19, v19
	v_add_f32_e32 v18, v18, v19
	s_waitcnt vmcnt(9)
	v_lshlrev_b32_e32 v19, 16, v47
	v_add_f32_e32 v19, v18, v19
	v_and_b32_e32 v18, 0x7f800000, v19
	v_cmp_ne_u32_e64 s[10:11], s50, v18
                                        ; implicit-def: $vgpr18
	s_and_saveexec_b64 s[38:39], s[10:11]
	s_xor_b64 s[10:11], exec, s[38:39]
; %bb.136:                              ;   in Loop: Header=BB306_13 Depth=1
	v_bfe_u32 v18, v19, 16, 1
	v_add3_u32 v18, v19, v18, s14
                                        ; implicit-def: $vgpr19
; %bb.137:                              ;   in Loop: Header=BB306_13 Depth=1
	s_andn2_saveexec_b64 s[38:39], s[10:11]
; %bb.138:                              ;   in Loop: Header=BB306_13 Depth=1
	v_or_b32_e32 v18, 0x10000, v19
	v_cmp_eq_u32_sdwa s[10:11], v19, v43 src0_sel:WORD_0 src1_sel:DWORD
	s_nop 1
	v_cndmask_b32_e64 v18, v18, v19, s[10:11]
; %bb.139:                              ;   in Loop: Header=BB306_13 Depth=1
	s_or_b64 exec, exec, s[38:39]
	v_add_u32_e32 v24, 2, v42
	v_mov_b32_e32 v25, v43
	s_waitcnt lgkmcnt(0)
	v_lshl_add_u64 v[24:25], v[24:25], 1, s[24:25]
	global_store_short_d16_hi v[24:25], v18, off
	s_or_b64 exec, exec, s[36:37]
	s_and_saveexec_b64 s[36:37], s[8:9]
	s_cbranch_execz .LBB306_77
.LBB306_140:                            ;   in Loop: Header=BB306_13 Depth=1
	v_cvt_f32_i32_e32 v18, v20
	v_add_f32_e32 v16, v16, v18
	s_waitcnt vmcnt(8)
	v_lshlrev_b32_e32 v18, 16, v46
	v_add_f32_e32 v18, v16, v18
	v_and_b32_e32 v16, 0x7f800000, v18
	v_cmp_ne_u32_e64 s[10:11], s50, v16
                                        ; implicit-def: $vgpr16
	s_and_saveexec_b64 s[38:39], s[10:11]
	s_xor_b64 s[10:11], exec, s[38:39]
; %bb.141:                              ;   in Loop: Header=BB306_13 Depth=1
	v_bfe_u32 v16, v18, 16, 1
	v_add3_u32 v16, v18, v16, s14
                                        ; implicit-def: $vgpr18
; %bb.142:                              ;   in Loop: Header=BB306_13 Depth=1
	s_andn2_saveexec_b64 s[38:39], s[10:11]
; %bb.143:                              ;   in Loop: Header=BB306_13 Depth=1
	v_or_b32_e32 v16, 0x10000, v18
	v_cmp_eq_u32_sdwa s[10:11], v18, v43 src0_sel:WORD_0 src1_sel:DWORD
	s_nop 1
	v_cndmask_b32_e64 v16, v16, v18, s[10:11]
; %bb.144:                              ;   in Loop: Header=BB306_13 Depth=1
	s_or_b64 exec, exec, s[38:39]
	v_add_u32_e32 v18, 3, v42
	v_mov_b32_e32 v19, v43
	s_waitcnt lgkmcnt(0)
	v_lshl_add_u64 v[18:19], v[18:19], 1, s[24:25]
	global_store_short_d16_hi v[18:19], v16, off
	s_or_b64 exec, exec, s[36:37]
	v_add_u32_e32 v42, s15, v42
	s_and_saveexec_b64 s[36:37], vcc
	s_cbranch_execz .LBB306_78
.LBB306_145:                            ;   in Loop: Header=BB306_13 Depth=1
	v_cvt_f32_i32_e32 v16, v17
	v_add_f32_e32 v13, v13, v16
	s_waitcnt vmcnt(7)
	v_lshlrev_b32_e32 v16, 16, v41
	v_add_f32_e32 v16, v13, v16
	v_and_b32_e32 v13, 0x7f800000, v16
	v_cmp_ne_u32_e64 s[10:11], s50, v13
                                        ; implicit-def: $vgpr13
	s_and_saveexec_b64 s[38:39], s[10:11]
	s_xor_b64 s[10:11], exec, s[38:39]
; %bb.146:                              ;   in Loop: Header=BB306_13 Depth=1
	v_bfe_u32 v13, v16, 16, 1
	v_add3_u32 v13, v16, v13, s14
                                        ; implicit-def: $vgpr16
; %bb.147:                              ;   in Loop: Header=BB306_13 Depth=1
	s_andn2_saveexec_b64 s[38:39], s[10:11]
; %bb.148:                              ;   in Loop: Header=BB306_13 Depth=1
	v_or_b32_e32 v13, 0x10000, v16
	v_cmp_eq_u32_sdwa s[10:11], v16, v43 src0_sel:WORD_0 src1_sel:DWORD
	s_nop 1
	v_cndmask_b32_e64 v13, v13, v16, s[10:11]
; %bb.149:                              ;   in Loop: Header=BB306_13 Depth=1
	s_or_b64 exec, exec, s[38:39]
	s_waitcnt lgkmcnt(0)
	v_lshl_add_u64 v[16:17], v[42:43], 1, s[24:25]
	global_store_short_d16_hi v[16:17], v13, off
	s_or_b64 exec, exec, s[36:37]
	s_and_saveexec_b64 s[36:37], s[4:5]
	s_cbranch_execz .LBB306_79
.LBB306_150:                            ;   in Loop: Header=BB306_13 Depth=1
	v_cvt_f32_i32_e32 v13, v15
	v_add_f32_e32 v11, v11, v13
	s_waitcnt vmcnt(6)
	v_lshlrev_b32_e32 v13, 16, v40
	v_add_f32_e32 v13, v11, v13
	v_and_b32_e32 v11, 0x7f800000, v13
	v_cmp_ne_u32_e64 s[10:11], s50, v11
                                        ; implicit-def: $vgpr11
	s_and_saveexec_b64 s[38:39], s[10:11]
	s_xor_b64 s[10:11], exec, s[38:39]
; %bb.151:                              ;   in Loop: Header=BB306_13 Depth=1
	v_bfe_u32 v11, v13, 16, 1
	v_add3_u32 v11, v13, v11, s14
                                        ; implicit-def: $vgpr13
; %bb.152:                              ;   in Loop: Header=BB306_13 Depth=1
	s_andn2_saveexec_b64 s[38:39], s[10:11]
; %bb.153:                              ;   in Loop: Header=BB306_13 Depth=1
	v_or_b32_e32 v11, 0x10000, v13
	v_cmp_eq_u32_sdwa s[10:11], v13, v43 src0_sel:WORD_0 src1_sel:DWORD
	s_nop 1
	v_cndmask_b32_e64 v11, v11, v13, s[10:11]
; %bb.154:                              ;   in Loop: Header=BB306_13 Depth=1
	s_or_b64 exec, exec, s[38:39]
	v_add_u32_e32 v16, 1, v42
	v_mov_b32_e32 v17, v43
	s_waitcnt lgkmcnt(0)
	v_lshl_add_u64 v[16:17], v[16:17], 1, s[24:25]
	global_store_short_d16_hi v[16:17], v11, off
	s_or_b64 exec, exec, s[36:37]
	s_and_saveexec_b64 s[36:37], s[6:7]
	s_cbranch_execz .LBB306_80
.LBB306_155:                            ;   in Loop: Header=BB306_13 Depth=1
	v_cvt_f32_i32_e32 v11, v12
	v_add_f32_e32 v8, v8, v11
	s_waitcnt vmcnt(5)
	v_lshlrev_b32_e32 v11, 16, v39
	v_add_f32_e32 v11, v8, v11
	v_and_b32_e32 v8, 0x7f800000, v11
	v_cmp_ne_u32_e64 s[10:11], s50, v8
                                        ; implicit-def: $vgpr8
	s_and_saveexec_b64 s[38:39], s[10:11]
	s_xor_b64 s[10:11], exec, s[38:39]
; %bb.156:                              ;   in Loop: Header=BB306_13 Depth=1
	v_bfe_u32 v8, v11, 16, 1
	v_add3_u32 v8, v11, v8, s14
                                        ; implicit-def: $vgpr11
; %bb.157:                              ;   in Loop: Header=BB306_13 Depth=1
	s_andn2_saveexec_b64 s[38:39], s[10:11]
; %bb.158:                              ;   in Loop: Header=BB306_13 Depth=1
	v_or_b32_e32 v8, 0x10000, v11
	v_cmp_eq_u32_sdwa s[10:11], v11, v43 src0_sel:WORD_0 src1_sel:DWORD
	s_nop 1
	v_cndmask_b32_e64 v8, v8, v11, s[10:11]
; %bb.159:                              ;   in Loop: Header=BB306_13 Depth=1
	s_or_b64 exec, exec, s[38:39]
	v_add_u32_e32 v12, 2, v42
	v_mov_b32_e32 v13, v43
	s_waitcnt lgkmcnt(0)
	v_lshl_add_u64 v[12:13], v[12:13], 1, s[24:25]
	global_store_short_d16_hi v[12:13], v8, off
	s_or_b64 exec, exec, s[36:37]
	s_and_saveexec_b64 s[36:37], s[8:9]
	s_cbranch_execz .LBB306_81
.LBB306_160:                            ;   in Loop: Header=BB306_13 Depth=1
	v_cvt_f32_i32_e32 v7, v7
	v_add_f32_e32 v4, v4, v7
	s_waitcnt vmcnt(4)
	v_lshlrev_b32_e32 v7, 16, v38
	v_add_f32_e32 v7, v4, v7
	v_and_b32_e32 v4, 0x7f800000, v7
	v_cmp_ne_u32_e64 s[10:11], s50, v4
                                        ; implicit-def: $vgpr4
	s_and_saveexec_b64 s[38:39], s[10:11]
	s_xor_b64 s[10:11], exec, s[38:39]
; %bb.161:                              ;   in Loop: Header=BB306_13 Depth=1
	v_bfe_u32 v4, v7, 16, 1
	v_add3_u32 v4, v7, v4, s14
                                        ; implicit-def: $vgpr7
; %bb.162:                              ;   in Loop: Header=BB306_13 Depth=1
	s_andn2_saveexec_b64 s[38:39], s[10:11]
; %bb.163:                              ;   in Loop: Header=BB306_13 Depth=1
	v_or_b32_e32 v4, 0x10000, v7
	v_cmp_eq_u32_sdwa s[10:11], v7, v43 src0_sel:WORD_0 src1_sel:DWORD
	s_nop 1
	v_cndmask_b32_e64 v4, v4, v7, s[10:11]
; %bb.164:                              ;   in Loop: Header=BB306_13 Depth=1
	s_or_b64 exec, exec, s[38:39]
	v_add_u32_e32 v12, 3, v42
	v_mov_b32_e32 v13, v43
	s_waitcnt lgkmcnt(0)
	v_lshl_add_u64 v[12:13], v[12:13], 1, s[24:25]
	global_store_short_d16_hi v[12:13], v4, off
	s_or_b64 exec, exec, s[36:37]
	v_add_u32_e32 v42, s15, v42
	s_and_saveexec_b64 s[10:11], vcc
	s_cbranch_execz .LBB306_82
.LBB306_165:                            ;   in Loop: Header=BB306_13 Depth=1
	v_cvt_f32_i32_e32 v4, v10
	s_waitcnt vmcnt(3)
	v_lshlrev_b32_e32 v7, 16, v34
	v_add_f32_e32 v4, v9, v4
	v_add_f32_e32 v7, v4, v7
	v_and_b32_e32 v4, 0x7f800000, v7
	v_cmp_ne_u32_e32 vcc, s50, v4
                                        ; implicit-def: $vgpr4
	s_and_saveexec_b64 s[36:37], vcc
	s_xor_b64 s[36:37], exec, s[36:37]
; %bb.166:                              ;   in Loop: Header=BB306_13 Depth=1
	v_bfe_u32 v4, v7, 16, 1
	v_add3_u32 v4, v7, v4, s14
                                        ; implicit-def: $vgpr7
; %bb.167:                              ;   in Loop: Header=BB306_13 Depth=1
	s_andn2_saveexec_b64 s[36:37], s[36:37]
; %bb.168:                              ;   in Loop: Header=BB306_13 Depth=1
	v_or_b32_e32 v4, 0x10000, v7
	v_cmp_eq_u32_sdwa vcc, v7, v43 src0_sel:WORD_0 src1_sel:DWORD
	s_nop 1
	v_cndmask_b32_e32 v4, v4, v7, vcc
; %bb.169:                              ;   in Loop: Header=BB306_13 Depth=1
	s_or_b64 exec, exec, s[36:37]
	s_waitcnt lgkmcnt(0)
	v_lshl_add_u64 v[8:9], v[42:43], 1, s[24:25]
	global_store_short_d16_hi v[8:9], v4, off
	s_or_b64 exec, exec, s[10:11]
	s_and_saveexec_b64 s[10:11], s[4:5]
	s_cbranch_execz .LBB306_83
.LBB306_170:                            ;   in Loop: Header=BB306_13 Depth=1
	v_cvt_f32_i32_e32 v4, v6
	v_add_f32_e32 v4, v5, v4
	s_waitcnt vmcnt(2)
	v_lshlrev_b32_e32 v5, 16, v27
	v_add_f32_e32 v5, v4, v5
	v_and_b32_e32 v4, 0x7f800000, v5
	v_cmp_ne_u32_e32 vcc, s50, v4
                                        ; implicit-def: $vgpr4
	s_and_saveexec_b64 s[4:5], vcc
	s_xor_b64 s[4:5], exec, s[4:5]
; %bb.171:                              ;   in Loop: Header=BB306_13 Depth=1
	v_bfe_u32 v4, v5, 16, 1
	v_add3_u32 v4, v5, v4, s14
                                        ; implicit-def: $vgpr5
; %bb.172:                              ;   in Loop: Header=BB306_13 Depth=1
	s_andn2_saveexec_b64 s[4:5], s[4:5]
; %bb.173:                              ;   in Loop: Header=BB306_13 Depth=1
	v_or_b32_e32 v4, 0x10000, v5
	v_cmp_eq_u32_sdwa vcc, v5, v43 src0_sel:WORD_0 src1_sel:DWORD
	s_nop 1
	v_cndmask_b32_e32 v4, v4, v5, vcc
; %bb.174:                              ;   in Loop: Header=BB306_13 Depth=1
	s_or_b64 exec, exec, s[4:5]
	v_add_u32_e32 v6, 1, v42
	v_mov_b32_e32 v7, v43
	s_waitcnt lgkmcnt(0)
	v_lshl_add_u64 v[6:7], v[6:7], 1, s[24:25]
	global_store_short_d16_hi v[6:7], v4, off
	s_or_b64 exec, exec, s[10:11]
	s_and_saveexec_b64 s[4:5], s[6:7]
	s_cbranch_execz .LBB306_84
.LBB306_175:                            ;   in Loop: Header=BB306_13 Depth=1
	v_cvt_f32_i32_e32 v3, v3
	v_add_f32_e32 v2, v2, v3
	s_waitcnt vmcnt(1)
	v_lshlrev_b32_e32 v3, 16, v22
	v_add_f32_e32 v3, v2, v3
	v_and_b32_e32 v2, 0x7f800000, v3
	v_cmp_ne_u32_e32 vcc, s50, v2
                                        ; implicit-def: $vgpr2
	s_and_saveexec_b64 s[6:7], vcc
	s_xor_b64 s[6:7], exec, s[6:7]
; %bb.176:                              ;   in Loop: Header=BB306_13 Depth=1
	v_bfe_u32 v2, v3, 16, 1
	v_add3_u32 v2, v3, v2, s14
                                        ; implicit-def: $vgpr3
; %bb.177:                              ;   in Loop: Header=BB306_13 Depth=1
	s_andn2_saveexec_b64 s[6:7], s[6:7]
; %bb.178:                              ;   in Loop: Header=BB306_13 Depth=1
	v_or_b32_e32 v2, 0x10000, v3
	v_cmp_eq_u32_sdwa vcc, v3, v43 src0_sel:WORD_0 src1_sel:DWORD
	s_nop 1
	v_cndmask_b32_e32 v2, v2, v3, vcc
; %bb.179:                              ;   in Loop: Header=BB306_13 Depth=1
	s_or_b64 exec, exec, s[6:7]
	v_add_u32_e32 v4, 2, v42
	v_mov_b32_e32 v5, v43
	s_waitcnt lgkmcnt(0)
	v_lshl_add_u64 v[4:5], v[4:5], 1, s[24:25]
	global_store_short_d16_hi v[4:5], v2, off
	s_or_b64 exec, exec, s[4:5]
	s_and_b64 exec, exec, s[8:9]
	s_cbranch_execz .LBB306_185
.LBB306_180:                            ;   in Loop: Header=BB306_13 Depth=1
	v_cvt_f32_i32_e32 v1, v1
	v_add_f32_e32 v0, v0, v1
	s_waitcnt vmcnt(0)
	v_lshlrev_b32_e32 v1, 16, v14
	v_add_f32_e32 v1, v0, v1
	v_and_b32_e32 v0, 0x7f800000, v1
	v_cmp_ne_u32_e32 vcc, s50, v0
                                        ; implicit-def: $vgpr0
	s_and_saveexec_b64 s[4:5], vcc
	s_xor_b64 s[4:5], exec, s[4:5]
; %bb.181:                              ;   in Loop: Header=BB306_13 Depth=1
	v_bfe_u32 v0, v1, 16, 1
	v_add3_u32 v0, v1, v0, s14
                                        ; implicit-def: $vgpr1
; %bb.182:                              ;   in Loop: Header=BB306_13 Depth=1
	s_andn2_saveexec_b64 s[4:5], s[4:5]
; %bb.183:                              ;   in Loop: Header=BB306_13 Depth=1
	v_or_b32_e32 v0, 0x10000, v1
	v_cmp_eq_u32_sdwa vcc, v1, v43 src0_sel:WORD_0 src1_sel:DWORD
	s_nop 1
	v_cndmask_b32_e32 v0, v0, v1, vcc
; %bb.184:                              ;   in Loop: Header=BB306_13 Depth=1
	s_or_b64 exec, exec, s[4:5]
	v_add_u32_e32 v42, 3, v42
	s_waitcnt lgkmcnt(0)
	v_lshl_add_u64 v[2:3], v[42:43], 1, s[24:25]
	global_store_short_d16_hi v[2:3], v0, off
.LBB306_185:                            ;   in Loop: Header=BB306_13 Depth=1
	s_or_b64 exec, exec, s[34:35]
	v_add_u32_e32 v90, s41, v90
	v_add_u32_e32 v0, 4, v90
	v_cmp_gt_u32_e32 vcc, s15, v90
	v_cmp_le_u32_e64 s[4:5], s15, v0
	s_and_b64 s[4:5], vcc, s[4:5]
	s_and_saveexec_b64 s[6:7], s[4:5]
	s_cbranch_execz .LBB306_12
; %bb.186:                              ;   in Loop: Header=BB306_13 Depth=1
	v_cmp_ne_u32_e32 vcc, s42, v90
	s_and_saveexec_b64 s[8:9], vcc
	s_cbranch_execz .LBB306_11
; %bb.187:                              ;   in Loop: Header=BB306_13 Depth=1
	v_subrev_u32_e32 v0, s42, v90
	v_cmp_lt_u32_e32 vcc, 1, v0
	s_mov_b64 s[10:11], 0
	s_mov_b64 s[34:35], 0
	v_cndmask_b32_e32 v0, 1, v0, vcc
.LBB306_188:                            ;   Parent Loop BB306_13 Depth=1
                                        ; =>  This Inner Loop Header: Depth=2
	s_cmp_lg_u32 s34, 3
	s_cselect_b64 vcc, -1, 0
	s_cmp_lg_u32 s34, 2
	v_cndmask_b32_e32 v89, 0, v89, vcc
	s_cselect_b64 vcc, -1, 0
	s_cmp_lg_u32 s34, 1
	v_cndmask_b32_e32 v88, 0, v88, vcc
	s_cselect_b64 vcc, -1, 0
	s_cmp_lg_u32 s34, 0
	v_cndmask_b32_e32 v87, 0, v87, vcc
	s_cselect_b64 vcc, -1, 0
	s_add_u32 s34, s34, 1
	s_addc_u32 s35, s35, 0
	v_cmp_eq_u32_e64 s[4:5], s34, v0
	s_or_b64 s[10:11], s[4:5], s[10:11]
	v_cndmask_b32_e32 v86, 0, v86, vcc
	s_andn2_b64 exec, exec, s[10:11]
	s_cbranch_execnz .LBB306_188
; %bb.189:                              ;   in Loop: Header=BB306_13 Depth=1
	s_or_b64 exec, exec, s[10:11]
	s_branch .LBB306_11
.LBB306_190:
	s_endpgm
	.section	.rodata,"a",@progbits
	.p2align	6, 0x0
	.amdhsa_kernel _Z12wvSplitK_hf_I14__hip_bfloat16Li64ELi4ELi16ELi8ELi2ELi5EEviiiiiiPKT_S3_S3_PS1_ii
		.amdhsa_group_segment_fixed_size 65536
		.amdhsa_private_segment_fixed_size 256
		.amdhsa_kernarg_size 64
		.amdhsa_user_sgpr_count 2
		.amdhsa_user_sgpr_dispatch_ptr 0
		.amdhsa_user_sgpr_queue_ptr 0
		.amdhsa_user_sgpr_kernarg_segment_ptr 1
		.amdhsa_user_sgpr_dispatch_id 0
		.amdhsa_user_sgpr_kernarg_preload_length 0
		.amdhsa_user_sgpr_kernarg_preload_offset 0
		.amdhsa_user_sgpr_private_segment_size 0
		.amdhsa_uses_dynamic_stack 0
		.amdhsa_enable_private_segment 1
		.amdhsa_system_sgpr_workgroup_id_x 1
		.amdhsa_system_sgpr_workgroup_id_y 0
		.amdhsa_system_sgpr_workgroup_id_z 0
		.amdhsa_system_sgpr_workgroup_info 0
		.amdhsa_system_vgpr_workitem_id 1
		.amdhsa_next_free_vgpr 128
		.amdhsa_next_free_sgpr 51
		.amdhsa_accum_offset 128
		.amdhsa_reserve_vcc 1
		.amdhsa_float_round_mode_32 0
		.amdhsa_float_round_mode_16_64 0
		.amdhsa_float_denorm_mode_32 3
		.amdhsa_float_denorm_mode_16_64 3
		.amdhsa_dx10_clamp 1
		.amdhsa_ieee_mode 1
		.amdhsa_fp16_overflow 0
		.amdhsa_tg_split 0
		.amdhsa_exception_fp_ieee_invalid_op 0
		.amdhsa_exception_fp_denorm_src 0
		.amdhsa_exception_fp_ieee_div_zero 0
		.amdhsa_exception_fp_ieee_overflow 0
		.amdhsa_exception_fp_ieee_underflow 0
		.amdhsa_exception_fp_ieee_inexact 0
		.amdhsa_exception_int_div_zero 0
	.end_amdhsa_kernel
	.section	.text._Z12wvSplitK_hf_I14__hip_bfloat16Li64ELi4ELi16ELi8ELi2ELi5EEviiiiiiPKT_S3_S3_PS1_ii,"axG",@progbits,_Z12wvSplitK_hf_I14__hip_bfloat16Li64ELi4ELi16ELi8ELi2ELi5EEviiiiiiPKT_S3_S3_PS1_ii,comdat
.Lfunc_end306:
	.size	_Z12wvSplitK_hf_I14__hip_bfloat16Li64ELi4ELi16ELi8ELi2ELi5EEviiiiiiPKT_S3_S3_PS1_ii, .Lfunc_end306-_Z12wvSplitK_hf_I14__hip_bfloat16Li64ELi4ELi16ELi8ELi2ELi5EEviiiiiiPKT_S3_S3_PS1_ii
                                        ; -- End function
	.section	.AMDGPU.csdata,"",@progbits
; Kernel info:
; codeLenInByte = 10132
; NumSgprs: 57
; NumVgprs: 128
; NumAgprs: 0
; TotalNumVgprs: 128
; ScratchSize: 256
; MemoryBound: 1
; FloatMode: 240
; IeeeMode: 1
; LDSByteSize: 65536 bytes/workgroup (compile time only)
; SGPRBlocks: 7
; VGPRBlocks: 15
; NumSGPRsForWavesPerEU: 57
; NumVGPRsForWavesPerEU: 128
; AccumOffset: 128
; Occupancy: 4
; WaveLimiterHint : 0
; COMPUTE_PGM_RSRC2:SCRATCH_EN: 1
; COMPUTE_PGM_RSRC2:USER_SGPR: 2
; COMPUTE_PGM_RSRC2:TRAP_HANDLER: 0
; COMPUTE_PGM_RSRC2:TGID_X_EN: 1
; COMPUTE_PGM_RSRC2:TGID_Y_EN: 0
; COMPUTE_PGM_RSRC2:TGID_Z_EN: 0
; COMPUTE_PGM_RSRC2:TIDIG_COMP_CNT: 1
; COMPUTE_PGM_RSRC3_GFX90A:ACCUM_OFFSET: 31
; COMPUTE_PGM_RSRC3_GFX90A:TG_SPLIT: 0
	.section	.text._Z16wvSplitK_hf_big_I14__hip_bfloat16Li64ELi4ELi16ELi8ELi2ELi5EEviiiiiiPKT_S3_S3_PS1_ii,"axG",@progbits,_Z16wvSplitK_hf_big_I14__hip_bfloat16Li64ELi4ELi16ELi8ELi2ELi5EEviiiiiiPKT_S3_S3_PS1_ii,comdat
	.protected	_Z16wvSplitK_hf_big_I14__hip_bfloat16Li64ELi4ELi16ELi8ELi2ELi5EEviiiiiiPKT_S3_S3_PS1_ii ; -- Begin function _Z16wvSplitK_hf_big_I14__hip_bfloat16Li64ELi4ELi16ELi8ELi2ELi5EEviiiiiiPKT_S3_S3_PS1_ii
	.globl	_Z16wvSplitK_hf_big_I14__hip_bfloat16Li64ELi4ELi16ELi8ELi2ELi5EEviiiiiiPKT_S3_S3_PS1_ii
	.p2align	8
	.type	_Z16wvSplitK_hf_big_I14__hip_bfloat16Li64ELi4ELi16ELi8ELi2ELi5EEviiiiiiPKT_S3_S3_PS1_ii,@function
_Z16wvSplitK_hf_big_I14__hip_bfloat16Li64ELi4ELi16ELi8ELi2ELi5EEviiiiiiPKT_S3_S3_PS1_ii: ; @_Z16wvSplitK_hf_big_I14__hip_bfloat16Li64ELi4ELi16ELi8ELi2ELi5EEviiiiiiPKT_S3_S3_PS1_ii
; %bb.0:
	s_load_dwordx2 s[8:9], s[0:1], 0x38
	v_bfe_u32 v7, v0, 10, 10
	s_waitcnt lgkmcnt(0)
	v_cmp_gt_u32_e32 vcc, s8, v7
	s_and_saveexec_b64 s[4:5], vcc
	s_cbranch_execz .LBB307_160
; %bb.1:
	s_load_dwordx4 s[24:27], s[0:1], 0x0
	s_mul_i32 s2, s2, s8
	v_add_lshl_u32 v6, s2, v7, 2
	s_mov_b32 s4, 1
	v_add_u32_e32 v1, 4, v6
	s_mov_b32 s5, s4
	s_waitcnt lgkmcnt(0)
	v_cmp_gt_u32_e32 vcc, s27, v6
	v_cmp_le_u32_e64 s[2:3], s27, v1
	s_mov_b32 s6, s4
	s_mov_b32 s7, s4
	v_mov_b64_e32 v[2:3], s[4:5]
	s_and_b64 s[10:11], vcc, s[2:3]
	v_mov_b64_e32 v[4:5], s[6:7]
	s_and_saveexec_b64 s[2:3], s[10:11]
	s_cbranch_execz .LBB307_7
; %bb.2:
	s_add_i32 s16, s27, -4
	v_mov_b64_e32 v[2:3], s[4:5]
	v_cmp_ne_u32_e32 vcc, s16, v6
	v_mov_b64_e32 v[4:5], s[6:7]
	s_and_saveexec_b64 s[10:11], vcc
	s_cbranch_execz .LBB307_6
; %bb.3:
	v_subrev_u32_e32 v1, s16, v6
	v_cmp_lt_u32_e32 vcc, 1, v1
	s_mov_b64 s[12:13], 0
	s_mov_b64 s[14:15], 0
	v_cndmask_b32_e32 v6, 1, v1, vcc
	s_mov_b32 s5, s4
	s_mov_b32 s6, s4
	;; [unrolled: 1-line block ×3, first 2 shown]
.LBB307_4:                              ; =>This Inner Loop Header: Depth=1
	s_cmp_lg_u32 s14, 3
	s_cselect_b32 s7, s7, 0
	s_cmp_lg_u32 s14, 2
	s_cselect_b32 s6, s6, 0
	;; [unrolled: 2-line block ×4, first 2 shown]
	s_add_u32 s14, s14, 1
	s_addc_u32 s15, s15, 0
	v_cmp_eq_u32_e32 vcc, s14, v6
	v_mov_b64_e32 v[2:3], s[4:5]
	s_or_b64 s[12:13], vcc, s[12:13]
	v_mov_b64_e32 v[4:5], s[6:7]
	s_andn2_b64 exec, exec, s[12:13]
	s_cbranch_execnz .LBB307_4
; %bb.5:
	s_or_b64 exec, exec, s[12:13]
	v_mov_b32_e32 v6, s16
.LBB307_6:
	s_or_b64 exec, exec, s[10:11]
.LBB307_7:
	s_or_b64 exec, exec, s[2:3]
	s_lshl_b32 s2, s8, 2
	s_abs_i32 s3, s2
	v_cvt_f32_u32_e32 v1, s3
	s_sub_i32 s6, 0, s3
	s_abs_i32 s5, s27
	s_ashr_i32 s4, s27, 31
	v_rcp_iflag_f32_e32 v1, v1
	scratch_store_dwordx4 off, v[2:5], off offset:228 ; 16-byte Folded Spill
	v_mul_f32_e32 v1, 0x4f7ffffe, v1
	v_cvt_u32_f32_e32 v1, v1
	s_nop 0
	v_readfirstlane_b32 s7, v1
	s_mul_i32 s6, s6, s7
	s_mul_hi_u32 s6, s7, s6
	s_add_i32 s7, s7, s6
	s_mul_hi_u32 s6, s5, s7
	s_mul_i32 s6, s6, s3
	s_sub_i32 s5, s5, s6
	s_sub_i32 s6, s5, s3
	s_cmp_ge_u32 s5, s3
	s_cselect_b32 s5, s6, s5
	s_sub_i32 s6, s5, s3
	s_cmp_ge_u32 s5, s3
	s_cselect_b32 s3, s6, s5
	s_xor_b32 s3, s3, s4
	s_sub_i32 s3, s3, s4
	s_add_i32 s2, s2, s27
	s_sub_i32 s2, s2, s3
	s_cmp_eq_u32 s3, 0
	s_cselect_b32 s33, s27, s2
	v_cmp_gt_u32_e32 vcc, s33, v6
	s_and_b64 exec, exec, vcc
	s_cbranch_execz .LBB307_160
; %bb.8:
	s_load_dwordx8 s[16:23], s[0:1], 0x10
	s_min_u32 s44, s26, 0x1800
	s_cmp_lg_u32 s24, 0
	s_load_dwordx2 s[14:15], s[0:1], 0x30
	s_cselect_b64 s[2:3], -1, 0
	s_cmp_lg_u32 s26, 0
	s_mul_i32 s0, s9, s8
	s_cselect_b64 s[4:5], -1, 0
	s_lshl_b32 s45, s8, 9
	s_add_i32 s46, s24, -8
	s_add_i32 s47, s27, -1
	s_lshl_b32 s48, s0, 2
	s_waitcnt lgkmcnt(0)
	s_cmp_lg_u64 s[22:23], 0
	s_cselect_b64 s[30:31], -1, 0
	s_abs_i32 s6, s17
	v_cvt_f32_u32_e32 v1, s16
	v_cvt_f32_u32_e32 v2, s6
	s_sub_i32 s7, 0, s16
	s_add_i32 s17, s27, -4
	v_rcp_iflag_f32_e32 v1, v1
	v_rcp_iflag_f32_e32 v2, v2
	v_and_b32_e32 v0, 0x3ff, v0
	v_lshlrev_b32_e32 v4, 3, v0
	v_mul_f32_e32 v1, 0x4f7ffffe, v1
	v_mul_f32_e32 v2, 0x4f7ffffe, v2
	v_cvt_u32_f32_e32 v1, v1
	v_cvt_u32_f32_e32 v2, v2
	v_cmp_eq_u32_e64 s[0:1], 63, v0
	v_lshlrev_b32_e32 v0, 4, v0
	v_mul_lo_u32 v3, s7, v1
	s_sub_i32 s7, 0, s6
	v_readfirstlane_b32 s9, v2
	s_mul_i32 s7, s7, s9
	s_mul_hi_u32 s7, s9, s7
	s_add_i32 s9, s9, s7
	s_sub_i32 s7, 1, s6
	s_cmp_lt_u32 s6, 2
	s_cselect_b32 s7, s7, 1
	s_sub_i32 s10, s7, s6
	s_cmp_ge_u32 s7, s6
	s_cselect_b32 s49, s10, s7
	s_lshr_b32 s7, s9, 31
	s_mul_i32 s7, s7, s6
	s_sub_i32 s7, 2, s7
	s_sub_i32 s10, s7, s6
	s_cmp_ge_u32 s7, s6
	s_cselect_b32 s7, s10, s7
	s_sub_i32 s10, s7, s6
	s_cmp_ge_u32 s7, s6
	s_cselect_b32 s50, s10, s7
	s_mul_hi_u32 s7, s9, 3
	s_mul_i32 s7, s7, s6
	s_sub_i32 s7, 3, s7
	s_sub_i32 s10, s7, s6
	s_cmp_ge_u32 s7, s6
	s_cselect_b32 s7, s10, s7
	s_sub_i32 s10, s7, s6
	s_cmp_ge_u32 s7, s6
	s_cselect_b32 s51, s10, s7
	s_lshr_b32 s7, s9, 30
	s_mul_i32 s7, s7, s6
	s_sub_i32 s7, 4, s7
	s_sub_i32 s9, s7, s6
	v_lshl_add_u32 v0, v7, 10, v0
	v_lshl_add_u32 v126, v7, 9, v4
	s_cmp_ge_u32 s7, s6
	scratch_store_dword off, v0, off offset:196 ; 4-byte Folded Spill
	v_lshl_add_u32 v0, s26, 1, v126
	s_cselect_b32 s7, s9, s7
	scratch_store_dword off, v0, off offset:200 ; 4-byte Folded Spill
	v_lshl_add_u32 v0, s26, 2, v126
	s_sub_i32 s9, s7, s6
	scratch_store_dword off, v0, off offset:212 ; 4-byte Folded Spill
	v_add_u32_e32 v0, s26, v126
	v_mul_hi_u32 v3, v1, v3
	s_cmp_ge_u32 s7, s6
	scratch_store_dword off, v0, off offset:216 ; 4-byte Folded Spill
	v_cndmask_b32_e64 v0, 0, 1, s[2:3]
	v_add_u32_e32 v1, v1, v3
	s_cselect_b32 s52, s9, s7
	s_add_u32 s34, s14, 2
	v_cmp_ne_u32_e64 s[2:3], 1, v0
	v_cndmask_b32_e64 v0, 0, 1, s[4:5]
	s_mov_b64 s[28:29], 0
	scratch_store_dword off, v1, off offset:244 ; 4-byte Folded Spill
	v_mov_b32_e32 v1, 0
	s_mul_i32 s49, s49, s16
	s_mul_i32 s50, s50, s16
	;; [unrolled: 1-line block ×4, first 2 shown]
	s_addc_u32 s35, s15, 0
	s_lshl_b32 s53, s44, 3
	s_lshl_b32 s54, s8, 10
	s_mul_i32 s55, s44, 6
	s_lshl_b32 s56, s44, 2
	s_lshl_b32 s57, s44, 1
	v_mad_u64_u32 v[2:3], s[6:7], s26, 3, v[126:127]
	s_mov_b32 s58, 0x7f800000
	s_movk_i32 s59, 0x7fff
	v_cmp_ne_u32_e64 s[4:5], 1, v0
	scratch_store_dword off, v4, off offset:192 ; 4-byte Folded Spill
	scratch_store_dwordx2 off, v[2:3], off offset:204 ; 8-byte Folded Spill
	s_branch .LBB307_12
.LBB307_9:                              ;   in Loop: Header=BB307_12 Depth=1
	s_or_b64 exec, exec, s[10:11]
	v_mov_b32_e32 v64, s17
.LBB307_10:                             ;   in Loop: Header=BB307_12 Depth=1
	s_or_b64 exec, exec, s[8:9]
	scratch_store_dwordx2 off, v[64:65], off offset:220 ; 8-byte Folded Spill
	scratch_store_dwordx4 off, v[76:79], off offset:228 ; 16-byte Folded Spill
.LBB307_11:                             ;   in Loop: Header=BB307_12 Depth=1
	s_or_b64 exec, exec, s[36:37]
	scratch_load_dwordx2 v[6:7], off, off offset:220 ; 8-byte Folded Reload
	s_waitcnt vmcnt(0)
	v_cmp_le_u32_e32 vcc, s33, v6
	s_or_b64 s[28:29], vcc, s[28:29]
	s_andn2_b64 exec, exec, s[28:29]
	s_cbranch_execz .LBB307_160
.LBB307_12:                             ; =>This Loop Header: Depth=1
                                        ;     Child Loop BB307_17 Depth 2
                                        ;       Child Loop BB307_22 Depth 3
                                        ;     Child Loop BB307_158 Depth 2
	s_and_b64 vcc, exec, s[2:3]
	v_mov_b32_e32 v45, v1
	v_mov_b32_e32 v44, v1
	;; [unrolled: 1-line block ×76, first 2 shown]
	scratch_store_dwordx2 off, v[6:7], off offset:220 ; 8-byte Folded Spill
	scratch_store_dwordx4 off, v[2:5], off offset:16 ; 16-byte Folded Spill
	scratch_store_dwordx4 off, v[2:5], off  ; 16-byte Folded Spill
	s_cbranch_vccnz .LBB307_29
; %bb.13:                               ;   in Loop: Header=BB307_12 Depth=1
	scratch_load_dwordx2 v[2:3], off, off offset:220 ; 8-byte Folded Reload
	s_waitcnt vmcnt(0)
	v_mov_b32_e32 v3, v1
	v_mov_b32_e32 v5, v1
	;; [unrolled: 1-line block ×4, first 2 shown]
	s_mov_b32 s36, 0
	s_mov_b32 s37, 0
	v_mov_b32_e32 v39, v38
	v_mov_b32_e32 v40, v38
	v_mov_b32_e32 v41, v38
	v_mov_b32_e32 v54, v38
	v_mov_b32_e32 v55, v38
	v_mov_b32_e32 v56, v38
	v_mov_b32_e32 v57, v38
	v_mov_b32_e32 v46, v38
	v_mov_b32_e32 v47, v38
	v_mov_b32_e32 v48, v38
	v_mov_b32_e32 v49, v38
	v_mov_b32_e32 v50, v38
	v_mov_b32_e32 v51, v38
	v_mov_b32_e32 v52, v38
	v_mov_b32_e32 v53, v38
	v_mov_b32_e32 v58, v38
	v_mov_b32_e32 v59, v38
	v_mov_b32_e32 v60, v38
	v_mov_b32_e32 v61, v38
	v_mov_b32_e32 v62, v38
	v_mov_b32_e32 v63, v38
	v_mov_b32_e32 v64, v38
	v_mov_b32_e32 v65, v38
	v_mov_b32_e32 v66, v38
	v_mov_b32_e32 v67, v38
	v_mov_b32_e32 v68, v38
	v_mov_b32_e32 v69, v38
	v_mov_b32_e32 v70, v38
	v_mov_b32_e32 v71, v38
	v_mov_b32_e32 v72, v38
	v_mov_b32_e32 v73, v38
	v_mov_b32_e32 v74, v38
	v_mov_b32_e32 v75, v38
	v_mov_b32_e32 v76, v38
	v_mov_b32_e32 v77, v38
	v_mov_b32_e32 v78, v38
	v_mov_b32_e32 v79, v38
	v_mov_b32_e32 v80, v38
	v_mov_b32_e32 v81, v38
	v_mov_b32_e32 v34, v38
	v_mov_b32_e32 v35, v38
	v_mov_b32_e32 v36, v38
	v_mov_b32_e32 v37, v38
	v_mov_b32_e32 v30, v38
	v_mov_b32_e32 v31, v38
	v_mov_b32_e32 v32, v38
	v_mov_b32_e32 v33, v38
	v_mov_b32_e32 v26, v38
	v_mov_b32_e32 v27, v38
	v_mov_b32_e32 v28, v38
	v_mov_b32_e32 v29, v38
	v_mov_b32_e32 v114, v38
	v_mov_b32_e32 v115, v38
	v_mov_b32_e32 v116, v38
	v_mov_b32_e32 v117, v38
	v_mov_b32_e32 v90, v38
	v_mov_b32_e32 v91, v38
	v_mov_b32_e32 v92, v38
	v_mov_b32_e32 v93, v38
	v_mov_b32_e32 v86, v38
	v_mov_b32_e32 v87, v38
	v_mov_b32_e32 v88, v38
	v_mov_b32_e32 v89, v38
	v_mov_b32_e32 v98, v38
	v_mov_b32_e32 v99, v38
	v_mov_b32_e32 v100, v38
	v_mov_b32_e32 v101, v38
	v_mov_b32_e32 v42, v38
	v_mov_b32_e32 v43, v38
	v_mov_b32_e32 v44, v38
	v_mov_b32_e32 v45, v38
	v_mov_b32_e32 v6, v2
	v_add_u32_e32 v2, 1, v6
	v_min_u32_e32 v2, s47, v2
	v_add_u32_e32 v4, 2, v6
	v_cmp_gt_u32_e64 s[6:7], s27, v6
	v_min_u32_e32 v0, s47, v6
	v_mul_lo_u32 v2, v2, s25
	v_min_u32_e32 v4, s47, v4
	v_add_u32_e32 v6, 3, v6
	v_mul_lo_u32 v4, v4, s25
	v_min_u32_e32 v6, s47, v6
	v_lshlrev_b64 v[2:3], 1, v[2:3]
	v_mul_lo_u32 v6, v6, s25
	scratch_store_dwordx2 off, v[2:3], off offset:168 ; 8-byte Folded Spill
	v_lshlrev_b64 v[2:3], 1, v[4:5]
	v_mul_lo_u32 v0, v0, s25
	scratch_store_dwordx2 off, v[2:3], off offset:176 ; 8-byte Folded Spill
	v_lshlrev_b64 v[2:3], 1, v[6:7]
	v_lshlrev_b64 v[8:9], 1, v[0:1]
	scratch_store_dwordx2 off, v[2:3], off offset:184 ; 8-byte Folded Spill
	v_mov_b32_e32 v2, v38
	v_mov_b32_e32 v3, v38
	;; [unrolled: 1-line block ×4, first 2 shown]
	scratch_store_dwordx2 off, v[8:9], off offset:160 ; 8-byte Folded Spill
	scratch_store_dwordx4 off, v[2:5], off  ; 16-byte Folded Spill
	scratch_store_dwordx4 off, v[2:5], off offset:16 ; 16-byte Folded Spill
	s_branch .LBB307_17
.LBB307_14:                             ;   in Loop: Header=BB307_17 Depth=2
	s_or_b64 exec, exec, s[12:13]
.LBB307_15:                             ;   in Loop: Header=BB307_17 Depth=2
	s_or_b64 exec, exec, s[10:11]
	scratch_load_dwordx4 v[2:5], off, off offset:16 ; 16-byte Folded Reload
	s_waitcnt lgkmcnt(3)
	v_mfma_f32_4x4x4_16b_bf16 v[66:69], v[30:31], v[110:111], v[66:69]
	v_mfma_f32_4x4x4_16b_bf16 v[62:65], v[30:31], v[106:107], v[62:65]
	s_waitcnt vmcnt(6)
	v_mfma_f32_4x4x4_16b_bf16 v[58:61], v[30:31], v[118:119], v[58:61]
	v_mfma_f32_4x4x4_16b_bf16 v[66:69], v[32:33], v[112:113], v[66:69]
	;; [unrolled: 1-line block ×4, first 2 shown]
	s_waitcnt lgkmcnt(2)
	v_mfma_f32_4x4x4_16b_bf16 v[50:53], v[26:27], v[110:111], v[50:53]
	v_mfma_f32_4x4x4_16b_bf16 v[46:49], v[26:27], v[106:107], v[46:49]
	s_nop 0
	v_mfma_f32_4x4x4_16b_bf16 v[50:53], v[28:29], v[112:113], v[50:53]
	v_mfma_f32_4x4x4_16b_bf16 v[46:49], v[28:29], v[108:109], v[46:49]
	;; [unrolled: 1-line block ×4, first 2 shown]
	s_waitcnt vmcnt(5)
	v_mfma_f32_4x4x4_16b_bf16 v[70:73], v[34:35], v[114:115], v[70:73]
	v_mfma_f32_4x4x4_16b_bf16 v[78:81], v[36:37], v[108:109], v[78:81]
	;; [unrolled: 1-line block ×3, first 2 shown]
	s_waitcnt vmcnt(0)
	v_mfma_f32_4x4x4_16b_bf16 v[42:45], v[34:35], v[110:111], v[2:5]
	s_nop 0
	scratch_load_dwordx4 v[2:5], off, off   ; 16-byte Folded Reload
	v_mfma_f32_4x4x4_16b_bf16 v[42:45], v[36:37], v[112:113], v[42:45]
	v_mfma_f32_4x4x4_16b_bf16 v[34:37], v[36:37], v[116:117], v[70:73]
	s_waitcnt vmcnt(0)
	v_mfma_f32_4x4x4_16b_bf16 v[54:57], v[30:31], v[114:115], v[2:5]
	s_nop 0
	scratch_load_dwordx4 v[2:5], off, off offset:144 ; 16-byte Folded Reload
	v_mfma_f32_4x4x4_16b_bf16 v[30:33], v[32:33], v[116:117], v[54:57]
	v_mfma_f32_4x4x4_16b_bf16 v[54:57], v[26:27], v[118:119], v[38:41]
	;; [unrolled: 1-line block ×3, first 2 shown]
	s_nop 0
	v_mfma_f32_4x4x4_16b_bf16 v[54:57], v[28:29], v[120:121], v[54:57]
	v_mfma_f32_4x4x4_16b_bf16 v[26:29], v[28:29], v[116:117], v[38:41]
	;; [unrolled: 1-line block ×3, first 2 shown]
	s_waitcnt vmcnt(0) lgkmcnt(1)
	v_mfma_f32_4x4x4_16b_bf16 v[38:41], v[22:23], v[110:111], v[2:5]
	s_nop 0
	scratch_load_dwordx4 v[2:5], off, off offset:128 ; 16-byte Folded Reload
	v_mfma_f32_4x4x4_16b_bf16 v[70:73], v[24:25], v[112:113], v[38:41]
	v_mfma_f32_4x4x4_16b_bf16 v[34:37], v[16:17], v[96:97], v[34:37]
	s_waitcnt vmcnt(0)
	v_mfma_f32_4x4x4_16b_bf16 v[38:41], v[22:23], v[106:107], v[2:5]
	s_nop 0
	scratch_load_dwordx4 v[2:5], off, off offset:112 ; 16-byte Folded Reload
	v_mfma_f32_4x4x4_16b_bf16 v[82:85], v[24:25], v[108:109], v[38:41]
	s_waitcnt vmcnt(0)
	v_mfma_f32_4x4x4_16b_bf16 v[38:41], v[22:23], v[118:119], v[2:5]
	s_nop 1
	v_mfma_f32_4x4x4_16b_bf16 v[2:5], v[24:25], v[120:121], v[38:41]
	s_nop 1
	scratch_load_dwordx4 v[38:41], off, off offset:96 ; 16-byte Folded Reload
	v_mfma_f32_4x4x4_16b_bf16 v[2:5], v[122:123], v[98:99], v[2:5]
	s_waitcnt vmcnt(0)
	v_mfma_f32_4x4x4_16b_bf16 v[38:41], v[22:23], v[114:115], v[38:41]
	s_nop 1
	v_mfma_f32_4x4x4_16b_bf16 v[22:25], v[24:25], v[116:117], v[38:41]
	s_nop 1
	scratch_load_dwordx4 v[38:41], off, off offset:80 ; 16-byte Folded Reload
	s_waitcnt vmcnt(0) lgkmcnt(0)
	v_mfma_f32_4x4x4_16b_bf16 v[38:41], v[18:19], v[110:111], v[38:41]
	s_nop 1
	v_mfma_f32_4x4x4_16b_bf16 v[110:113], v[20:21], v[112:113], v[38:41]
	s_nop 1
	scratch_load_dwordx4 v[38:41], off, off offset:64 ; 16-byte Folded Reload
	s_waitcnt vmcnt(0)
	v_mfma_f32_4x4x4_16b_bf16 v[38:41], v[18:19], v[106:107], v[38:41]
	s_nop 1
	v_mfma_f32_4x4x4_16b_bf16 v[106:109], v[20:21], v[108:109], v[38:41]
	s_nop 1
	scratch_load_dwordx4 v[38:41], off, off offset:48 ; 16-byte Folded Reload
	s_waitcnt vmcnt(0)
	;; [unrolled: 6-line block ×3, first 2 shown]
	v_mfma_f32_4x4x4_16b_bf16 v[38:41], v[18:19], v[114:115], v[38:41]
	s_nop 1
	v_mfma_f32_4x4x4_16b_bf16 v[18:21], v[20:21], v[116:117], v[38:41]
	v_mfma_f32_4x4x4_16b_bf16 v[38:41], v[14:15], v[90:91], v[42:45]
	s_nop 1
	v_mfma_f32_4x4x4_16b_bf16 v[38:41], v[16:17], v[92:93], v[38:41]
	s_nop 4
	scratch_store_dwordx4 off, v[38:41], off offset:16 ; 16-byte Folded Spill
	s_nop 1
	v_mfma_f32_4x4x4_16b_bf16 v[38:41], v[14:15], v[86:87], v[78:81]
	s_nop 1
	v_mfma_f32_4x4x4_16b_bf16 v[78:81], v[16:17], v[88:89], v[38:41]
	v_mfma_f32_4x4x4_16b_bf16 v[38:41], v[14:15], v[98:99], v[74:77]
	s_nop 1
	v_mfma_f32_4x4x4_16b_bf16 v[74:77], v[16:17], v[100:101], v[38:41]
	;; [unrolled: 3-line block ×6, first 2 shown]
	s_nop 4
	scratch_store_dwordx4 off, v[10:13], off ; 16-byte Folded Spill
	s_nop 1
	v_mfma_f32_4x4x4_16b_bf16 v[10:13], v[6:7], v[90:91], v[50:53]
	s_nop 1
	v_mfma_f32_4x4x4_16b_bf16 v[50:53], v[8:9], v[92:93], v[10:13]
	v_mfma_f32_4x4x4_16b_bf16 v[10:13], v[6:7], v[86:87], v[46:49]
	s_nop 1
	v_mfma_f32_4x4x4_16b_bf16 v[46:49], v[8:9], v[88:89], v[10:13]
	;; [unrolled: 3-line block ×3, first 2 shown]
	v_mfma_f32_4x4x4_16b_bf16 v[10:13], v[6:7], v[94:95], v[26:29]
	v_mfma_f32_4x4x4_16b_bf16 v[26:29], v[124:125], v[100:101], v[2:5]
	;; [unrolled: 1-line block ×6, first 2 shown]
	v_mov_b64_e32 v[72:73], v[36:37]
	v_mfma_f32_4x4x4_16b_bf16 v[2:5], v[102:103], v[90:91], v[110:113]
	v_mov_b64_e32 v[70:71], v[34:35]
	v_mfma_f32_4x4x4_16b_bf16 v[34:37], v[124:125], v[92:93], v[6:9]
	v_mfma_f32_4x4x4_16b_bf16 v[6:9], v[122:123], v[86:87], v[82:85]
	;; [unrolled: 1-line block ×5, first 2 shown]
	s_nop 0
	v_mfma_f32_4x4x4_16b_bf16 v[86:89], v[104:105], v[88:89], v[2:5]
	v_mfma_f32_4x4x4_16b_bf16 v[2:5], v[102:103], v[98:99], v[118:121]
	s_nop 1
	v_mfma_f32_4x4x4_16b_bf16 v[98:101], v[104:105], v[100:101], v[2:5]
	v_mfma_f32_4x4x4_16b_bf16 v[2:5], v[102:103], v[94:95], v[18:21]
	s_nop 1
	v_mfma_f32_4x4x4_16b_bf16 v[42:45], v[104:105], v[96:97], v[2:5]
.LBB307_16:                             ;   in Loop: Header=BB307_17 Depth=2
	s_or_b64 exec, exec, s[8:9]
	s_addk_i32 s37, 0x400
	s_cmp_ge_u32 s37, s24
	s_cbranch_scc1 .LBB307_29
.LBB307_17:                             ;   Parent Loop BB307_12 Depth=1
                                        ; =>  This Loop Header: Depth=2
                                        ;       Child Loop BB307_22 Depth 3
	s_cmp_eq_u32 s37, 0
	s_cselect_b64 s[8:9], -1, 0
	s_add_i32 s10, s36, s44
	s_cmp_eq_u32 s37, s10
	s_cselect_b64 s[12:13], -1, 0
	s_or_b64 s[12:13], s[8:9], s[12:13]
	s_andn2_b64 vcc, exec, s[12:13]
	s_cbranch_vccz .LBB307_19
; %bb.18:                               ;   in Loop: Header=BB307_17 Depth=2
	s_and_saveexec_b64 s[8:9], s[6:7]
	s_cbranch_execz .LBB307_16
	s_branch .LBB307_26
.LBB307_19:                             ;   in Loop: Header=BB307_17 Depth=2
	s_and_b64 s[8:9], s[8:9], exec
	s_cselect_b32 s36, s36, s10
	s_and_b64 vcc, exec, s[4:5]
	s_barrier
	s_cbranch_vccnz .LBB307_25
; %bb.20:                               ;   in Loop: Header=BB307_17 Depth=2
	scratch_load_dword v0, off, off offset:200 ; 4-byte Folded Reload
	scratch_load_dwordx2 v[2:3], off, off offset:204 ; 8-byte Folded Reload
	scratch_load_dword v11, off, off offset:196 ; 4-byte Folded Reload
	v_add_u32_e32 v10, s36, v126
	s_mov_b32 s38, 0
	s_mov_b64 s[10:11], 0
                                        ; implicit-def: $sgpr12_sgpr13
	s_waitcnt vmcnt(2)
	v_add_u32_e32 v6, s36, v0
	scratch_load_dword v0, off, off offset:212 ; 4-byte Folded Reload
	s_waitcnt vmcnt(2)
	v_add_u32_e32 v7, s36, v2
	s_waitcnt vmcnt(0)
	v_add_u32_e32 v8, s36, v0
	scratch_load_dword v0, off, off offset:216 ; 4-byte Folded Reload
	s_waitcnt vmcnt(0)
	v_add_u32_e32 v9, s36, v0
	s_branch .LBB307_22
.LBB307_21:                             ;   in Loop: Header=BB307_22 Depth=3
	s_or_b64 exec, exec, s[8:9]
	s_and_b64 s[8:9], exec, s[12:13]
	s_or_b64 s[10:11], s[8:9], s[10:11]
	s_andn2_b64 exec, exec, s[10:11]
	s_cbranch_execz .LBB307_24
.LBB307_22:                             ;   Parent Loop BB307_12 Depth=1
                                        ;     Parent Loop BB307_17 Depth=2
                                        ; =>    This Inner Loop Header: Depth=3
	v_add_u32_e32 v2, s38, v126
	v_add_u32_e32 v0, s38, v10
	v_cmp_gt_u32_e32 vcc, s26, v0
	v_cmp_gt_u32_e64 s[8:9], s44, v2
	s_and_b64 s[40:41], s[8:9], vcc
	s_or_b64 s[12:13], s[12:13], exec
	s_and_saveexec_b64 s[8:9], s[40:41]
	s_cbranch_execz .LBB307_21
; %bb.23:                               ;   in Loop: Header=BB307_22 Depth=3
	v_lshl_add_u64 v[2:3], v[0:1], 1, s[20:21]
	global_load_dwordx4 v[12:15], v[2:3], off
	v_add_u32_e32 v0, s38, v9
	v_lshl_add_u64 v[2:3], v[0:1], 1, s[20:21]
	v_add_u32_e32 v0, s57, v11
	s_waitcnt vmcnt(0)
	ds_write_b128 v11, v[12:15]
	global_load_dwordx4 v[12:15], v[2:3], off
	s_waitcnt vmcnt(0)
	ds_write2_b64 v0, v[12:13], v[14:15] offset1:1
	v_add_u32_e32 v0, s38, v6
	v_lshl_add_u64 v[2:3], v[0:1], 1, s[20:21]
	global_load_dwordx4 v[12:15], v[2:3], off
	v_add_u32_e32 v0, s56, v11
	s_waitcnt vmcnt(0)
	ds_write2_b32 v0, v12, v13 offset1:1
	ds_write2_b32 v0, v14, v15 offset0:2 offset1:3
	v_add_u32_e32 v0, s38, v7
	v_lshl_add_u64 v[2:3], v[0:1], 1, s[20:21]
	global_load_dwordx4 v[12:15], v[2:3], off
	v_add_u32_e32 v0, s55, v11
	s_waitcnt vmcnt(0)
	ds_write2_b64 v0, v[12:13], v[14:15] offset1:1
	v_add_u32_e32 v0, s38, v8
	v_lshl_add_u64 v[2:3], v[0:1], 1, s[20:21]
	global_load_dwordx4 v[12:15], v[2:3], off
	s_add_i32 s38, s38, s45
	s_cmp_ge_u32 s38, s44
	s_cselect_b64 s[40:41], -1, 0
	s_andn2_b64 s[12:13], s[12:13], exec
	s_and_b64 s[40:41], s[40:41], exec
	v_add_u32_e32 v0, s53, v11
	v_add_u32_e32 v11, s54, v11
	s_or_b64 s[12:13], s[12:13], s[40:41]
	s_waitcnt vmcnt(0)
	ds_write2_b64 v0, v[12:13], v[14:15] offset1:1
	s_branch .LBB307_21
.LBB307_24:                             ;   in Loop: Header=BB307_17 Depth=2
	s_or_b64 exec, exec, s[10:11]
.LBB307_25:                             ;   in Loop: Header=BB307_17 Depth=2
	s_waitcnt lgkmcnt(0)
	s_barrier
	s_and_saveexec_b64 s[8:9], s[6:7]
	s_cbranch_execz .LBB307_16
.LBB307_26:                             ;   in Loop: Header=BB307_17 Depth=2
	scratch_store_dwordx4 off, v[34:37], off offset:144 ; 16-byte Folded Spill
	scratch_store_dwordx4 off, v[30:33], off offset:128 ; 16-byte Folded Spill
	;; [unrolled: 1-line block ×8, first 2 shown]
	scratch_load_dword v0, off, off offset:192 ; 4-byte Folded Reload
	scratch_load_dwordx2 v[10:11], off, off offset:168 ; 8-byte Folded Reload
	scratch_load_dwordx2 v[8:9], off, off offset:160 ; 8-byte Folded Reload
	v_mov_b64_e32 v[84:85], v[40:41]
	v_mov_b64_e32 v[82:83], v[38:39]
	;; [unrolled: 1-line block ×4, first 2 shown]
	v_mov_b32_e32 v104, 0
	v_mov_b32_e32 v105, 0
	;; [unrolled: 1-line block ×30, first 2 shown]
	s_waitcnt vmcnt(2)
	v_add_u32_e32 v127, s37, v0
	v_min_u32_e32 v0, s46, v127
	v_lshl_add_u64 v[2:3], v[0:1], 1, s[18:19]
	s_waitcnt vmcnt(0)
	v_lshl_add_u64 v[4:5], v[2:3], 0, v[8:9]
	v_lshl_add_u64 v[6:7], v[2:3], 0, v[10:11]
	global_load_dwordx4 v[110:113], v[4:5], off nt
	global_load_dwordx4 v[106:109], v[6:7], off nt
	scratch_load_dwordx2 v[12:13], off, off offset:176 ; 8-byte Folded Reload
	scratch_load_dwordx2 v[14:15], off, off offset:184 ; 8-byte Folded Reload
	v_add_u32_e32 v42, 0x200, v127
	v_min_u32_e32 v0, s46, v42
	v_cmp_gt_u32_e32 vcc, s24, v127
	s_waitcnt vmcnt(1)
	v_lshl_add_u64 v[4:5], v[2:3], 0, v[12:13]
	s_waitcnt vmcnt(0)
	v_lshl_add_u64 v[2:3], v[2:3], 0, v[14:15]
	global_load_dwordx4 v[118:121], v[4:5], off nt
	global_load_dwordx4 v[114:117], v[2:3], off nt
	v_lshl_add_u64 v[2:3], v[0:1], 1, s[18:19]
	v_lshl_add_u64 v[4:5], v[2:3], 0, v[8:9]
	;; [unrolled: 1-line block ×3, first 2 shown]
	global_load_dwordx4 v[90:93], v[4:5], off nt
	global_load_dwordx4 v[86:89], v[6:7], off nt
	v_lshl_add_u64 v[4:5], v[2:3], 0, v[12:13]
	v_lshl_add_u64 v[2:3], v[2:3], 0, v[14:15]
	global_load_dwordx4 v[98:101], v[4:5], off nt
	global_load_dwordx4 v[94:97], v[2:3], off nt
	v_mov_b32_e32 v8, 0
	v_mov_b32_e32 v9, 0
	;; [unrolled: 1-line block ×10, first 2 shown]
	s_and_saveexec_b64 s[10:11], vcc
	s_cbranch_execz .LBB307_15
; %bb.27:                               ;   in Loop: Header=BB307_17 Depth=2
	v_subrev_u32_e32 v0, s36, v127
	v_lshlrev_b32_e32 v127, 1, v0
	v_add_u32_e32 v45, s57, v127
	v_add_u32_e32 v44, s57, v45
	;; [unrolled: 1-line block ×4, first 2 shown]
	ds_read_b128 v[34:37], v127
	ds_read_b128 v[30:33], v45
	;; [unrolled: 1-line block ×5, first 2 shown]
	v_cmp_gt_u32_e32 vcc, s24, v42
	v_mov_b32_e32 v15, 0
	v_mov_b32_e32 v14, 0
	;; [unrolled: 1-line block ×20, first 2 shown]
	s_and_saveexec_b64 s[12:13], vcc
	s_cbranch_execz .LBB307_14
; %bb.28:                               ;   in Loop: Header=BB307_17 Depth=2
	ds_read_b128 v[14:17], v127 offset:1024
	ds_read_b128 v[10:13], v45 offset:1024
	;; [unrolled: 1-line block ×4, first 2 shown]
	ds_read2_b64 v[102:105], v0 offset0:128 offset1:129
	s_branch .LBB307_14
.LBB307_29:                             ;   in Loop: Header=BB307_12 Depth=1
	scratch_load_dwordx2 v[2:3], off, off offset:220 ; 8-byte Folded Reload
	s_waitcnt vmcnt(0)
	v_cmp_le_u32_e32 vcc, s27, v2
	s_and_saveexec_b64 s[6:7], vcc
	s_xor_b64 s[6:7], exec, s[6:7]
	s_cbranch_execz .LBB307_31
; %bb.30:                               ;   in Loop: Header=BB307_12 Depth=1
	scratch_load_dwordx2 v[2:3], off, off offset:220 ; 8-byte Folded Reload
                                        ; implicit-def: $vgpr53
                                        ; implicit-def: $vgpr49
                                        ; implicit-def: $vgpr57
                                        ; implicit-def: $vgpr41
	s_waitcnt vmcnt(0)
	v_add_u32_e32 v2, s48, v2
	scratch_store_dwordx2 off, v[2:3], off offset:220 ; 8-byte Folded Spill
                                        ; implicit-def: $vgpr45
                                        ; implicit-def: $vgpr101
                                        ; implicit-def: $vgpr89
                                        ; implicit-def: $vgpr93
                                        ; implicit-def: $vgpr117
                                        ; implicit-def: $vgpr29
                                        ; implicit-def: $vgpr33
                                        ; implicit-def: $vgpr37
                                        ; implicit-def: $vgpr3
	scratch_store_dwordx4 off, v[0:3], off offset:16 ; 16-byte Folded Spill
                                        ; implicit-def: $vgpr81
                                        ; implicit-def: $vgpr77
                                        ; implicit-def: $vgpr73
                                        ; implicit-def: $vgpr69
                                        ; implicit-def: $vgpr65
                                        ; implicit-def: $vgpr61
                                        ; implicit-def: $vgpr3
	scratch_store_dwordx4 off, v[0:3], off  ; 16-byte Folded Spill
.LBB307_31:                             ;   in Loop: Header=BB307_12 Depth=1
	s_andn2_saveexec_b64 s[36:37], s[6:7]
	s_cbranch_execz .LBB307_11
; %bb.32:                               ;   in Loop: Header=BB307_12 Depth=1
	scratch_load_dwordx4 v[6:9], off, off offset:16 ; 16-byte Folded Reload
	scratch_load_dwordx4 v[10:13], off, off ; 16-byte Folded Reload
	v_cvt_i32_f32_e32 v4, v79
	v_cvt_i32_f32_e32 v5, v80
	v_mov_b64_e32 v[18:19], v[34:35]
	v_mov_b64_e32 v[20:21], v[36:37]
	v_cvt_f32_i32_dpp v4, v4 row_shl:1 row_mask:0xf bank_mask:0xf bound_ctrl:1
	v_cvt_f32_i32_dpp v5, v5 row_shl:2 row_mask:0xf bank_mask:0xf bound_ctrl:1
	v_mov_b64_e32 v[14:15], v[30:31]
	v_mov_b64_e32 v[16:17], v[32:33]
	v_add_f32_e32 v4, v78, v4
	v_add_f32_e32 v4, v4, v5
	v_cvt_i32_f32_e32 v5, v76
	s_waitcnt vmcnt(1)
	v_cvt_i32_f32_e32 v0, v7
	v_cvt_i32_f32_e32 v2, v8
	;; [unrolled: 1-line block ×4, first 2 shown]
	v_cvt_f32_i32_dpp v0, v0 row_shl:1 row_mask:0xf bank_mask:0xf bound_ctrl:1
	v_cvt_f32_i32_dpp v2, v2 row_shl:2 row_mask:0xf bank_mask:0xf bound_ctrl:1
	;; [unrolled: 1-line block ×4, first 2 shown]
	v_add_f32_e32 v0, v6, v0
	v_add_f32_e32 v0, v0, v2
	;; [unrolled: 1-line block ×3, first 2 shown]
	v_cvt_i32_f32_e32 v2, v0
	v_cvt_i32_f32_e32 v3, v81
	;; [unrolled: 1-line block ×4, first 2 shown]
	v_cvt_f32_i32_dpp v2, v2 row_shl:4 row_mask:0xf bank_mask:0xf bound_ctrl:1
	v_cvt_f32_i32_dpp v3, v3 row_shl:3 row_mask:0xf bank_mask:0xf bound_ctrl:1
	s_waitcnt vmcnt(0)
	v_cvt_i32_f32_e32 v9, v13
	v_add_f32_e32 v0, v0, v2
	v_cvt_i32_f32_e32 v2, v0
	v_add_f32_e32 v3, v4, v3
	v_cvt_i32_f32_e32 v4, v3
	v_cvt_f32_i32_dpp v2, v2 row_shl:8 row_mask:0xf bank_mask:0xf bound_ctrl:1
	s_nop 0
	v_cvt_f32_i32_dpp v4, v4 row_shl:4 row_mask:0xf bank_mask:0xf bound_ctrl:1
	v_add_f32_e32 v0, v0, v2
	v_cvt_f32_i32_dpp v2, v6 row_shl:1 row_mask:0xf bank_mask:0xf bound_ctrl:1
	v_add_f32_e32 v3, v3, v4
	v_cvt_f32_i32_dpp v4, v7 row_shl:3 row_mask:0xf bank_mask:0xf bound_ctrl:1
	v_cvt_i32_f32_e32 v0, v0
	v_add_f32_e32 v2, v74, v2
	v_add_f32_e32 v2, v2, v5
	v_add_f32_e32 v2, v2, v4
	v_cvt_i32_f32_e32 v6, v3
	v_cvt_i32_f32_e32 v4, v2
	v_cvt_f32_i32_dpp v0, v0 row_shr:15 row_mask:0xf bank_mask:0xf bound_ctrl:1
	v_cvt_i32_f32_e32 v7, v68
	v_cvt_f32_i32_dpp v6, v6 row_shl:8 row_mask:0xf bank_mask:0xf bound_ctrl:1
	v_cvt_f32_i32_dpp v4, v4 row_shl:4 row_mask:0xf bank_mask:0xf bound_ctrl:1
	v_cvt_i32_f32_e32 v5, v0
	v_add_f32_e32 v3, v3, v6
	v_add_f32_e32 v2, v2, v4
	v_cvt_f32_i32_dpp v5, v5 row_bcast:15 row_mask:0xf bank_mask:0xf bound_ctrl:1
	v_cvt_i32_f32_e32 v3, v3
	v_cvt_i32_f32_e32 v4, v2
	;; [unrolled: 1-line block ×3, first 2 shown]
	v_add_f32_e32 v74, v0, v5
	v_cvt_f32_i32_dpp v0, v3 row_shr:15 row_mask:0xf bank_mask:0xf bound_ctrl:1
	v_cvt_f32_i32_dpp v3, v4 row_shl:8 row_mask:0xf bank_mask:0xf bound_ctrl:1
	v_cvt_i32_f32_e32 v4, v71
	v_cvt_i32_f32_e32 v5, v72
	v_add_f32_e32 v2, v2, v3
	v_cvt_f32_i32_dpp v3, v4 row_shl:1 row_mask:0xf bank_mask:0xf bound_ctrl:1
	v_cvt_f32_i32_dpp v4, v5 row_shl:2 row_mask:0xf bank_mask:0xf bound_ctrl:1
	;; [unrolled: 1-line block ×3, first 2 shown]
	v_cvt_i32_f32_e32 v2, v2
	v_add_f32_e32 v3, v70, v3
	v_add_f32_e32 v3, v3, v4
	;; [unrolled: 1-line block ×3, first 2 shown]
	v_cvt_i32_f32_e32 v4, v3
	v_cvt_i32_f32_e32 v5, v74
	;; [unrolled: 1-line block ×3, first 2 shown]
	v_cvt_f32_i32_dpp v2, v2 row_shr:15 row_mask:0xf bank_mask:0xf bound_ctrl:1
	v_cvt_f32_i32_dpp v4, v4 row_shl:4 row_mask:0xf bank_mask:0xf bound_ctrl:1
	v_mov_b32_dpp v71, v5 row_bcast:31 row_mask:0xf bank_mask:0xf bound_ctrl:1
	v_cvt_f32_i32_dpp v5, v6 row_bcast:15 row_mask:0xf bank_mask:0xf bound_ctrl:1
	v_cvt_i32_f32_e32 v6, v2
	v_add_f32_e32 v3, v3, v4
	v_cvt_i32_f32_e32 v4, v3
	v_add_f32_e32 v70, v0, v5
	v_cvt_f32_i32_dpp v5, v6 row_bcast:15 row_mask:0xf bank_mask:0xf bound_ctrl:1
	v_cvt_i32_f32_e32 v6, v67
	v_cvt_f32_i32_dpp v4, v4 row_shl:8 row_mask:0xf bank_mask:0xf bound_ctrl:1
	v_cvt_i32_f32_e32 v0, v70
	v_add_f32_e32 v3, v3, v4
	v_cvt_f32_i32_dpp v4, v6 row_shl:1 row_mask:0xf bank_mask:0xf bound_ctrl:1
	v_cvt_f32_i32_dpp v6, v7 row_shl:2 row_mask:0xf bank_mask:0xf bound_ctrl:1
	;; [unrolled: 1-line block ×3, first 2 shown]
	v_cvt_i32_f32_e32 v3, v3
	v_add_f32_e32 v4, v66, v4
	v_add_f32_e32 v4, v4, v6
	;; [unrolled: 1-line block ×3, first 2 shown]
	v_cvt_i32_f32_e32 v6, v4
	v_mov_b32_dpp v67, v0 row_bcast:31 row_mask:0xf bank_mask:0xf bound_ctrl:1
	v_cvt_f32_i32_dpp v0, v3 row_shr:15 row_mask:0xf bank_mask:0xf bound_ctrl:1
	v_cvt_i32_f32_e32 v3, v63
	v_add_f32_e32 v66, v2, v5
	v_cvt_f32_i32_dpp v2, v6 row_shl:4 row_mask:0xf bank_mask:0xf bound_ctrl:1
	v_cvt_i32_f32_e32 v5, v64
	v_cvt_i32_f32_e32 v6, v65
	v_cvt_f32_i32_dpp v3, v3 row_shl:1 row_mask:0xf bank_mask:0xf bound_ctrl:1
	v_add_f32_e32 v2, v4, v2
	v_cvt_f32_i32_dpp v4, v5 row_shl:2 row_mask:0xf bank_mask:0xf bound_ctrl:1
	v_cvt_f32_i32_dpp v5, v6 row_shl:3 row_mask:0xf bank_mask:0xf bound_ctrl:1
	v_add_f32_e32 v3, v62, v3
	v_cvt_i32_f32_e32 v6, v2
	v_add_f32_e32 v3, v3, v4
	v_add_f32_e32 v3, v3, v5
	v_cvt_i32_f32_e32 v4, v3
	v_cvt_f32_i32_dpp v6, v6 row_shl:8 row_mask:0xf bank_mask:0xf bound_ctrl:1
	v_cvt_i32_f32_e32 v5, v0
	v_cvt_i32_f32_e32 v7, v66
	v_cvt_f32_i32_dpp v4, v4 row_shl:4 row_mask:0xf bank_mask:0xf bound_ctrl:1
	v_add_f32_e32 v2, v2, v6
	v_cvt_f32_i32_dpp v5, v5 row_bcast:15 row_mask:0xf bank_mask:0xf bound_ctrl:1
	v_cvt_i32_f32_e32 v2, v2
	v_add_f32_e32 v3, v3, v4
	v_cvt_i32_f32_e32 v4, v3
	v_mov_b32_dpp v62, v7 row_bcast:31 row_mask:0xf bank_mask:0xf bound_ctrl:1
	v_add_f32_e32 v7, v0, v5
	v_cvt_f32_i32_dpp v0, v2 row_shr:15 row_mask:0xf bank_mask:0xf bound_ctrl:1
	v_cvt_f32_i32_dpp v2, v4 row_shl:8 row_mask:0xf bank_mask:0xf bound_ctrl:1
	v_cvt_i32_f32_e32 v4, v59
	v_cvt_i32_f32_e32 v5, v60
	;; [unrolled: 1-line block ×3, first 2 shown]
	v_add_f32_e32 v2, v3, v2
	v_cvt_f32_i32_dpp v3, v4 row_shl:1 row_mask:0xf bank_mask:0xf bound_ctrl:1
	v_cvt_f32_i32_dpp v4, v5 row_shl:2 row_mask:0xf bank_mask:0xf bound_ctrl:1
	v_cvt_f32_i32_dpp v5, v6 row_shl:3 row_mask:0xf bank_mask:0xf bound_ctrl:1
	v_cvt_i32_f32_e32 v2, v2
	v_add_f32_e32 v3, v58, v3
	v_add_f32_e32 v3, v3, v4
	;; [unrolled: 1-line block ×3, first 2 shown]
	v_cvt_i32_f32_e32 v4, v3
	v_cvt_i32_f32_e32 v5, v7
	;; [unrolled: 1-line block ×3, first 2 shown]
	v_cvt_f32_i32_dpp v2, v2 row_shr:15 row_mask:0xf bank_mask:0xf bound_ctrl:1
	v_cvt_f32_i32_dpp v4, v4 row_shl:4 row_mask:0xf bank_mask:0xf bound_ctrl:1
	v_mov_b32_dpp v59, v5 row_bcast:31 row_mask:0xf bank_mask:0xf bound_ctrl:1
	v_cvt_f32_i32_dpp v5, v6 row_bcast:15 row_mask:0xf bank_mask:0xf bound_ctrl:1
	v_cvt_i32_f32_e32 v6, v2
	v_add_f32_e32 v3, v3, v4
	v_cvt_i32_f32_e32 v4, v3
	v_add_f32_e32 v58, v0, v5
	v_cvt_f32_i32_dpp v5, v6 row_bcast:15 row_mask:0xf bank_mask:0xf bound_ctrl:1
	v_cvt_i32_f32_e32 v6, v11
	v_cvt_f32_i32_dpp v4, v4 row_shl:8 row_mask:0xf bank_mask:0xf bound_ctrl:1
	v_cvt_i32_f32_e32 v8, v12
	v_cvt_i32_f32_e32 v0, v58
	v_add_f32_e32 v3, v3, v4
	v_cvt_f32_i32_dpp v4, v6 row_shl:1 row_mask:0xf bank_mask:0xf bound_ctrl:1
	v_cvt_f32_i32_dpp v6, v8 row_shl:2 row_mask:0xf bank_mask:0xf bound_ctrl:1
	;; [unrolled: 1-line block ×3, first 2 shown]
	v_cvt_i32_f32_e32 v3, v3
	v_add_f32_e32 v4, v10, v4
	v_add_f32_e32 v4, v4, v6
	;; [unrolled: 1-line block ×3, first 2 shown]
	v_cvt_i32_f32_e32 v6, v4
	v_mov_b64_e32 v[10:11], v[54:55]
	v_mov_b64_e32 v[12:13], v[56:57]
	v_add_f32_e32 v54, v2, v5
	v_cvt_i32_f32_e32 v2, v54
	v_cvt_f32_i32_dpp v5, v6 row_shl:4 row_mask:0xf bank_mask:0xf bound_ctrl:1
	v_cvt_i32_f32_e32 v6, v53
	v_cvt_f32_i32_dpp v3, v3 row_shr:15 row_mask:0xf bank_mask:0xf bound_ctrl:1
	v_mov_b32_dpp v55, v2 row_bcast:31 row_mask:0xf bank_mask:0xf bound_ctrl:1
	v_add_f32_e32 v2, v4, v5
	v_cvt_i32_f32_e32 v4, v51
	v_cvt_i32_f32_e32 v5, v52
	v_cvt_f32_i32_dpp v6, v6 row_shl:3 row_mask:0xf bank_mask:0xf bound_ctrl:1
	v_mov_b32_dpp v56, v0 row_bcast:31 row_mask:0xf bank_mask:0xf bound_ctrl:1
	v_cvt_f32_i32_dpp v4, v4 row_shl:1 row_mask:0xf bank_mask:0xf bound_ctrl:1
	v_cvt_f32_i32_dpp v5, v5 row_shl:2 row_mask:0xf bank_mask:0xf bound_ctrl:1
	v_cvt_i32_f32_e32 v0, v3
	v_cvt_i32_f32_e32 v8, v2
	v_add_f32_e32 v4, v50, v4
	v_add_f32_e32 v4, v4, v5
	;; [unrolled: 1-line block ×3, first 2 shown]
	v_cvt_i32_f32_e32 v5, v4
	v_cvt_f32_i32_dpp v0, v0 row_bcast:15 row_mask:0xf bank_mask:0xf bound_ctrl:1
	v_cvt_i32_f32_e32 v6, v49
	v_cvt_f32_i32_dpp v8, v8 row_shl:8 row_mask:0xf bank_mask:0xf bound_ctrl:1
	v_cvt_f32_i32_dpp v5, v5 row_shl:4 row_mask:0xf bank_mask:0xf bound_ctrl:1
	v_add_f32_e32 v35, v3, v0
	v_cvt_f32_i32_dpp v6, v6 row_shl:3 row_mask:0xf bank_mask:0xf bound_ctrl:1
	v_add_f32_e32 v2, v2, v8
	v_add_f32_e32 v3, v4, v5
	v_cvt_i32_f32_e32 v4, v47
	v_cvt_i32_f32_e32 v5, v48
	;; [unrolled: 1-line block ×4, first 2 shown]
	v_cvt_f32_i32_dpp v4, v4 row_shl:1 row_mask:0xf bank_mask:0xf bound_ctrl:1
	v_cvt_f32_i32_dpp v5, v5 row_shl:2 row_mask:0xf bank_mask:0xf bound_ctrl:1
	v_cvt_f32_i32_dpp v2, v2 row_shr:15 row_mask:0xf bank_mask:0xf bound_ctrl:1
	v_cvt_i32_f32_e32 v0, v35
	v_add_f32_e32 v4, v46, v4
	v_add_f32_e32 v4, v4, v5
	;; [unrolled: 1-line block ×3, first 2 shown]
	v_cvt_i32_f32_e32 v5, v4
	v_cvt_i32_f32_e32 v6, v2
	v_cvt_f32_i32_dpp v8, v8 row_shl:8 row_mask:0xf bank_mask:0xf bound_ctrl:1
	v_mov_b32_dpp v46, v0 row_bcast:31 row_mask:0xf bank_mask:0xf bound_ctrl:1
	v_cvt_f32_i32_dpp v5, v5 row_shl:4 row_mask:0xf bank_mask:0xf bound_ctrl:1
	v_cvt_f32_i32_dpp v0, v6 row_bcast:15 row_mask:0xf bank_mask:0xf bound_ctrl:1
	v_cvt_i32_f32_e32 v6, v11
	v_add_f32_e32 v3, v3, v8
	v_add_f32_e32 v4, v4, v5
	v_cvt_i32_f32_e32 v5, v4
	v_cvt_i32_f32_e32 v8, v12
	;; [unrolled: 1-line block ×3, first 2 shown]
	v_add_f32_e32 v32, v2, v0
	v_cvt_f32_i32_dpp v5, v5 row_shl:8 row_mask:0xf bank_mask:0xf bound_ctrl:1
	v_cvt_i32_f32_e32 v0, v32
	v_cvt_i32_f32_e32 v3, v3
	v_add_f32_e32 v4, v4, v5
	v_cvt_f32_i32_dpp v5, v6 row_shl:1 row_mask:0xf bank_mask:0xf bound_ctrl:1
	v_cvt_f32_i32_dpp v6, v8 row_shl:2 row_mask:0xf bank_mask:0xf bound_ctrl:1
	;; [unrolled: 1-line block ×3, first 2 shown]
	v_cvt_i32_f32_e32 v4, v4
	v_add_f32_e32 v5, v10, v5
	v_add_f32_e32 v5, v5, v6
	;; [unrolled: 1-line block ×3, first 2 shown]
	v_cvt_i32_f32_e32 v6, v5
	v_mov_b32_dpp v37, v0 row_bcast:31 row_mask:0xf bank_mask:0xf bound_ctrl:1
	v_cvt_f32_i32_dpp v0, v4 row_shr:15 row_mask:0xf bank_mask:0xf bound_ctrl:1
	v_cvt_f32_i32_dpp v3, v3 row_shr:15 row_mask:0xf bank_mask:0xf bound_ctrl:1
	v_cvt_f32_i32_dpp v4, v6 row_shl:4 row_mask:0xf bank_mask:0xf bound_ctrl:1
	v_cvt_i32_f32_e32 v6, v40
	v_cvt_i32_f32_e32 v8, v41
	;; [unrolled: 1-line block ×3, first 2 shown]
	v_add_f32_e32 v4, v5, v4
	v_cvt_i32_f32_e32 v5, v39
	v_cvt_i32_f32_e32 v9, v4
	v_cvt_f32_i32_dpp v2, v2 row_bcast:15 row_mask:0xf bank_mask:0xf bound_ctrl:1
	v_cvt_f32_i32_dpp v6, v6 row_shl:2 row_mask:0xf bank_mask:0xf bound_ctrl:1
	v_cvt_f32_i32_dpp v5, v5 row_shl:1 row_mask:0xf bank_mask:0xf bound_ctrl:1
	;; [unrolled: 1-line block ×3, first 2 shown]
	v_add_f32_e32 v31, v3, v2
	v_cvt_i32_f32_e32 v3, v0
	v_add_f32_e32 v5, v38, v5
	v_cvt_f32_i32_dpp v9, v9 row_shl:8 row_mask:0xf bank_mask:0xf bound_ctrl:1
	v_add_f32_e32 v5, v5, v6
	v_add_f32_e32 v5, v5, v8
	v_cvt_i32_f32_e32 v6, v5
	v_cvt_f32_i32_dpp v3, v3 row_bcast:15 row_mask:0xf bank_mask:0xf bound_ctrl:1
	v_add_f32_e32 v4, v4, v9
	v_cvt_i32_f32_e32 v4, v4
	v_cvt_i32_f32_e32 v2, v31
	v_cvt_f32_i32_dpp v6, v6 row_shl:4 row_mask:0xf bank_mask:0xf bound_ctrl:1
	v_mov_b64_e32 v[10:11], v[26:27]
	v_mov_b64_e32 v[12:13], v[28:29]
	v_add_f32_e32 v29, v0, v3
	v_cvt_i32_f32_e32 v3, v19
	v_cvt_f32_i32_dpp v0, v4 row_shr:15 row_mask:0xf bank_mask:0xf bound_ctrl:1
	v_cvt_i32_f32_e32 v4, v20
	v_mov_b32_dpp v34, v2 row_bcast:31 row_mask:0xf bank_mask:0xf bound_ctrl:1
	v_add_f32_e32 v2, v5, v6
	v_cvt_i32_f32_e32 v5, v21
	v_cvt_f32_i32_dpp v3, v3 row_shl:1 row_mask:0xf bank_mask:0xf bound_ctrl:1
	v_cvt_f32_i32_dpp v4, v4 row_shl:2 row_mask:0xf bank_mask:0xf bound_ctrl:1
	v_cvt_i32_f32_e32 v6, v2
	v_cvt_f32_i32_dpp v5, v5 row_shl:3 row_mask:0xf bank_mask:0xf bound_ctrl:1
	v_add_f32_e32 v3, v18, v3
	v_add_f32_e32 v3, v3, v4
	v_cvt_f32_i32_dpp v6, v6 row_shl:8 row_mask:0xf bank_mask:0xf bound_ctrl:1
	v_add_f32_e32 v3, v3, v5
	v_cvt_i32_f32_e32 v4, v3
	v_cvt_i32_f32_e32 v5, v0
	v_add_f32_e32 v2, v2, v6
	v_cvt_i32_f32_e32 v2, v2
	v_cvt_f32_i32_dpp v4, v4 row_shl:4 row_mask:0xf bank_mask:0xf bound_ctrl:1
	v_cvt_f32_i32_dpp v5, v5 row_bcast:15 row_mask:0xf bank_mask:0xf bound_ctrl:1
	v_cvt_i32_f32_e32 v6, v29
	v_cvt_f32_i32_dpp v2, v2 row_shr:15 row_mask:0xf bank_mask:0xf bound_ctrl:1
	v_add_f32_e32 v3, v3, v4
	v_cvt_i32_f32_e32 v4, v3
	v_add_f32_e32 v26, v0, v5
	v_cvt_i32_f32_e32 v0, v26
	v_cvt_i32_f32_e32 v5, v2
	v_cvt_f32_i32_dpp v4, v4 row_shl:8 row_mask:0xf bank_mask:0xf bound_ctrl:1
	v_mov_b32_dpp v33, v6 row_bcast:31 row_mask:0xf bank_mask:0xf bound_ctrl:1
	v_mov_b32_dpp v27, v0 row_bcast:31 row_mask:0xf bank_mask:0xf bound_ctrl:1
	v_cvt_f32_i32_dpp v0, v5 row_bcast:15 row_mask:0xf bank_mask:0xf bound_ctrl:1
	v_add_f32_e32 v3, v3, v4
	v_cvt_i32_f32_e32 v4, v15
	v_cvt_i32_f32_e32 v5, v16
	;; [unrolled: 1-line block ×4, first 2 shown]
	v_cvt_f32_i32_dpp v4, v4 row_shl:1 row_mask:0xf bank_mask:0xf bound_ctrl:1
	v_cvt_f32_i32_dpp v5, v5 row_shl:2 row_mask:0xf bank_mask:0xf bound_ctrl:1
	;; [unrolled: 1-line block ×3, first 2 shown]
	v_cvt_i32_f32_e32 v8, v12
	v_add_f32_e32 v4, v14, v4
	v_add_f32_e32 v4, v4, v5
	;; [unrolled: 1-line block ×3, first 2 shown]
	v_cvt_i32_f32_e32 v5, v4
	v_cvt_i32_f32_e32 v6, v11
	;; [unrolled: 1-line block ×3, first 2 shown]
	v_cvt_f32_i32_dpp v3, v3 row_shr:15 row_mask:0xf bank_mask:0xf bound_ctrl:1
	v_cvt_f32_i32_dpp v5, v5 row_shl:4 row_mask:0xf bank_mask:0xf bound_ctrl:1
	v_add_f32_e32 v24, v2, v0
	v_cvt_i32_f32_e32 v0, v24
	v_cvt_i32_f32_e32 v2, v3
	v_add_f32_e32 v4, v4, v5
	v_cvt_f32_i32_dpp v5, v6 row_shl:1 row_mask:0xf bank_mask:0xf bound_ctrl:1
	v_cvt_f32_i32_dpp v6, v8 row_shl:2 row_mask:0xf bank_mask:0xf bound_ctrl:1
	;; [unrolled: 1-line block ×3, first 2 shown]
	v_cvt_i32_f32_e32 v9, v4
	v_add_f32_e32 v5, v10, v5
	v_add_f32_e32 v5, v5, v6
	;; [unrolled: 1-line block ×3, first 2 shown]
	v_cvt_i32_f32_e32 v6, v5
	v_cvt_f32_i32_dpp v2, v2 row_bcast:15 row_mask:0xf bank_mask:0xf bound_ctrl:1
	v_cvt_f32_i32_dpp v8, v9 row_shl:8 row_mask:0xf bank_mask:0xf bound_ctrl:1
	v_mov_b32_dpp v28, v0 row_bcast:31 row_mask:0xf bank_mask:0xf bound_ctrl:1
	v_cvt_f32_i32_dpp v0, v6 row_shl:4 row_mask:0xf bank_mask:0xf bound_ctrl:1
	v_add_f32_e32 v21, v3, v2
	v_cvt_i32_f32_e32 v3, v115
	v_add_f32_e32 v2, v4, v8
	v_cvt_i32_f32_e32 v4, v116
	;; [unrolled: 2-line block ×3, first 2 shown]
	v_cvt_f32_i32_dpp v3, v3 row_shl:1 row_mask:0xf bank_mask:0xf bound_ctrl:1
	v_cvt_f32_i32_dpp v4, v4 row_shl:2 row_mask:0xf bank_mask:0xf bound_ctrl:1
	v_cvt_i32_f32_e32 v2, v2
	v_cvt_f32_i32_dpp v5, v5 row_shl:3 row_mask:0xf bank_mask:0xf bound_ctrl:1
	v_add_f32_e32 v3, v114, v3
	v_add_f32_e32 v3, v3, v4
	v_cvt_i32_f32_e32 v6, v0
	v_add_f32_e32 v3, v3, v5
	v_cvt_i32_f32_e32 v4, v3
	v_cvt_f32_i32_dpp v2, v2 row_shr:15 row_mask:0xf bank_mask:0xf bound_ctrl:1
	v_cvt_f32_i32_dpp v6, v6 row_shl:8 row_mask:0xf bank_mask:0xf bound_ctrl:1
	v_cvt_i32_f32_e32 v8, v93
	v_cvt_f32_i32_dpp v4, v4 row_shl:4 row_mask:0xf bank_mask:0xf bound_ctrl:1
	v_cvt_i32_f32_e32 v5, v21
	v_add_f32_e32 v0, v0, v6
	v_cvt_i32_f32_e32 v6, v2
	v_add_f32_e32 v3, v3, v4
	v_cvt_i32_f32_e32 v4, v3
	v_cvt_i32_f32_e32 v0, v0
	v_cvt_f32_i32_dpp v6, v6 row_bcast:15 row_mask:0xf bank_mask:0xf bound_ctrl:1
	v_cvt_f32_i32_dpp v8, v8 row_shl:3 row_mask:0xf bank_mask:0xf bound_ctrl:1
	v_cvt_f32_i32_dpp v4, v4 row_shl:8 row_mask:0xf bank_mask:0xf bound_ctrl:1
	v_cvt_f32_i32_dpp v0, v0 row_shr:15 row_mask:0xf bank_mask:0xf bound_ctrl:1
	v_add_f32_e32 v19, v2, v6
	v_cvt_i32_f32_e32 v6, v92
	v_add_f32_e32 v3, v3, v4
	v_cvt_i32_f32_e32 v4, v91
	v_cvt_i32_f32_e32 v3, v3
	v_cvt_f32_i32_dpp v6, v6 row_shl:2 row_mask:0xf bank_mask:0xf bound_ctrl:1
	v_mov_b32_dpp v25, v5 row_bcast:31 row_mask:0xf bank_mask:0xf bound_ctrl:1
	v_cvt_f32_i32_dpp v4, v4 row_shl:1 row_mask:0xf bank_mask:0xf bound_ctrl:1
	v_cvt_f32_i32_dpp v3, v3 row_shr:15 row_mask:0xf bank_mask:0xf bound_ctrl:1
	v_cvt_i32_f32_e32 v5, v0
	v_cvt_i32_f32_e32 v2, v19
	v_add_f32_e32 v4, v90, v4
	v_add_f32_e32 v4, v4, v6
	v_cvt_i32_f32_e32 v9, v3
	v_add_f32_e32 v4, v4, v8
	v_cvt_f32_i32_dpp v5, v5 row_bcast:15 row_mask:0xf bank_mask:0xf bound_ctrl:1
	v_cvt_i32_f32_e32 v6, v4
	v_mov_b32_dpp v23, v2 row_bcast:31 row_mask:0xf bank_mask:0xf bound_ctrl:1
	v_cvt_f32_i32_dpp v2, v9 row_bcast:15 row_mask:0xf bank_mask:0xf bound_ctrl:1
	v_add_f32_e32 v16, v0, v5
	v_cvt_f32_i32_dpp v0, v6 row_shl:4 row_mask:0xf bank_mask:0xf bound_ctrl:1
	v_cvt_i32_f32_e32 v6, v89
	v_add_f32_e32 v12, v3, v2
	v_cvt_i32_f32_e32 v3, v87
	v_add_f32_e32 v0, v4, v0
	v_cvt_i32_f32_e32 v4, v88
	v_cvt_f32_i32_dpp v6, v6 row_shl:3 row_mask:0xf bank_mask:0xf bound_ctrl:1
	v_cvt_f32_i32_dpp v3, v3 row_shl:1 row_mask:0xf bank_mask:0xf bound_ctrl:1
	v_cvt_i32_f32_e32 v2, v12
	v_cvt_f32_i32_dpp v4, v4 row_shl:2 row_mask:0xf bank_mask:0xf bound_ctrl:1
	v_cvt_i32_f32_e32 v5, v16
	v_add_f32_e32 v3, v86, v3
	v_mov_b32_dpp v15, v2 row_bcast:31 row_mask:0xf bank_mask:0xf bound_ctrl:1
	v_add_f32_e32 v3, v3, v4
	v_add_f32_e32 v3, v3, v6
	v_cvt_i32_f32_e32 v4, v3
	v_mov_b32_dpp v20, v5 row_bcast:31 row_mask:0xf bank_mask:0xf bound_ctrl:1
	v_cvt_i32_f32_e32 v5, v100
	v_cvt_i32_f32_e32 v8, v0
	v_cvt_f32_i32_dpp v2, v4 row_shl:4 row_mask:0xf bank_mask:0xf bound_ctrl:1
	v_cvt_i32_f32_e32 v4, v99
	v_cvt_i32_f32_e32 v9, v45
	v_cvt_f32_i32_dpp v8, v8 row_shl:8 row_mask:0xf bank_mask:0xf bound_ctrl:1
	v_add_f32_e32 v2, v3, v2
	v_cvt_f32_i32_dpp v3, v4 row_shl:1 row_mask:0xf bank_mask:0xf bound_ctrl:1
	v_cvt_f32_i32_dpp v4, v5 row_shl:2 row_mask:0xf bank_mask:0xf bound_ctrl:1
	v_cvt_i32_f32_e32 v5, v101
	v_add_f32_e32 v0, v0, v8
	v_add_f32_e32 v3, v98, v3
	;; [unrolled: 1-line block ×3, first 2 shown]
	v_cvt_f32_i32_dpp v4, v5 row_shl:3 row_mask:0xf bank_mask:0xf bound_ctrl:1
	v_cvt_i32_f32_e32 v5, v43
	v_cvt_i32_f32_e32 v8, v44
	;; [unrolled: 1-line block ×3, first 2 shown]
	v_add_f32_e32 v3, v3, v4
	v_cvt_f32_i32_dpp v4, v5 row_shl:1 row_mask:0xf bank_mask:0xf bound_ctrl:1
	v_cvt_f32_i32_dpp v5, v8 row_shl:2 row_mask:0xf bank_mask:0xf bound_ctrl:1
	;; [unrolled: 1-line block ×3, first 2 shown]
	v_cvt_i32_f32_e32 v9, v3
	v_add_f32_e32 v4, v42, v4
	v_add_f32_e32 v4, v4, v5
	;; [unrolled: 1-line block ×3, first 2 shown]
	v_cvt_i32_f32_e32 v5, v4
	v_cvt_f32_i32_dpp v8, v9 row_shl:4 row_mask:0xf bank_mask:0xf bound_ctrl:1
	v_cvt_f32_i32_dpp v6, v6 row_shl:8 row_mask:0xf bank_mask:0xf bound_ctrl:1
	v_cvt_i32_f32_e32 v0, v0
	v_cvt_f32_i32_dpp v5, v5 row_shl:4 row_mask:0xf bank_mask:0xf bound_ctrl:1
	v_add_f32_e32 v3, v3, v8
	v_add_f32_e32 v2, v2, v6
	v_cvt_i32_f32_e32 v6, v3
	v_add_f32_e32 v4, v4, v5
	v_cvt_i32_f32_e32 v5, v4
	v_cvt_f32_i32_dpp v0, v0 row_shr:15 row_mask:0xf bank_mask:0xf bound_ctrl:1
	v_cvt_f32_i32_dpp v6, v6 row_shl:8 row_mask:0xf bank_mask:0xf bound_ctrl:1
	v_cvt_i32_f32_e32 v2, v2
	v_cvt_f32_i32_dpp v5, v5 row_shl:8 row_mask:0xf bank_mask:0xf bound_ctrl:1
	v_cvt_i32_f32_e32 v8, v0
	v_add_f32_e32 v3, v3, v6
	v_cvt_f32_i32_dpp v2, v2 row_shr:15 row_mask:0xf bank_mask:0xf bound_ctrl:1
	v_add_f32_e32 v4, v4, v5
	v_cvt_i32_f32_e32 v3, v3
	v_cvt_i32_f32_e32 v4, v4
	v_cvt_f32_i32_dpp v5, v8 row_bcast:15 row_mask:0xf bank_mask:0xf bound_ctrl:1
	v_cvt_i32_f32_e32 v6, v2
	v_cvt_f32_i32_dpp v3, v3 row_shr:15 row_mask:0xf bank_mask:0xf bound_ctrl:1
	v_cvt_f32_i32_dpp v4, v4 row_shr:15 row_mask:0xf bank_mask:0xf bound_ctrl:1
	v_add_f32_e32 v17, v0, v5
	v_cvt_f32_i32_dpp v5, v6 row_bcast:15 row_mask:0xf bank_mask:0xf bound_ctrl:1
	v_cvt_i32_f32_e32 v0, v3
	v_cvt_i32_f32_e32 v6, v4
	;; [unrolled: 1-line block ×3, first 2 shown]
	v_add_f32_e32 v13, v2, v5
	v_cvt_f32_i32_dpp v0, v0 row_bcast:15 row_mask:0xf bank_mask:0xf bound_ctrl:1
	v_cvt_f32_i32_dpp v2, v6 row_bcast:15 row_mask:0xf bank_mask:0xf bound_ctrl:1
	v_cvt_i32_f32_e32 v5, v13
	v_mov_b32_dpp v18, v9 row_bcast:31 row_mask:0xf bank_mask:0xf bound_ctrl:1
	v_add_f32_e32 v10, v3, v0
	v_add_f32_e32 v8, v4, v2
	v_cvt_i32_f32_e32 v0, v10
	v_cvt_i32_f32_e32 v2, v8
	v_mov_b32_dpp v14, v5 row_bcast:31 row_mask:0xf bank_mask:0xf bound_ctrl:1
	v_mov_b32_dpp v11, v0 row_bcast:31 row_mask:0xf bank_mask:0xf bound_ctrl:1
	;; [unrolled: 1-line block ×3, first 2 shown]
	s_mov_b64 s[38:39], exec
	scratch_load_dwordx4 v[76:79], off, off offset:228 ; 16-byte Folded Reload
	scratch_load_dwordx2 v[64:65], off, off offset:220 ; 8-byte Folded Reload
	s_and_b64 s[6:7], s[38:39], s[0:1]
	s_mov_b64 exec, s[6:7]
	s_cbranch_execz .LBB307_155
; %bb.33:                               ;   in Loop: Header=BB307_12 Depth=1
	s_andn2_b64 vcc, exec, s[30:31]
	v_mov_b32_e32 v60, 0
	s_waitcnt vmcnt(0)
	v_add_u32_e32 v0, 2, v64
	v_add_u32_e32 v6, 3, v64
	v_mov_b32_e32 v57, 0
	v_mov_b32_e32 v53, 0
	;; [unrolled: 1-line block ×19, first 2 shown]
	s_cbranch_vccnz .LBB307_35
; %bb.34:                               ;   in Loop: Header=BB307_12 Depth=1
	scratch_load_dword v30, off, off offset:244 ; 4-byte Folded Reload
	v_mov_b32_e32 v51, v1
	v_mov_b32_e32 v69, v1
	;; [unrolled: 1-line block ×5, first 2 shown]
	s_waitcnt vmcnt(0)
	v_mul_hi_u32 v2, v64, v30
	v_mul_lo_u32 v2, v2, s16
	v_sub_u32_e32 v2, v64, v2
	v_subrev_u32_e32 v3, s16, v2
	v_cmp_le_u32_e32 vcc, s16, v2
	s_nop 1
	v_cndmask_b32_e32 v2, v2, v3, vcc
	v_subrev_u32_e32 v3, s16, v2
	v_cmp_le_u32_e32 vcc, s16, v2
	s_nop 1
	v_cndmask_b32_e32 v2, v2, v3, vcc
	v_mov_b32_e32 v3, v1
	v_lshl_add_u64 v[4:5], v[2:3], 1, s[22:23]
	v_add_u32_e32 v3, 1, v64
	v_mul_hi_u32 v22, v3, v30
	v_mul_lo_u32 v22, v22, s16
	v_sub_u32_e32 v3, v3, v22
	v_subrev_u32_e32 v22, s16, v3
	v_cmp_le_u32_e32 vcc, s16, v3
	v_add_u32_e32 v48, s49, v2
	v_lshl_add_u64 v[48:49], v[48:49], 1, s[22:23]
	v_cndmask_b32_e32 v3, v3, v22, vcc
	v_subrev_u32_e32 v22, s16, v3
	v_cmp_le_u32_e32 vcc, s16, v3
	s_nop 1
	v_cndmask_b32_e32 v38, v3, v22, vcc
	v_mul_hi_u32 v3, v0, v30
	v_mul_lo_u32 v3, v3, s16
	v_sub_u32_e32 v3, v0, v3
	v_subrev_u32_e32 v22, s16, v3
	v_cmp_le_u32_e32 vcc, s16, v3
	v_add_u32_e32 v50, s49, v38
	v_lshl_add_u64 v[72:73], v[50:51], 1, s[22:23]
	v_cndmask_b32_e32 v3, v3, v22, vcc
	v_subrev_u32_e32 v22, s16, v3
	v_cmp_le_u32_e32 vcc, s16, v3
	v_lshl_add_u64 v[40:41], v[38:39], 1, s[22:23]
	s_nop 0
	v_cndmask_b32_e32 v64, v3, v22, vcc
	v_mul_hi_u32 v3, v6, v30
	v_mul_lo_u32 v3, v3, s16
	v_sub_u32_e32 v3, v6, v3
	v_subrev_u32_e32 v22, s16, v3
	v_cmp_le_u32_e32 vcc, s16, v3
	v_add_u32_e32 v50, s49, v64
	v_lshl_add_u64 v[76:77], v[50:51], 1, s[22:23]
	v_cndmask_b32_e32 v3, v3, v22, vcc
	v_subrev_u32_e32 v22, s16, v3
	v_cmp_le_u32_e32 vcc, s16, v3
	v_lshl_add_u64 v[42:43], v[64:65], 1, s[22:23]
	s_nop 0
	v_cndmask_b32_e32 v68, v3, v22, vcc
	v_lshl_add_u64 v[44:45], v[68:69], 1, s[22:23]
	v_add_u32_e32 v50, s49, v68
	v_lshl_add_u64 v[78:79], v[50:51], 1, s[22:23]
	global_load_ushort v60, v[4:5], off
	global_load_ushort v57, v[40:41], off
	global_load_ushort v53, v[42:43], off
	global_load_ushort v52, v[44:45], off
	global_load_ushort v51, v[48:49], off
	global_load_ushort v50, v[72:73], off
	s_nop 0
	global_load_ushort v49, v[76:77], off
	global_load_ushort v48, v[78:79], off
	v_add_u32_e32 v44, s50, v68
	v_mov_b32_e32 v45, v1
	v_lshl_add_u64 v[72:73], v[44:45], 1, s[22:23]
	v_add_u32_e32 v44, s51, v2
	v_lshl_add_u64 v[76:77], v[44:45], 1, s[22:23]
	v_add_u32_e32 v44, s51, v38
	v_add_u32_e32 v4, s50, v2
	v_mov_b32_e32 v5, v1
	v_add_u32_e32 v40, s50, v38
	v_mov_b32_e32 v41, v1
	;; [unrolled: 2-line block ×3, first 2 shown]
	v_lshl_add_u64 v[78:79], v[44:45], 1, s[22:23]
	v_add_u32_e32 v44, s51, v64
	v_lshl_add_u64 v[4:5], v[4:5], 1, s[22:23]
	v_lshl_add_u64 v[40:41], v[40:41], 1, s[22:23]
	;; [unrolled: 1-line block ×4, first 2 shown]
	v_add_u32_e32 v44, s51, v68
	v_lshl_add_u64 v[82:83], v[44:45], 1, s[22:23]
	global_load_ushort v47, v[4:5], off
	global_load_ushort v45, v[40:41], off
	;; [unrolled: 1-line block ×3, first 2 shown]
	s_nop 0
	global_load_ushort v43, v[72:73], off
	global_load_ushort v42, v[76:77], off
	;; [unrolled: 1-line block ×3, first 2 shown]
	s_nop 0
	scratch_load_dwordx4 v[76:79], off, off offset:228 ; 16-byte Folded Reload
	global_load_ushort v40, v[80:81], off
	global_load_ushort v39, v[82:83], off
	v_add_u32_e32 v2, s52, v2
	v_mov_b32_e32 v3, v1
	v_add_u32_e32 v64, s52, v64
	v_lshl_add_u64 v[2:3], v[2:3], 1, s[22:23]
	v_add_u32_e32 v4, s52, v38
	v_mov_b32_e32 v5, v1
	v_lshl_add_u64 v[64:65], v[64:65], 1, s[22:23]
	v_add_u32_e32 v68, s52, v68
	v_lshl_add_u64 v[4:5], v[4:5], 1, s[22:23]
	v_lshl_add_u64 v[68:69], v[68:69], 1, s[22:23]
	global_load_ushort v38, v[2:3], off
	global_load_ushort v36, v[4:5], off
	;; [unrolled: 1-line block ×3, first 2 shown]
	s_nop 0
	scratch_load_dwordx2 v[64:65], off, off offset:220 ; 8-byte Folded Reload
	global_load_ushort v22, v[68:69], off
.LBB307_35:                             ;   in Loop: Header=BB307_12 Depth=1
	s_waitcnt vmcnt(7)
	v_cmp_ne_u32_e32 vcc, 0, v76
	s_and_saveexec_b64 s[8:9], vcc
	s_cbranch_execnz .LBB307_55
; %bb.36:                               ;   in Loop: Header=BB307_12 Depth=1
	s_or_b64 exec, exec, s[8:9]
	v_cmp_ne_u32_e64 s[6:7], 0, v77
	s_and_saveexec_b64 s[10:11], s[6:7]
	s_cbranch_execnz .LBB307_60
.LBB307_37:                             ;   in Loop: Header=BB307_12 Depth=1
	s_or_b64 exec, exec, s[10:11]
	v_cmp_ne_u32_e64 s[8:9], 0, v78
	s_and_saveexec_b64 s[12:13], s[8:9]
	s_cbranch_execnz .LBB307_65
.LBB307_38:                             ;   in Loop: Header=BB307_12 Depth=1
	s_or_b64 exec, exec, s[12:13]
	v_cmp_ne_u32_e64 s[10:11], 0, v79
	s_and_saveexec_b64 s[40:41], s[10:11]
	s_cbranch_execnz .LBB307_70
.LBB307_39:                             ;   in Loop: Header=BB307_12 Depth=1
	s_or_b64 exec, exec, s[40:41]
	s_waitcnt vmcnt(1)
	v_add_u32_e32 v0, s27, v64
	s_and_saveexec_b64 s[40:41], vcc
	s_cbranch_execnz .LBB307_75
.LBB307_40:                             ;   in Loop: Header=BB307_12 Depth=1
	s_or_b64 exec, exec, s[40:41]
	s_and_saveexec_b64 s[40:41], s[6:7]
	s_cbranch_execnz .LBB307_80
.LBB307_41:                             ;   in Loop: Header=BB307_12 Depth=1
	s_or_b64 exec, exec, s[40:41]
	s_and_saveexec_b64 s[40:41], s[8:9]
	s_cbranch_execnz .LBB307_85
.LBB307_42:                             ;   in Loop: Header=BB307_12 Depth=1
	s_or_b64 exec, exec, s[40:41]
	s_and_saveexec_b64 s[40:41], s[10:11]
	s_cbranch_execnz .LBB307_90
.LBB307_43:                             ;   in Loop: Header=BB307_12 Depth=1
	s_or_b64 exec, exec, s[40:41]
	v_add_u32_e32 v0, s27, v0
	s_and_saveexec_b64 s[40:41], vcc
	s_cbranch_execnz .LBB307_95
.LBB307_44:                             ;   in Loop: Header=BB307_12 Depth=1
	s_or_b64 exec, exec, s[40:41]
	s_and_saveexec_b64 s[40:41], s[6:7]
	s_cbranch_execnz .LBB307_100
.LBB307_45:                             ;   in Loop: Header=BB307_12 Depth=1
	s_or_b64 exec, exec, s[40:41]
	s_and_saveexec_b64 s[40:41], s[8:9]
	s_cbranch_execnz .LBB307_105
.LBB307_46:                             ;   in Loop: Header=BB307_12 Depth=1
	s_or_b64 exec, exec, s[40:41]
	s_and_saveexec_b64 s[40:41], s[10:11]
	s_cbranch_execnz .LBB307_110
.LBB307_47:                             ;   in Loop: Header=BB307_12 Depth=1
	s_or_b64 exec, exec, s[40:41]
	v_add_u32_e32 v0, s27, v0
	s_and_saveexec_b64 s[40:41], vcc
	s_cbranch_execnz .LBB307_115
.LBB307_48:                             ;   in Loop: Header=BB307_12 Depth=1
	s_or_b64 exec, exec, s[40:41]
	s_and_saveexec_b64 s[40:41], s[6:7]
	s_cbranch_execnz .LBB307_120
.LBB307_49:                             ;   in Loop: Header=BB307_12 Depth=1
	s_or_b64 exec, exec, s[40:41]
	s_and_saveexec_b64 s[40:41], s[8:9]
	s_cbranch_execnz .LBB307_125
.LBB307_50:                             ;   in Loop: Header=BB307_12 Depth=1
	s_or_b64 exec, exec, s[40:41]
	s_and_saveexec_b64 s[40:41], s[10:11]
	s_cbranch_execnz .LBB307_130
.LBB307_51:                             ;   in Loop: Header=BB307_12 Depth=1
	s_or_b64 exec, exec, s[40:41]
	v_add_u32_e32 v0, s27, v0
	s_and_saveexec_b64 s[12:13], vcc
	s_cbranch_execnz .LBB307_135
.LBB307_52:                             ;   in Loop: Header=BB307_12 Depth=1
	s_or_b64 exec, exec, s[12:13]
	s_and_saveexec_b64 s[12:13], s[6:7]
	s_cbranch_execnz .LBB307_140
.LBB307_53:                             ;   in Loop: Header=BB307_12 Depth=1
	s_or_b64 exec, exec, s[12:13]
	s_and_saveexec_b64 s[6:7], s[8:9]
	s_cbranch_execnz .LBB307_145
.LBB307_54:                             ;   in Loop: Header=BB307_12 Depth=1
	s_or_b64 exec, exec, s[6:7]
	s_and_b64 exec, exec, s[10:11]
	s_cbranch_execnz .LBB307_150
	s_branch .LBB307_155
.LBB307_55:                             ;   in Loop: Header=BB307_12 Depth=1
	v_cvt_f32_i32_e32 v2, v71
	v_lshlrev_b32_e32 v3, 16, v60
                                        ; implicit-def: $vgpr60
	v_add_f32_e32 v2, v74, v2
	v_add_f32_e32 v61, v2, v3
	v_and_b32_e32 v2, 0x7f800000, v61
	v_cmp_ne_u32_e64 s[6:7], s58, v2
	s_and_saveexec_b64 s[10:11], s[6:7]
	s_xor_b64 s[6:7], exec, s[10:11]
; %bb.56:                               ;   in Loop: Header=BB307_12 Depth=1
	v_bfe_u32 v2, v61, 16, 1
	v_add3_u32 v60, v61, v2, s59
                                        ; implicit-def: $vgpr61
; %bb.57:                               ;   in Loop: Header=BB307_12 Depth=1
	s_andn2_saveexec_b64 s[10:11], s[6:7]
; %bb.58:                               ;   in Loop: Header=BB307_12 Depth=1
	v_or_b32_e32 v2, 0x10000, v61
	v_cmp_eq_u32_sdwa s[6:7], v61, v1 src0_sel:WORD_0 src1_sel:DWORD
	s_nop 1
	v_cndmask_b32_e64 v60, v2, v61, s[6:7]
; %bb.59:                               ;   in Loop: Header=BB307_12 Depth=1
	s_or_b64 exec, exec, s[10:11]
	s_waitcnt vmcnt(1)
	v_mov_b32_e32 v65, v1
	v_lshl_add_u64 v[2:3], v[64:65], 1, s[14:15]
	global_store_short_d16_hi v[2:3], v60, off
	s_or_b64 exec, exec, s[8:9]
	v_cmp_ne_u32_e64 s[6:7], 0, v77
	s_and_saveexec_b64 s[10:11], s[6:7]
	s_cbranch_execz .LBB307_37
.LBB307_60:                             ;   in Loop: Header=BB307_12 Depth=1
	v_cvt_f32_i32_e32 v2, v67
	v_lshlrev_b32_e32 v3, 16, v57
                                        ; implicit-def: $vgpr57
	v_add_f32_e32 v2, v70, v2
	v_add_f32_e32 v60, v2, v3
	v_and_b32_e32 v2, 0x7f800000, v60
	v_cmp_ne_u32_e64 s[8:9], s58, v2
	s_and_saveexec_b64 s[12:13], s[8:9]
	s_xor_b64 s[8:9], exec, s[12:13]
; %bb.61:                               ;   in Loop: Header=BB307_12 Depth=1
	v_bfe_u32 v2, v60, 16, 1
	v_add3_u32 v57, v60, v2, s59
                                        ; implicit-def: $vgpr60
; %bb.62:                               ;   in Loop: Header=BB307_12 Depth=1
	s_andn2_saveexec_b64 s[12:13], s[8:9]
; %bb.63:                               ;   in Loop: Header=BB307_12 Depth=1
	v_or_b32_e32 v2, 0x10000, v60
	v_cmp_eq_u32_sdwa s[8:9], v60, v1 src0_sel:WORD_0 src1_sel:DWORD
	s_nop 1
	v_cndmask_b32_e64 v57, v2, v60, s[8:9]
; %bb.64:                               ;   in Loop: Header=BB307_12 Depth=1
	s_or_b64 exec, exec, s[12:13]
	s_waitcnt vmcnt(1)
	v_mov_b32_e32 v65, v1
	v_lshl_add_u64 v[2:3], v[64:65], 1, s[34:35]
	global_store_short_d16_hi v[2:3], v57, off
	s_or_b64 exec, exec, s[10:11]
	v_cmp_ne_u32_e64 s[8:9], 0, v78
	s_and_saveexec_b64 s[12:13], s[8:9]
	s_cbranch_execz .LBB307_38
.LBB307_65:                             ;   in Loop: Header=BB307_12 Depth=1
	v_cvt_f32_i32_e32 v2, v62
	v_lshlrev_b32_e32 v3, 16, v53
                                        ; implicit-def: $vgpr53
	v_add_f32_e32 v2, v66, v2
	v_add_f32_e32 v57, v2, v3
	v_and_b32_e32 v2, 0x7f800000, v57
	v_cmp_ne_u32_e64 s[10:11], s58, v2
	s_and_saveexec_b64 s[40:41], s[10:11]
	s_xor_b64 s[10:11], exec, s[40:41]
; %bb.66:                               ;   in Loop: Header=BB307_12 Depth=1
	v_bfe_u32 v2, v57, 16, 1
	v_add3_u32 v53, v57, v2, s59
                                        ; implicit-def: $vgpr57
; %bb.67:                               ;   in Loop: Header=BB307_12 Depth=1
	s_andn2_saveexec_b64 s[40:41], s[10:11]
; %bb.68:                               ;   in Loop: Header=BB307_12 Depth=1
	v_or_b32_e32 v2, 0x10000, v57
	v_cmp_eq_u32_sdwa s[10:11], v57, v1 src0_sel:WORD_0 src1_sel:DWORD
	s_nop 1
	v_cndmask_b32_e64 v53, v2, v57, s[10:11]
; %bb.69:                               ;   in Loop: Header=BB307_12 Depth=1
	s_or_b64 exec, exec, s[40:41]
	v_lshl_add_u64 v[2:3], v[0:1], 1, s[14:15]
	global_store_short_d16_hi v[2:3], v53, off
	s_or_b64 exec, exec, s[12:13]
	v_cmp_ne_u32_e64 s[10:11], 0, v79
	s_and_saveexec_b64 s[40:41], s[10:11]
	s_cbranch_execz .LBB307_39
.LBB307_70:                             ;   in Loop: Header=BB307_12 Depth=1
	v_cvt_f32_i32_e32 v0, v59
	v_lshlrev_b32_e32 v2, 16, v52
	v_add_f32_e32 v0, v7, v0
	v_add_f32_e32 v7, v0, v2
	v_and_b32_e32 v0, 0x7f800000, v7
	v_cmp_ne_u32_e64 s[12:13], s58, v0
                                        ; implicit-def: $vgpr0
	s_and_saveexec_b64 s[42:43], s[12:13]
	s_xor_b64 s[12:13], exec, s[42:43]
; %bb.71:                               ;   in Loop: Header=BB307_12 Depth=1
	v_bfe_u32 v0, v7, 16, 1
	v_add3_u32 v0, v7, v0, s59
                                        ; implicit-def: $vgpr7
; %bb.72:                               ;   in Loop: Header=BB307_12 Depth=1
	s_andn2_saveexec_b64 s[42:43], s[12:13]
; %bb.73:                               ;   in Loop: Header=BB307_12 Depth=1
	v_or_b32_e32 v0, 0x10000, v7
	v_cmp_eq_u32_sdwa s[12:13], v7, v1 src0_sel:WORD_0 src1_sel:DWORD
	s_nop 1
	v_cndmask_b32_e64 v0, v0, v7, s[12:13]
; %bb.74:                               ;   in Loop: Header=BB307_12 Depth=1
	s_or_b64 exec, exec, s[42:43]
	v_mov_b32_e32 v7, v1
	v_lshl_add_u64 v[2:3], v[6:7], 1, s[14:15]
	global_store_short_d16_hi v[2:3], v0, off
	s_or_b64 exec, exec, s[40:41]
	s_waitcnt vmcnt(2)
	v_add_u32_e32 v0, s27, v64
	s_and_saveexec_b64 s[40:41], vcc
	s_cbranch_execz .LBB307_40
.LBB307_75:                             ;   in Loop: Header=BB307_12 Depth=1
	v_cvt_f32_i32_e32 v2, v56
	v_lshlrev_b32_e32 v3, 16, v51
                                        ; implicit-def: $vgpr6
	v_add_f32_e32 v2, v58, v2
	v_add_f32_e32 v7, v2, v3
	v_and_b32_e32 v2, 0x7f800000, v7
	v_cmp_ne_u32_e64 s[12:13], s58, v2
	s_and_saveexec_b64 s[42:43], s[12:13]
	s_xor_b64 s[12:13], exec, s[42:43]
; %bb.76:                               ;   in Loop: Header=BB307_12 Depth=1
	v_bfe_u32 v2, v7, 16, 1
	v_add3_u32 v6, v7, v2, s59
                                        ; implicit-def: $vgpr7
; %bb.77:                               ;   in Loop: Header=BB307_12 Depth=1
	s_andn2_saveexec_b64 s[42:43], s[12:13]
; %bb.78:                               ;   in Loop: Header=BB307_12 Depth=1
	v_or_b32_e32 v2, 0x10000, v7
	v_cmp_eq_u32_sdwa s[12:13], v7, v1 src0_sel:WORD_0 src1_sel:DWORD
	s_nop 1
	v_cndmask_b32_e64 v6, v2, v7, s[12:13]
; %bb.79:                               ;   in Loop: Header=BB307_12 Depth=1
	s_or_b64 exec, exec, s[42:43]
	v_lshl_add_u64 v[2:3], v[0:1], 1, s[14:15]
	global_store_short_d16_hi v[2:3], v6, off
	s_or_b64 exec, exec, s[40:41]
	s_and_saveexec_b64 s[40:41], s[6:7]
	s_cbranch_execz .LBB307_41
.LBB307_80:                             ;   in Loop: Header=BB307_12 Depth=1
	v_cvt_f32_i32_e32 v2, v55
	v_lshlrev_b32_e32 v3, 16, v50
                                        ; implicit-def: $vgpr6
	v_add_f32_e32 v2, v54, v2
	v_add_f32_e32 v7, v2, v3
	v_and_b32_e32 v2, 0x7f800000, v7
	v_cmp_ne_u32_e64 s[12:13], s58, v2
	s_and_saveexec_b64 s[42:43], s[12:13]
	s_xor_b64 s[12:13], exec, s[42:43]
; %bb.81:                               ;   in Loop: Header=BB307_12 Depth=1
	v_bfe_u32 v2, v7, 16, 1
	v_add3_u32 v6, v7, v2, s59
                                        ; implicit-def: $vgpr7
; %bb.82:                               ;   in Loop: Header=BB307_12 Depth=1
	s_andn2_saveexec_b64 s[42:43], s[12:13]
; %bb.83:                               ;   in Loop: Header=BB307_12 Depth=1
	v_or_b32_e32 v2, 0x10000, v7
	v_cmp_eq_u32_sdwa s[12:13], v7, v1 src0_sel:WORD_0 src1_sel:DWORD
	s_nop 1
	v_cndmask_b32_e64 v6, v2, v7, s[12:13]
; %bb.84:                               ;   in Loop: Header=BB307_12 Depth=1
	s_or_b64 exec, exec, s[42:43]
	v_add_u32_e32 v2, 1, v0
	v_mov_b32_e32 v3, v1
	v_lshl_add_u64 v[2:3], v[2:3], 1, s[14:15]
	global_store_short_d16_hi v[2:3], v6, off
	s_or_b64 exec, exec, s[40:41]
	s_and_saveexec_b64 s[40:41], s[8:9]
	s_cbranch_execz .LBB307_42
.LBB307_85:                             ;   in Loop: Header=BB307_12 Depth=1
	v_cvt_f32_i32_e32 v2, v46
	v_lshlrev_b32_e32 v3, 16, v49
                                        ; implicit-def: $vgpr6
	v_add_f32_e32 v2, v35, v2
	v_add_f32_e32 v7, v2, v3
	v_and_b32_e32 v2, 0x7f800000, v7
	v_cmp_ne_u32_e64 s[12:13], s58, v2
	s_and_saveexec_b64 s[42:43], s[12:13]
	s_xor_b64 s[12:13], exec, s[42:43]
; %bb.86:                               ;   in Loop: Header=BB307_12 Depth=1
	v_bfe_u32 v2, v7, 16, 1
	v_add3_u32 v6, v7, v2, s59
                                        ; implicit-def: $vgpr7
; %bb.87:                               ;   in Loop: Header=BB307_12 Depth=1
	s_andn2_saveexec_b64 s[42:43], s[12:13]
; %bb.88:                               ;   in Loop: Header=BB307_12 Depth=1
	v_or_b32_e32 v2, 0x10000, v7
	v_cmp_eq_u32_sdwa s[12:13], v7, v1 src0_sel:WORD_0 src1_sel:DWORD
	s_nop 1
	v_cndmask_b32_e64 v6, v2, v7, s[12:13]
; %bb.89:                               ;   in Loop: Header=BB307_12 Depth=1
	s_or_b64 exec, exec, s[42:43]
	v_add_u32_e32 v2, 2, v0
	v_mov_b32_e32 v3, v1
	v_lshl_add_u64 v[2:3], v[2:3], 1, s[14:15]
	global_store_short_d16_hi v[2:3], v6, off
	s_or_b64 exec, exec, s[40:41]
	s_and_saveexec_b64 s[40:41], s[10:11]
	s_cbranch_execz .LBB307_43
.LBB307_90:                             ;   in Loop: Header=BB307_12 Depth=1
	v_cvt_f32_i32_e32 v2, v37
	v_lshlrev_b32_e32 v3, 16, v48
                                        ; implicit-def: $vgpr6
	v_add_f32_e32 v2, v32, v2
	v_add_f32_e32 v7, v2, v3
	v_and_b32_e32 v2, 0x7f800000, v7
	v_cmp_ne_u32_e64 s[12:13], s58, v2
	s_and_saveexec_b64 s[42:43], s[12:13]
	s_xor_b64 s[12:13], exec, s[42:43]
; %bb.91:                               ;   in Loop: Header=BB307_12 Depth=1
	v_bfe_u32 v2, v7, 16, 1
	v_add3_u32 v6, v7, v2, s59
                                        ; implicit-def: $vgpr7
; %bb.92:                               ;   in Loop: Header=BB307_12 Depth=1
	s_andn2_saveexec_b64 s[42:43], s[12:13]
; %bb.93:                               ;   in Loop: Header=BB307_12 Depth=1
	v_or_b32_e32 v2, 0x10000, v7
	v_cmp_eq_u32_sdwa s[12:13], v7, v1 src0_sel:WORD_0 src1_sel:DWORD
	s_nop 1
	v_cndmask_b32_e64 v6, v2, v7, s[12:13]
; %bb.94:                               ;   in Loop: Header=BB307_12 Depth=1
	s_or_b64 exec, exec, s[42:43]
	v_add_u32_e32 v2, 3, v0
	v_mov_b32_e32 v3, v1
	v_lshl_add_u64 v[2:3], v[2:3], 1, s[14:15]
	global_store_short_d16_hi v[2:3], v6, off
	s_or_b64 exec, exec, s[40:41]
	v_add_u32_e32 v0, s27, v0
	s_and_saveexec_b64 s[40:41], vcc
	s_cbranch_execz .LBB307_44
.LBB307_95:                             ;   in Loop: Header=BB307_12 Depth=1
	v_cvt_f32_i32_e32 v2, v34
	v_lshlrev_b32_e32 v3, 16, v47
                                        ; implicit-def: $vgpr6
	v_add_f32_e32 v2, v31, v2
	v_add_f32_e32 v7, v2, v3
	v_and_b32_e32 v2, 0x7f800000, v7
	v_cmp_ne_u32_e64 s[12:13], s58, v2
	s_and_saveexec_b64 s[42:43], s[12:13]
	s_xor_b64 s[12:13], exec, s[42:43]
; %bb.96:                               ;   in Loop: Header=BB307_12 Depth=1
	v_bfe_u32 v2, v7, 16, 1
	v_add3_u32 v6, v7, v2, s59
                                        ; implicit-def: $vgpr7
; %bb.97:                               ;   in Loop: Header=BB307_12 Depth=1
	s_andn2_saveexec_b64 s[42:43], s[12:13]
; %bb.98:                               ;   in Loop: Header=BB307_12 Depth=1
	v_or_b32_e32 v2, 0x10000, v7
	v_cmp_eq_u32_sdwa s[12:13], v7, v1 src0_sel:WORD_0 src1_sel:DWORD
	s_nop 1
	v_cndmask_b32_e64 v6, v2, v7, s[12:13]
; %bb.99:                               ;   in Loop: Header=BB307_12 Depth=1
	s_or_b64 exec, exec, s[42:43]
	v_lshl_add_u64 v[2:3], v[0:1], 1, s[14:15]
	global_store_short_d16_hi v[2:3], v6, off
	s_or_b64 exec, exec, s[40:41]
	s_and_saveexec_b64 s[40:41], s[6:7]
	s_cbranch_execz .LBB307_45
.LBB307_100:                            ;   in Loop: Header=BB307_12 Depth=1
	v_cvt_f32_i32_e32 v2, v33
	v_lshlrev_b32_e32 v3, 16, v45
                                        ; implicit-def: $vgpr6
	v_add_f32_e32 v2, v29, v2
	v_add_f32_e32 v7, v2, v3
	v_and_b32_e32 v2, 0x7f800000, v7
	v_cmp_ne_u32_e64 s[12:13], s58, v2
	s_and_saveexec_b64 s[42:43], s[12:13]
	s_xor_b64 s[12:13], exec, s[42:43]
; %bb.101:                              ;   in Loop: Header=BB307_12 Depth=1
	v_bfe_u32 v2, v7, 16, 1
	v_add3_u32 v6, v7, v2, s59
                                        ; implicit-def: $vgpr7
; %bb.102:                              ;   in Loop: Header=BB307_12 Depth=1
	s_andn2_saveexec_b64 s[42:43], s[12:13]
; %bb.103:                              ;   in Loop: Header=BB307_12 Depth=1
	v_or_b32_e32 v2, 0x10000, v7
	v_cmp_eq_u32_sdwa s[12:13], v7, v1 src0_sel:WORD_0 src1_sel:DWORD
	s_nop 1
	v_cndmask_b32_e64 v6, v2, v7, s[12:13]
; %bb.104:                              ;   in Loop: Header=BB307_12 Depth=1
	s_or_b64 exec, exec, s[42:43]
	v_add_u32_e32 v2, 1, v0
	v_mov_b32_e32 v3, v1
	v_lshl_add_u64 v[2:3], v[2:3], 1, s[14:15]
	global_store_short_d16_hi v[2:3], v6, off
	s_or_b64 exec, exec, s[40:41]
	s_and_saveexec_b64 s[40:41], s[8:9]
	s_cbranch_execz .LBB307_46
.LBB307_105:                            ;   in Loop: Header=BB307_12 Depth=1
	v_cvt_f32_i32_e32 v2, v27
	v_lshlrev_b32_e32 v3, 16, v44
                                        ; implicit-def: $vgpr6
	v_add_f32_e32 v2, v26, v2
	v_add_f32_e32 v7, v2, v3
	v_and_b32_e32 v2, 0x7f800000, v7
	v_cmp_ne_u32_e64 s[12:13], s58, v2
	s_and_saveexec_b64 s[42:43], s[12:13]
	s_xor_b64 s[12:13], exec, s[42:43]
; %bb.106:                              ;   in Loop: Header=BB307_12 Depth=1
	v_bfe_u32 v2, v7, 16, 1
	v_add3_u32 v6, v7, v2, s59
                                        ; implicit-def: $vgpr7
; %bb.107:                              ;   in Loop: Header=BB307_12 Depth=1
	s_andn2_saveexec_b64 s[42:43], s[12:13]
; %bb.108:                              ;   in Loop: Header=BB307_12 Depth=1
	v_or_b32_e32 v2, 0x10000, v7
	v_cmp_eq_u32_sdwa s[12:13], v7, v1 src0_sel:WORD_0 src1_sel:DWORD
	s_nop 1
	v_cndmask_b32_e64 v6, v2, v7, s[12:13]
; %bb.109:                              ;   in Loop: Header=BB307_12 Depth=1
	s_or_b64 exec, exec, s[42:43]
	v_add_u32_e32 v2, 2, v0
	v_mov_b32_e32 v3, v1
	v_lshl_add_u64 v[2:3], v[2:3], 1, s[14:15]
	global_store_short_d16_hi v[2:3], v6, off
	s_or_b64 exec, exec, s[40:41]
	s_and_saveexec_b64 s[40:41], s[10:11]
	s_cbranch_execz .LBB307_47
.LBB307_110:                            ;   in Loop: Header=BB307_12 Depth=1
	v_cvt_f32_i32_e32 v2, v28
	v_lshlrev_b32_e32 v3, 16, v43
                                        ; implicit-def: $vgpr6
	v_add_f32_e32 v2, v24, v2
	v_add_f32_e32 v7, v2, v3
	v_and_b32_e32 v2, 0x7f800000, v7
	v_cmp_ne_u32_e64 s[12:13], s58, v2
	s_and_saveexec_b64 s[42:43], s[12:13]
	s_xor_b64 s[12:13], exec, s[42:43]
; %bb.111:                              ;   in Loop: Header=BB307_12 Depth=1
	v_bfe_u32 v2, v7, 16, 1
	v_add3_u32 v6, v7, v2, s59
                                        ; implicit-def: $vgpr7
; %bb.112:                              ;   in Loop: Header=BB307_12 Depth=1
	s_andn2_saveexec_b64 s[42:43], s[12:13]
; %bb.113:                              ;   in Loop: Header=BB307_12 Depth=1
	v_or_b32_e32 v2, 0x10000, v7
	v_cmp_eq_u32_sdwa s[12:13], v7, v1 src0_sel:WORD_0 src1_sel:DWORD
	s_nop 1
	v_cndmask_b32_e64 v6, v2, v7, s[12:13]
; %bb.114:                              ;   in Loop: Header=BB307_12 Depth=1
	s_or_b64 exec, exec, s[42:43]
	v_add_u32_e32 v2, 3, v0
	v_mov_b32_e32 v3, v1
	v_lshl_add_u64 v[2:3], v[2:3], 1, s[14:15]
	global_store_short_d16_hi v[2:3], v6, off
	s_or_b64 exec, exec, s[40:41]
	v_add_u32_e32 v0, s27, v0
	s_and_saveexec_b64 s[40:41], vcc
	s_cbranch_execz .LBB307_48
.LBB307_115:                            ;   in Loop: Header=BB307_12 Depth=1
	v_cvt_f32_i32_e32 v2, v25
	v_lshlrev_b32_e32 v3, 16, v42
                                        ; implicit-def: $vgpr6
	v_add_f32_e32 v2, v21, v2
	v_add_f32_e32 v7, v2, v3
	v_and_b32_e32 v2, 0x7f800000, v7
	v_cmp_ne_u32_e64 s[12:13], s58, v2
	s_and_saveexec_b64 s[42:43], s[12:13]
	s_xor_b64 s[12:13], exec, s[42:43]
; %bb.116:                              ;   in Loop: Header=BB307_12 Depth=1
	v_bfe_u32 v2, v7, 16, 1
	v_add3_u32 v6, v7, v2, s59
                                        ; implicit-def: $vgpr7
; %bb.117:                              ;   in Loop: Header=BB307_12 Depth=1
	s_andn2_saveexec_b64 s[42:43], s[12:13]
; %bb.118:                              ;   in Loop: Header=BB307_12 Depth=1
	v_or_b32_e32 v2, 0x10000, v7
	v_cmp_eq_u32_sdwa s[12:13], v7, v1 src0_sel:WORD_0 src1_sel:DWORD
	s_nop 1
	v_cndmask_b32_e64 v6, v2, v7, s[12:13]
; %bb.119:                              ;   in Loop: Header=BB307_12 Depth=1
	s_or_b64 exec, exec, s[42:43]
	v_lshl_add_u64 v[2:3], v[0:1], 1, s[14:15]
	global_store_short_d16_hi v[2:3], v6, off
	s_or_b64 exec, exec, s[40:41]
	s_and_saveexec_b64 s[40:41], s[6:7]
	s_cbranch_execz .LBB307_49
.LBB307_120:                            ;   in Loop: Header=BB307_12 Depth=1
	v_cvt_f32_i32_e32 v2, v23
	v_lshlrev_b32_e32 v3, 16, v41
                                        ; implicit-def: $vgpr6
	v_add_f32_e32 v2, v19, v2
	v_add_f32_e32 v7, v2, v3
	v_and_b32_e32 v2, 0x7f800000, v7
	v_cmp_ne_u32_e64 s[12:13], s58, v2
	s_and_saveexec_b64 s[42:43], s[12:13]
	s_xor_b64 s[12:13], exec, s[42:43]
; %bb.121:                              ;   in Loop: Header=BB307_12 Depth=1
	v_bfe_u32 v2, v7, 16, 1
	v_add3_u32 v6, v7, v2, s59
                                        ; implicit-def: $vgpr7
; %bb.122:                              ;   in Loop: Header=BB307_12 Depth=1
	s_andn2_saveexec_b64 s[42:43], s[12:13]
; %bb.123:                              ;   in Loop: Header=BB307_12 Depth=1
	v_or_b32_e32 v2, 0x10000, v7
	v_cmp_eq_u32_sdwa s[12:13], v7, v1 src0_sel:WORD_0 src1_sel:DWORD
	s_nop 1
	v_cndmask_b32_e64 v6, v2, v7, s[12:13]
; %bb.124:                              ;   in Loop: Header=BB307_12 Depth=1
	s_or_b64 exec, exec, s[42:43]
	v_add_u32_e32 v2, 1, v0
	v_mov_b32_e32 v3, v1
	v_lshl_add_u64 v[2:3], v[2:3], 1, s[14:15]
	global_store_short_d16_hi v[2:3], v6, off
	s_or_b64 exec, exec, s[40:41]
	s_and_saveexec_b64 s[40:41], s[8:9]
	s_cbranch_execz .LBB307_50
.LBB307_125:                            ;   in Loop: Header=BB307_12 Depth=1
	v_cvt_f32_i32_e32 v2, v20
	v_lshlrev_b32_e32 v3, 16, v40
                                        ; implicit-def: $vgpr6
	v_add_f32_e32 v2, v16, v2
	v_add_f32_e32 v7, v2, v3
	v_and_b32_e32 v2, 0x7f800000, v7
	v_cmp_ne_u32_e64 s[12:13], s58, v2
	s_and_saveexec_b64 s[42:43], s[12:13]
	s_xor_b64 s[12:13], exec, s[42:43]
; %bb.126:                              ;   in Loop: Header=BB307_12 Depth=1
	v_bfe_u32 v2, v7, 16, 1
	v_add3_u32 v6, v7, v2, s59
                                        ; implicit-def: $vgpr7
; %bb.127:                              ;   in Loop: Header=BB307_12 Depth=1
	s_andn2_saveexec_b64 s[42:43], s[12:13]
; %bb.128:                              ;   in Loop: Header=BB307_12 Depth=1
	v_or_b32_e32 v2, 0x10000, v7
	v_cmp_eq_u32_sdwa s[12:13], v7, v1 src0_sel:WORD_0 src1_sel:DWORD
	s_nop 1
	v_cndmask_b32_e64 v6, v2, v7, s[12:13]
; %bb.129:                              ;   in Loop: Header=BB307_12 Depth=1
	s_or_b64 exec, exec, s[42:43]
	v_add_u32_e32 v2, 2, v0
	v_mov_b32_e32 v3, v1
	v_lshl_add_u64 v[2:3], v[2:3], 1, s[14:15]
	global_store_short_d16_hi v[2:3], v6, off
	s_or_b64 exec, exec, s[40:41]
	s_and_saveexec_b64 s[40:41], s[10:11]
	s_cbranch_execz .LBB307_51
.LBB307_130:                            ;   in Loop: Header=BB307_12 Depth=1
	v_cvt_f32_i32_e32 v2, v15
	v_lshlrev_b32_e32 v3, 16, v39
                                        ; implicit-def: $vgpr6
	v_add_f32_e32 v2, v12, v2
	v_add_f32_e32 v7, v2, v3
	v_and_b32_e32 v2, 0x7f800000, v7
	v_cmp_ne_u32_e64 s[12:13], s58, v2
	s_and_saveexec_b64 s[42:43], s[12:13]
	s_xor_b64 s[12:13], exec, s[42:43]
; %bb.131:                              ;   in Loop: Header=BB307_12 Depth=1
	v_bfe_u32 v2, v7, 16, 1
	v_add3_u32 v6, v7, v2, s59
                                        ; implicit-def: $vgpr7
; %bb.132:                              ;   in Loop: Header=BB307_12 Depth=1
	s_andn2_saveexec_b64 s[42:43], s[12:13]
; %bb.133:                              ;   in Loop: Header=BB307_12 Depth=1
	v_or_b32_e32 v2, 0x10000, v7
	v_cmp_eq_u32_sdwa s[12:13], v7, v1 src0_sel:WORD_0 src1_sel:DWORD
	s_nop 1
	v_cndmask_b32_e64 v6, v2, v7, s[12:13]
; %bb.134:                              ;   in Loop: Header=BB307_12 Depth=1
	s_or_b64 exec, exec, s[42:43]
	v_add_u32_e32 v2, 3, v0
	v_mov_b32_e32 v3, v1
	v_lshl_add_u64 v[2:3], v[2:3], 1, s[14:15]
	global_store_short_d16_hi v[2:3], v6, off
	s_or_b64 exec, exec, s[40:41]
	v_add_u32_e32 v0, s27, v0
	s_and_saveexec_b64 s[12:13], vcc
	s_cbranch_execz .LBB307_52
.LBB307_135:                            ;   in Loop: Header=BB307_12 Depth=1
	v_cvt_f32_i32_e32 v2, v18
	v_lshlrev_b32_e32 v3, 16, v38
                                        ; implicit-def: $vgpr6
	v_add_f32_e32 v2, v17, v2
	v_add_f32_e32 v7, v2, v3
	v_and_b32_e32 v2, 0x7f800000, v7
	v_cmp_ne_u32_e32 vcc, s58, v2
	s_and_saveexec_b64 s[40:41], vcc
	s_xor_b64 s[40:41], exec, s[40:41]
; %bb.136:                              ;   in Loop: Header=BB307_12 Depth=1
	v_bfe_u32 v2, v7, 16, 1
	v_add3_u32 v6, v7, v2, s59
                                        ; implicit-def: $vgpr7
; %bb.137:                              ;   in Loop: Header=BB307_12 Depth=1
	s_andn2_saveexec_b64 s[40:41], s[40:41]
; %bb.138:                              ;   in Loop: Header=BB307_12 Depth=1
	v_or_b32_e32 v2, 0x10000, v7
	v_cmp_eq_u32_sdwa vcc, v7, v1 src0_sel:WORD_0 src1_sel:DWORD
	s_nop 1
	v_cndmask_b32_e32 v6, v2, v7, vcc
; %bb.139:                              ;   in Loop: Header=BB307_12 Depth=1
	s_or_b64 exec, exec, s[40:41]
	v_lshl_add_u64 v[2:3], v[0:1], 1, s[14:15]
	global_store_short_d16_hi v[2:3], v6, off
	s_or_b64 exec, exec, s[12:13]
	s_and_saveexec_b64 s[12:13], s[6:7]
	s_cbranch_execz .LBB307_53
.LBB307_140:                            ;   in Loop: Header=BB307_12 Depth=1
	v_cvt_f32_i32_e32 v2, v14
	v_lshlrev_b32_e32 v3, 16, v36
                                        ; implicit-def: $vgpr6
	v_add_f32_e32 v2, v13, v2
	v_add_f32_e32 v7, v2, v3
	v_and_b32_e32 v2, 0x7f800000, v7
	v_cmp_ne_u32_e32 vcc, s58, v2
	s_and_saveexec_b64 s[6:7], vcc
	s_xor_b64 s[6:7], exec, s[6:7]
; %bb.141:                              ;   in Loop: Header=BB307_12 Depth=1
	v_bfe_u32 v2, v7, 16, 1
	v_add3_u32 v6, v7, v2, s59
                                        ; implicit-def: $vgpr7
; %bb.142:                              ;   in Loop: Header=BB307_12 Depth=1
	s_andn2_saveexec_b64 s[6:7], s[6:7]
; %bb.143:                              ;   in Loop: Header=BB307_12 Depth=1
	v_or_b32_e32 v2, 0x10000, v7
	v_cmp_eq_u32_sdwa vcc, v7, v1 src0_sel:WORD_0 src1_sel:DWORD
	s_nop 1
	v_cndmask_b32_e32 v6, v2, v7, vcc
; %bb.144:                              ;   in Loop: Header=BB307_12 Depth=1
	s_or_b64 exec, exec, s[6:7]
	v_add_u32_e32 v2, 1, v0
	v_mov_b32_e32 v3, v1
	v_lshl_add_u64 v[2:3], v[2:3], 1, s[14:15]
	global_store_short_d16_hi v[2:3], v6, off
	s_or_b64 exec, exec, s[12:13]
	s_and_saveexec_b64 s[6:7], s[8:9]
	s_cbranch_execz .LBB307_54
.LBB307_145:                            ;   in Loop: Header=BB307_12 Depth=1
	v_cvt_f32_i32_e32 v2, v11
	v_lshlrev_b32_e32 v3, 16, v30
                                        ; implicit-def: $vgpr6
	v_add_f32_e32 v2, v10, v2
	v_add_f32_e32 v7, v2, v3
	v_and_b32_e32 v2, 0x7f800000, v7
	v_cmp_ne_u32_e32 vcc, s58, v2
	s_and_saveexec_b64 s[8:9], vcc
	s_xor_b64 s[8:9], exec, s[8:9]
; %bb.146:                              ;   in Loop: Header=BB307_12 Depth=1
	v_bfe_u32 v2, v7, 16, 1
	v_add3_u32 v6, v7, v2, s59
                                        ; implicit-def: $vgpr7
; %bb.147:                              ;   in Loop: Header=BB307_12 Depth=1
	s_andn2_saveexec_b64 s[8:9], s[8:9]
; %bb.148:                              ;   in Loop: Header=BB307_12 Depth=1
	v_or_b32_e32 v2, 0x10000, v7
	v_cmp_eq_u32_sdwa vcc, v7, v1 src0_sel:WORD_0 src1_sel:DWORD
	s_nop 1
	v_cndmask_b32_e32 v6, v2, v7, vcc
; %bb.149:                              ;   in Loop: Header=BB307_12 Depth=1
	s_or_b64 exec, exec, s[8:9]
	v_add_u32_e32 v2, 2, v0
	v_mov_b32_e32 v3, v1
	v_lshl_add_u64 v[2:3], v[2:3], 1, s[14:15]
	global_store_short_d16_hi v[2:3], v6, off
	s_or_b64 exec, exec, s[6:7]
	s_and_b64 exec, exec, s[10:11]
	s_cbranch_execz .LBB307_155
.LBB307_150:                            ;   in Loop: Header=BB307_12 Depth=1
	v_cvt_f32_i32_e32 v2, v9
	s_waitcnt vmcnt(0)
	v_lshlrev_b32_e32 v3, 16, v22
                                        ; implicit-def: $vgpr6
	v_add_f32_e32 v2, v8, v2
	v_add_f32_e32 v7, v2, v3
	v_and_b32_e32 v2, 0x7f800000, v7
	v_cmp_ne_u32_e32 vcc, s58, v2
	s_and_saveexec_b64 s[6:7], vcc
	s_xor_b64 s[6:7], exec, s[6:7]
; %bb.151:                              ;   in Loop: Header=BB307_12 Depth=1
	v_bfe_u32 v2, v7, 16, 1
	v_add3_u32 v6, v7, v2, s59
                                        ; implicit-def: $vgpr7
; %bb.152:                              ;   in Loop: Header=BB307_12 Depth=1
	s_andn2_saveexec_b64 s[6:7], s[6:7]
; %bb.153:                              ;   in Loop: Header=BB307_12 Depth=1
	v_or_b32_e32 v2, 0x10000, v7
	v_cmp_eq_u32_sdwa vcc, v7, v1 src0_sel:WORD_0 src1_sel:DWORD
	s_nop 1
	v_cndmask_b32_e32 v6, v2, v7, vcc
; %bb.154:                              ;   in Loop: Header=BB307_12 Depth=1
	s_or_b64 exec, exec, s[6:7]
	v_add_u32_e32 v0, 3, v0
	v_lshl_add_u64 v[2:3], v[0:1], 1, s[14:15]
	global_store_short_d16_hi v[2:3], v6, off
.LBB307_155:                            ;   in Loop: Header=BB307_12 Depth=1
	s_or_b64 exec, exec, s[38:39]
	s_waitcnt vmcnt(0)
	v_add_u32_e32 v64, s48, v64
	v_add_u32_e32 v0, 4, v64
	v_cmp_gt_u32_e32 vcc, s27, v64
	v_cmp_le_u32_e64 s[6:7], s27, v0
	s_and_b64 s[6:7], vcc, s[6:7]
	s_and_saveexec_b64 s[8:9], s[6:7]
	s_cbranch_execz .LBB307_10
; %bb.156:                              ;   in Loop: Header=BB307_12 Depth=1
	v_cmp_ne_u32_e32 vcc, s17, v64
	s_and_saveexec_b64 s[10:11], vcc
	s_cbranch_execz .LBB307_9
; %bb.157:                              ;   in Loop: Header=BB307_12 Depth=1
	v_subrev_u32_e32 v0, s17, v64
	v_cmp_lt_u32_e32 vcc, 1, v0
	s_mov_b64 s[12:13], 0
	s_mov_b64 s[38:39], 0
	v_cndmask_b32_e32 v0, 1, v0, vcc
.LBB307_158:                            ;   Parent Loop BB307_12 Depth=1
                                        ; =>  This Inner Loop Header: Depth=2
	s_cmp_lg_u32 s38, 3
	s_cselect_b64 vcc, -1, 0
	s_cmp_lg_u32 s38, 2
	v_cndmask_b32_e32 v79, 0, v79, vcc
	s_cselect_b64 vcc, -1, 0
	s_cmp_lg_u32 s38, 1
	v_cndmask_b32_e32 v78, 0, v78, vcc
	s_cselect_b64 vcc, -1, 0
	s_cmp_lg_u32 s38, 0
	v_cndmask_b32_e32 v77, 0, v77, vcc
	s_cselect_b64 vcc, -1, 0
	s_add_u32 s38, s38, 1
	s_addc_u32 s39, s39, 0
	v_cmp_eq_u32_e64 s[6:7], s38, v0
	s_or_b64 s[12:13], s[6:7], s[12:13]
	v_cndmask_b32_e32 v76, 0, v76, vcc
	s_andn2_b64 exec, exec, s[12:13]
	s_cbranch_execnz .LBB307_158
; %bb.159:                              ;   in Loop: Header=BB307_12 Depth=1
	s_or_b64 exec, exec, s[12:13]
	s_branch .LBB307_9
.LBB307_160:
	s_endpgm
	.section	.rodata,"a",@progbits
	.p2align	6, 0x0
	.amdhsa_kernel _Z16wvSplitK_hf_big_I14__hip_bfloat16Li64ELi4ELi16ELi8ELi2ELi5EEviiiiiiPKT_S3_S3_PS1_ii
		.amdhsa_group_segment_fixed_size 65536
		.amdhsa_private_segment_fixed_size 252
		.amdhsa_kernarg_size 64
		.amdhsa_user_sgpr_count 2
		.amdhsa_user_sgpr_dispatch_ptr 0
		.amdhsa_user_sgpr_queue_ptr 0
		.amdhsa_user_sgpr_kernarg_segment_ptr 1
		.amdhsa_user_sgpr_dispatch_id 0
		.amdhsa_user_sgpr_kernarg_preload_length 0
		.amdhsa_user_sgpr_kernarg_preload_offset 0
		.amdhsa_user_sgpr_private_segment_size 0
		.amdhsa_uses_dynamic_stack 0
		.amdhsa_enable_private_segment 1
		.amdhsa_system_sgpr_workgroup_id_x 1
		.amdhsa_system_sgpr_workgroup_id_y 0
		.amdhsa_system_sgpr_workgroup_id_z 0
		.amdhsa_system_sgpr_workgroup_info 0
		.amdhsa_system_vgpr_workitem_id 1
		.amdhsa_next_free_vgpr 128
		.amdhsa_next_free_sgpr 60
		.amdhsa_accum_offset 128
		.amdhsa_reserve_vcc 1
		.amdhsa_float_round_mode_32 0
		.amdhsa_float_round_mode_16_64 0
		.amdhsa_float_denorm_mode_32 3
		.amdhsa_float_denorm_mode_16_64 3
		.amdhsa_dx10_clamp 1
		.amdhsa_ieee_mode 1
		.amdhsa_fp16_overflow 0
		.amdhsa_tg_split 0
		.amdhsa_exception_fp_ieee_invalid_op 0
		.amdhsa_exception_fp_denorm_src 0
		.amdhsa_exception_fp_ieee_div_zero 0
		.amdhsa_exception_fp_ieee_overflow 0
		.amdhsa_exception_fp_ieee_underflow 0
		.amdhsa_exception_fp_ieee_inexact 0
		.amdhsa_exception_int_div_zero 0
	.end_amdhsa_kernel
	.section	.text._Z16wvSplitK_hf_big_I14__hip_bfloat16Li64ELi4ELi16ELi8ELi2ELi5EEviiiiiiPKT_S3_S3_PS1_ii,"axG",@progbits,_Z16wvSplitK_hf_big_I14__hip_bfloat16Li64ELi4ELi16ELi8ELi2ELi5EEviiiiiiPKT_S3_S3_PS1_ii,comdat
.Lfunc_end307:
	.size	_Z16wvSplitK_hf_big_I14__hip_bfloat16Li64ELi4ELi16ELi8ELi2ELi5EEviiiiiiPKT_S3_S3_PS1_ii, .Lfunc_end307-_Z16wvSplitK_hf_big_I14__hip_bfloat16Li64ELi4ELi16ELi8ELi2ELi5EEviiiiiiPKT_S3_S3_PS1_ii
                                        ; -- End function
	.section	.AMDGPU.csdata,"",@progbits
; Kernel info:
; codeLenInByte = 10176
; NumSgprs: 66
; NumVgprs: 128
; NumAgprs: 0
; TotalNumVgprs: 128
; ScratchSize: 252
; MemoryBound: 0
; FloatMode: 240
; IeeeMode: 1
; LDSByteSize: 65536 bytes/workgroup (compile time only)
; SGPRBlocks: 8
; VGPRBlocks: 15
; NumSGPRsForWavesPerEU: 66
; NumVGPRsForWavesPerEU: 128
; AccumOffset: 128
; Occupancy: 4
; WaveLimiterHint : 0
; COMPUTE_PGM_RSRC2:SCRATCH_EN: 1
; COMPUTE_PGM_RSRC2:USER_SGPR: 2
; COMPUTE_PGM_RSRC2:TRAP_HANDLER: 0
; COMPUTE_PGM_RSRC2:TGID_X_EN: 1
; COMPUTE_PGM_RSRC2:TGID_Y_EN: 0
; COMPUTE_PGM_RSRC2:TGID_Z_EN: 0
; COMPUTE_PGM_RSRC2:TIDIG_COMP_CNT: 1
; COMPUTE_PGM_RSRC3_GFX90A:ACCUM_OFFSET: 31
; COMPUTE_PGM_RSRC3_GFX90A:TG_SPLIT: 0
	.text
	.p2align	2                               ; -- Begin function __ockl_fprintf_append_string_n
	.type	__ockl_fprintf_append_string_n,@function
__ockl_fprintf_append_string_n:         ; @__ockl_fprintf_append_string_n
; %bb.0:
	s_waitcnt vmcnt(0) expcnt(0) lgkmcnt(0)
	v_mov_b32_e32 v9, v3
	v_mov_b32_e32 v8, v2
	v_or_b32_e32 v2, 2, v0
	v_cmp_eq_u32_e32 vcc, 0, v6
	s_mov_b32 s18, 0
	s_mov_b64 s[2:3], 0
	v_cndmask_b32_e32 v0, v2, v0, vcc
	v_cmp_ne_u64_e32 vcc, 0, v[8:9]
	v_mbcnt_lo_u32_b32 v2, -1, 0
	s_and_saveexec_b64 s[0:1], vcc
	s_xor_b64 s[4:5], exec, s[0:1]
	s_cbranch_execz .LBB308_86
; %bb.1:
	s_load_dwordx2 s[6:7], s[8:9], 0x50
	v_and_b32_e32 v6, 2, v0
	v_mov_b32_e32 v31, 0
	v_and_b32_e32 v0, -3, v0
	v_mbcnt_hi_u32_b32 v32, -1, v2
	s_movk_i32 s19, 0xff1f
	v_mov_b32_e32 v12, 2
	v_mov_b32_e32 v13, 1
	s_branch .LBB308_3
.LBB308_2:                              ;   in Loop: Header=BB308_3 Depth=1
	s_or_b64 exec, exec, s[12:13]
	v_sub_co_u32_e32 v4, vcc, v4, v34
	v_lshl_add_u64 v[8:9], v[8:9], 0, v[34:35]
	s_nop 0
	v_subb_co_u32_e32 v5, vcc, v5, v35, vcc
	v_cmp_eq_u64_e32 vcc, 0, v[4:5]
	s_or_b64 s[2:3], vcc, s[2:3]
	s_andn2_b64 exec, exec, s[2:3]
	s_cbranch_execz .LBB308_85
.LBB308_3:                              ; =>This Loop Header: Depth=1
                                        ;     Child Loop BB308_6 Depth 2
                                        ;     Child Loop BB308_14 Depth 2
	;; [unrolled: 1-line block ×11, first 2 shown]
	v_cmp_gt_u64_e32 vcc, 56, v[4:5]
                                        ; implicit-def: $vgpr2_vgpr3
                                        ; implicit-def: $sgpr10
	s_nop 1
	v_cndmask_b32_e32 v35, 0, v5, vcc
	v_cndmask_b32_e32 v34, 56, v4, vcc
	v_cmp_gt_u64_e32 vcc, 8, v[4:5]
	s_and_saveexec_b64 s[0:1], vcc
	s_xor_b64 s[0:1], exec, s[0:1]
	s_cbranch_execz .LBB308_9
; %bb.4:                                ;   in Loop: Header=BB308_3 Depth=1
	s_mov_b64 s[12:13], 0
	v_cmp_ne_u64_e32 vcc, 0, v[4:5]
	s_waitcnt vmcnt(0)
	v_mov_b64_e32 v[2:3], 0
	s_and_saveexec_b64 s[10:11], vcc
	s_cbranch_execz .LBB308_8
; %bb.5:                                ;   in Loop: Header=BB308_3 Depth=1
	v_lshlrev_b64 v[10:11], 3, v[34:35]
	v_mov_b64_e32 v[2:3], 0
	v_mov_b64_e32 v[14:15], v[8:9]
	s_mov_b64 s[14:15], 0
.LBB308_6:                              ;   Parent Loop BB308_3 Depth=1
                                        ; =>  This Inner Loop Header: Depth=2
	flat_load_ubyte v7, v[14:15]
	v_mov_b32_e32 v17, s18
	v_lshl_add_u64 v[14:15], v[14:15], 0, 1
	s_waitcnt vmcnt(0) lgkmcnt(0)
	v_and_b32_e32 v16, 0xffff, v7
	v_lshlrev_b64 v[16:17], s14, v[16:17]
	s_add_u32 s14, s14, 8
	s_addc_u32 s15, s15, 0
	v_cmp_eq_u32_e32 vcc, s14, v10
	v_or_b32_e32 v3, v17, v3
	s_or_b64 s[12:13], vcc, s[12:13]
	v_or_b32_e32 v2, v16, v2
	s_andn2_b64 exec, exec, s[12:13]
	s_cbranch_execnz .LBB308_6
; %bb.7:                                ;   in Loop: Header=BB308_3 Depth=1
	s_or_b64 exec, exec, s[12:13]
.LBB308_8:                              ;   in Loop: Header=BB308_3 Depth=1
	s_or_b64 exec, exec, s[10:11]
	s_mov_b32 s10, 0
.LBB308_9:                              ;   in Loop: Header=BB308_3 Depth=1
	s_or_saveexec_b64 s[0:1], s[0:1]
	v_mov_b32_e32 v7, s10
	v_mov_b64_e32 v[10:11], v[8:9]
	s_xor_b64 exec, exec, s[0:1]
	s_cbranch_execz .LBB308_11
; %bb.10:                               ;   in Loop: Header=BB308_3 Depth=1
	s_waitcnt vmcnt(0)
	flat_load_dwordx2 v[2:3], v[8:9]
	v_add_u32_e32 v7, -8, v34
	s_waitcnt vmcnt(0) lgkmcnt(0)
	v_and_b32_e32 v10, 0xff, v3
	v_and_b32_e32 v11, 0xff00, v3
	;; [unrolled: 1-line block ×4, first 2 shown]
	v_or_b32_e32 v10, v10, v11
	v_or3_b32 v2, v2, 0, 0
	v_or3_b32 v3, v10, v14, v3
	v_lshl_add_u64 v[10:11], v[8:9], 0, 8
.LBB308_11:                             ;   in Loop: Header=BB308_3 Depth=1
	s_or_b64 exec, exec, s[0:1]
	v_cmp_gt_u32_e32 vcc, 8, v7
                                        ; implicit-def: $vgpr14_vgpr15
                                        ; implicit-def: $sgpr10
	s_and_saveexec_b64 s[0:1], vcc
	s_xor_b64 s[0:1], exec, s[0:1]
	s_cbranch_execz .LBB308_17
; %bb.12:                               ;   in Loop: Header=BB308_3 Depth=1
	v_cmp_ne_u32_e32 vcc, 0, v7
	v_mov_b64_e32 v[14:15], 0
	s_and_saveexec_b64 s[10:11], vcc
	s_cbranch_execz .LBB308_16
; %bb.13:                               ;   in Loop: Header=BB308_3 Depth=1
	s_mov_b64 s[12:13], 0
	v_mov_b64_e32 v[14:15], 0
	s_mov_b64 s[14:15], 0
	s_mov_b64 s[16:17], 0
.LBB308_14:                             ;   Parent Loop BB308_3 Depth=1
                                        ; =>  This Inner Loop Header: Depth=2
	v_lshl_add_u64 v[16:17], v[10:11], 0, s[16:17]
	flat_load_ubyte v16, v[16:17]
	s_add_u32 s16, s16, 1
	v_mov_b32_e32 v17, s18
	s_addc_u32 s17, s17, 0
	v_cmp_eq_u32_e32 vcc, s16, v7
	s_waitcnt vmcnt(0) lgkmcnt(0)
	v_and_b32_e32 v16, 0xffff, v16
	v_lshlrev_b64 v[16:17], s14, v[16:17]
	s_add_u32 s14, s14, 8
	s_addc_u32 s15, s15, 0
	v_or_b32_e32 v15, v17, v15
	s_or_b64 s[12:13], vcc, s[12:13]
	v_or_b32_e32 v14, v16, v14
	s_andn2_b64 exec, exec, s[12:13]
	s_cbranch_execnz .LBB308_14
; %bb.15:                               ;   in Loop: Header=BB308_3 Depth=1
	s_or_b64 exec, exec, s[12:13]
.LBB308_16:                             ;   in Loop: Header=BB308_3 Depth=1
	s_or_b64 exec, exec, s[10:11]
	s_mov_b32 s10, 0
                                        ; implicit-def: $vgpr7
.LBB308_17:                             ;   in Loop: Header=BB308_3 Depth=1
	s_or_saveexec_b64 s[0:1], s[0:1]
	v_mov_b32_e32 v18, s10
	s_xor_b64 exec, exec, s[0:1]
	s_cbranch_execz .LBB308_19
; %bb.18:                               ;   in Loop: Header=BB308_3 Depth=1
	flat_load_dwordx2 v[14:15], v[10:11]
	v_add_u32_e32 v18, -8, v7
	v_lshl_add_u64 v[10:11], v[10:11], 0, 8
	s_waitcnt vmcnt(0) lgkmcnt(0)
	v_and_b32_e32 v7, 0xff, v15
	v_and_b32_e32 v16, 0xff00, v15
	;; [unrolled: 1-line block ×4, first 2 shown]
	v_or_b32_e32 v7, v7, v16
	v_or3_b32 v14, v14, 0, 0
	v_or3_b32 v15, v7, v17, v15
.LBB308_19:                             ;   in Loop: Header=BB308_3 Depth=1
	s_or_b64 exec, exec, s[0:1]
	v_cmp_gt_u32_e32 vcc, 8, v18
                                        ; implicit-def: $sgpr10
	s_and_saveexec_b64 s[0:1], vcc
	s_xor_b64 s[0:1], exec, s[0:1]
	s_cbranch_execz .LBB308_25
; %bb.20:                               ;   in Loop: Header=BB308_3 Depth=1
	v_cmp_ne_u32_e32 vcc, 0, v18
	v_mov_b64_e32 v[16:17], 0
	s_and_saveexec_b64 s[10:11], vcc
	s_cbranch_execz .LBB308_24
; %bb.21:                               ;   in Loop: Header=BB308_3 Depth=1
	s_mov_b64 s[12:13], 0
	v_mov_b64_e32 v[16:17], 0
	s_mov_b64 s[14:15], 0
	s_mov_b64 s[16:17], 0
.LBB308_22:                             ;   Parent Loop BB308_3 Depth=1
                                        ; =>  This Inner Loop Header: Depth=2
	v_lshl_add_u64 v[20:21], v[10:11], 0, s[16:17]
	flat_load_ubyte v7, v[20:21]
	s_add_u32 s16, s16, 1
	v_mov_b32_e32 v21, s18
	s_addc_u32 s17, s17, 0
	v_cmp_eq_u32_e32 vcc, s16, v18
	s_waitcnt vmcnt(0) lgkmcnt(0)
	v_and_b32_e32 v20, 0xffff, v7
	v_lshlrev_b64 v[20:21], s14, v[20:21]
	s_add_u32 s14, s14, 8
	s_addc_u32 s15, s15, 0
	v_or_b32_e32 v17, v21, v17
	s_or_b64 s[12:13], vcc, s[12:13]
	v_or_b32_e32 v16, v20, v16
	s_andn2_b64 exec, exec, s[12:13]
	s_cbranch_execnz .LBB308_22
; %bb.23:                               ;   in Loop: Header=BB308_3 Depth=1
	s_or_b64 exec, exec, s[12:13]
.LBB308_24:                             ;   in Loop: Header=BB308_3 Depth=1
	s_or_b64 exec, exec, s[10:11]
	s_mov_b32 s10, 0
                                        ; implicit-def: $vgpr18
.LBB308_25:                             ;   in Loop: Header=BB308_3 Depth=1
	s_or_saveexec_b64 s[0:1], s[0:1]
	v_mov_b32_e32 v7, s10
	s_xor_b64 exec, exec, s[0:1]
	s_cbranch_execz .LBB308_27
; %bb.26:                               ;   in Loop: Header=BB308_3 Depth=1
	flat_load_dwordx2 v[16:17], v[10:11]
	v_add_u32_e32 v7, -8, v18
	v_lshl_add_u64 v[10:11], v[10:11], 0, 8
	s_waitcnt vmcnt(0) lgkmcnt(0)
	v_and_b32_e32 v18, 0xff, v17
	v_and_b32_e32 v19, 0xff00, v17
	;; [unrolled: 1-line block ×4, first 2 shown]
	v_or_b32_e32 v18, v18, v19
	v_or3_b32 v16, v16, 0, 0
	v_or3_b32 v17, v18, v20, v17
.LBB308_27:                             ;   in Loop: Header=BB308_3 Depth=1
	s_or_b64 exec, exec, s[0:1]
	v_cmp_gt_u32_e32 vcc, 8, v7
                                        ; implicit-def: $vgpr18_vgpr19
                                        ; implicit-def: $sgpr10
	s_and_saveexec_b64 s[0:1], vcc
	s_xor_b64 s[0:1], exec, s[0:1]
	s_cbranch_execz .LBB308_33
; %bb.28:                               ;   in Loop: Header=BB308_3 Depth=1
	v_cmp_ne_u32_e32 vcc, 0, v7
	v_mov_b64_e32 v[18:19], 0
	s_and_saveexec_b64 s[10:11], vcc
	s_cbranch_execz .LBB308_32
; %bb.29:                               ;   in Loop: Header=BB308_3 Depth=1
	s_mov_b64 s[12:13], 0
	v_mov_b64_e32 v[18:19], 0
	s_mov_b64 s[14:15], 0
	s_mov_b64 s[16:17], 0
.LBB308_30:                             ;   Parent Loop BB308_3 Depth=1
                                        ; =>  This Inner Loop Header: Depth=2
	v_lshl_add_u64 v[20:21], v[10:11], 0, s[16:17]
	flat_load_ubyte v20, v[20:21]
	s_add_u32 s16, s16, 1
	v_mov_b32_e32 v21, s18
	s_addc_u32 s17, s17, 0
	v_cmp_eq_u32_e32 vcc, s16, v7
	s_waitcnt vmcnt(0) lgkmcnt(0)
	v_and_b32_e32 v20, 0xffff, v20
	v_lshlrev_b64 v[20:21], s14, v[20:21]
	s_add_u32 s14, s14, 8
	s_addc_u32 s15, s15, 0
	v_or_b32_e32 v19, v21, v19
	s_or_b64 s[12:13], vcc, s[12:13]
	v_or_b32_e32 v18, v20, v18
	s_andn2_b64 exec, exec, s[12:13]
	s_cbranch_execnz .LBB308_30
; %bb.31:                               ;   in Loop: Header=BB308_3 Depth=1
	s_or_b64 exec, exec, s[12:13]
.LBB308_32:                             ;   in Loop: Header=BB308_3 Depth=1
	s_or_b64 exec, exec, s[10:11]
	s_mov_b32 s10, 0
                                        ; implicit-def: $vgpr7
.LBB308_33:                             ;   in Loop: Header=BB308_3 Depth=1
	s_or_saveexec_b64 s[0:1], s[0:1]
	v_mov_b32_e32 v22, s10
	s_xor_b64 exec, exec, s[0:1]
	s_cbranch_execz .LBB308_35
; %bb.34:                               ;   in Loop: Header=BB308_3 Depth=1
	flat_load_dwordx2 v[18:19], v[10:11]
	v_add_u32_e32 v22, -8, v7
	v_lshl_add_u64 v[10:11], v[10:11], 0, 8
	s_waitcnt vmcnt(0) lgkmcnt(0)
	v_and_b32_e32 v7, 0xff, v19
	v_and_b32_e32 v20, 0xff00, v19
	;; [unrolled: 1-line block ×4, first 2 shown]
	v_or_b32_e32 v7, v7, v20
	v_or3_b32 v18, v18, 0, 0
	v_or3_b32 v19, v7, v21, v19
.LBB308_35:                             ;   in Loop: Header=BB308_3 Depth=1
	s_or_b64 exec, exec, s[0:1]
	v_cmp_gt_u32_e32 vcc, 8, v22
                                        ; implicit-def: $sgpr10
	s_and_saveexec_b64 s[0:1], vcc
	s_xor_b64 s[0:1], exec, s[0:1]
	s_cbranch_execz .LBB308_41
; %bb.36:                               ;   in Loop: Header=BB308_3 Depth=1
	v_cmp_ne_u32_e32 vcc, 0, v22
	v_mov_b64_e32 v[20:21], 0
	s_and_saveexec_b64 s[10:11], vcc
	s_cbranch_execz .LBB308_40
; %bb.37:                               ;   in Loop: Header=BB308_3 Depth=1
	s_mov_b64 s[12:13], 0
	v_mov_b64_e32 v[20:21], 0
	s_mov_b64 s[14:15], 0
	s_mov_b64 s[16:17], 0
.LBB308_38:                             ;   Parent Loop BB308_3 Depth=1
                                        ; =>  This Inner Loop Header: Depth=2
	v_lshl_add_u64 v[24:25], v[10:11], 0, s[16:17]
	flat_load_ubyte v7, v[24:25]
	s_add_u32 s16, s16, 1
	v_mov_b32_e32 v25, s18
	s_addc_u32 s17, s17, 0
	v_cmp_eq_u32_e32 vcc, s16, v22
	s_waitcnt vmcnt(0) lgkmcnt(0)
	v_and_b32_e32 v24, 0xffff, v7
	v_lshlrev_b64 v[24:25], s14, v[24:25]
	s_add_u32 s14, s14, 8
	s_addc_u32 s15, s15, 0
	v_or_b32_e32 v21, v25, v21
	s_or_b64 s[12:13], vcc, s[12:13]
	v_or_b32_e32 v20, v24, v20
	s_andn2_b64 exec, exec, s[12:13]
	s_cbranch_execnz .LBB308_38
; %bb.39:                               ;   in Loop: Header=BB308_3 Depth=1
	s_or_b64 exec, exec, s[12:13]
.LBB308_40:                             ;   in Loop: Header=BB308_3 Depth=1
	s_or_b64 exec, exec, s[10:11]
	s_mov_b32 s10, 0
                                        ; implicit-def: $vgpr22
.LBB308_41:                             ;   in Loop: Header=BB308_3 Depth=1
	s_or_saveexec_b64 s[0:1], s[0:1]
	v_mov_b32_e32 v7, s10
	s_xor_b64 exec, exec, s[0:1]
	s_cbranch_execz .LBB308_43
; %bb.42:                               ;   in Loop: Header=BB308_3 Depth=1
	flat_load_dwordx2 v[20:21], v[10:11]
	v_add_u32_e32 v7, -8, v22
	v_lshl_add_u64 v[10:11], v[10:11], 0, 8
	s_waitcnt vmcnt(0) lgkmcnt(0)
	v_and_b32_e32 v22, 0xff, v21
	v_and_b32_e32 v23, 0xff00, v21
	;; [unrolled: 1-line block ×4, first 2 shown]
	v_or_b32_e32 v22, v22, v23
	v_or3_b32 v20, v20, 0, 0
	v_or3_b32 v21, v22, v24, v21
.LBB308_43:                             ;   in Loop: Header=BB308_3 Depth=1
	s_or_b64 exec, exec, s[0:1]
	v_cmp_gt_u32_e32 vcc, 8, v7
                                        ; implicit-def: $vgpr22_vgpr23
                                        ; implicit-def: $sgpr10
	s_and_saveexec_b64 s[0:1], vcc
	s_xor_b64 s[0:1], exec, s[0:1]
	s_cbranch_execz .LBB308_49
; %bb.44:                               ;   in Loop: Header=BB308_3 Depth=1
	v_cmp_ne_u32_e32 vcc, 0, v7
	v_mov_b64_e32 v[22:23], 0
	s_and_saveexec_b64 s[10:11], vcc
	s_cbranch_execz .LBB308_48
; %bb.45:                               ;   in Loop: Header=BB308_3 Depth=1
	s_mov_b64 s[12:13], 0
	v_mov_b64_e32 v[22:23], 0
	s_mov_b64 s[14:15], 0
	s_mov_b64 s[16:17], 0
.LBB308_46:                             ;   Parent Loop BB308_3 Depth=1
                                        ; =>  This Inner Loop Header: Depth=2
	v_lshl_add_u64 v[24:25], v[10:11], 0, s[16:17]
	flat_load_ubyte v24, v[24:25]
	s_add_u32 s16, s16, 1
	v_mov_b32_e32 v25, s18
	s_addc_u32 s17, s17, 0
	v_cmp_eq_u32_e32 vcc, s16, v7
	s_waitcnt vmcnt(0) lgkmcnt(0)
	v_and_b32_e32 v24, 0xffff, v24
	v_lshlrev_b64 v[24:25], s14, v[24:25]
	s_add_u32 s14, s14, 8
	s_addc_u32 s15, s15, 0
	v_or_b32_e32 v23, v25, v23
	s_or_b64 s[12:13], vcc, s[12:13]
	v_or_b32_e32 v22, v24, v22
	s_andn2_b64 exec, exec, s[12:13]
	s_cbranch_execnz .LBB308_46
; %bb.47:                               ;   in Loop: Header=BB308_3 Depth=1
	s_or_b64 exec, exec, s[12:13]
.LBB308_48:                             ;   in Loop: Header=BB308_3 Depth=1
	s_or_b64 exec, exec, s[10:11]
	s_mov_b32 s10, 0
                                        ; implicit-def: $vgpr7
.LBB308_49:                             ;   in Loop: Header=BB308_3 Depth=1
	s_or_saveexec_b64 s[0:1], s[0:1]
	v_mov_b32_e32 v26, s10
	s_xor_b64 exec, exec, s[0:1]
	s_cbranch_execz .LBB308_51
; %bb.50:                               ;   in Loop: Header=BB308_3 Depth=1
	flat_load_dwordx2 v[22:23], v[10:11]
	v_add_u32_e32 v26, -8, v7
	v_lshl_add_u64 v[10:11], v[10:11], 0, 8
	s_waitcnt vmcnt(0) lgkmcnt(0)
	v_and_b32_e32 v7, 0xff, v23
	v_and_b32_e32 v24, 0xff00, v23
	;; [unrolled: 1-line block ×4, first 2 shown]
	v_or_b32_e32 v7, v7, v24
	v_or3_b32 v22, v22, 0, 0
	v_or3_b32 v23, v7, v25, v23
.LBB308_51:                             ;   in Loop: Header=BB308_3 Depth=1
	s_or_b64 exec, exec, s[0:1]
	v_cmp_gt_u32_e32 vcc, 8, v26
	s_and_saveexec_b64 s[0:1], vcc
	s_xor_b64 s[0:1], exec, s[0:1]
	s_cbranch_execz .LBB308_57
; %bb.52:                               ;   in Loop: Header=BB308_3 Depth=1
	v_cmp_ne_u32_e32 vcc, 0, v26
	v_mov_b64_e32 v[24:25], 0
	s_and_saveexec_b64 s[10:11], vcc
	s_cbranch_execz .LBB308_56
; %bb.53:                               ;   in Loop: Header=BB308_3 Depth=1
	s_mov_b64 s[12:13], 0
	v_mov_b64_e32 v[24:25], 0
	s_mov_b64 s[14:15], 0
.LBB308_54:                             ;   Parent Loop BB308_3 Depth=1
                                        ; =>  This Inner Loop Header: Depth=2
	flat_load_ubyte v7, v[10:11]
	v_mov_b32_e32 v29, s18
	v_add_u32_e32 v26, -1, v26
	v_cmp_eq_u32_e32 vcc, 0, v26
	v_lshl_add_u64 v[10:11], v[10:11], 0, 1
	s_waitcnt vmcnt(0) lgkmcnt(0)
	v_and_b32_e32 v28, 0xffff, v7
	v_lshlrev_b64 v[28:29], s14, v[28:29]
	s_add_u32 s14, s14, 8
	s_addc_u32 s15, s15, 0
	v_or_b32_e32 v25, v29, v25
	s_or_b64 s[12:13], vcc, s[12:13]
	v_or_b32_e32 v24, v28, v24
	s_andn2_b64 exec, exec, s[12:13]
	s_cbranch_execnz .LBB308_54
; %bb.55:                               ;   in Loop: Header=BB308_3 Depth=1
	s_or_b64 exec, exec, s[12:13]
.LBB308_56:                             ;   in Loop: Header=BB308_3 Depth=1
	s_or_b64 exec, exec, s[10:11]
                                        ; implicit-def: $vgpr10_vgpr11
.LBB308_57:                             ;   in Loop: Header=BB308_3 Depth=1
	s_andn2_saveexec_b64 s[0:1], s[0:1]
	s_cbranch_execz .LBB308_59
; %bb.58:                               ;   in Loop: Header=BB308_3 Depth=1
	flat_load_dwordx2 v[10:11], v[10:11]
	s_waitcnt vmcnt(0) lgkmcnt(0)
	v_and_b32_e32 v7, 0xff, v11
	v_and_b32_e32 v24, 0xff00, v11
	;; [unrolled: 1-line block ×4, first 2 shown]
	v_or_b32_e32 v7, v7, v24
	v_or3_b32 v25, v7, v25, v11
	v_or3_b32 v24, v10, 0, 0
.LBB308_59:                             ;   in Loop: Header=BB308_3 Depth=1
	s_or_b64 exec, exec, s[0:1]
	v_readfirstlane_b32 s0, v32
	v_mov_b64_e32 v[10:11], 0
	s_nop 0
	v_cmp_eq_u32_e64 s[0:1], s0, v32
	s_and_saveexec_b64 s[10:11], s[0:1]
	s_cbranch_execz .LBB308_65
; %bb.60:                               ;   in Loop: Header=BB308_3 Depth=1
	s_waitcnt lgkmcnt(0)
	global_load_dwordx2 v[28:29], v31, s[6:7] offset:24 sc0 sc1
	s_waitcnt vmcnt(0)
	buffer_inv sc0 sc1
	global_load_dwordx2 v[10:11], v31, s[6:7] offset:40
	global_load_dwordx2 v[26:27], v31, s[6:7]
	s_waitcnt vmcnt(1)
	v_and_b32_e32 v7, v10, v28
	v_and_b32_e32 v10, v11, v29
	v_mul_lo_u32 v10, v10, 24
	v_mul_hi_u32 v11, v7, 24
	v_add_u32_e32 v11, v11, v10
	v_mul_lo_u32 v10, v7, 24
	s_waitcnt vmcnt(0)
	v_lshl_add_u64 v[10:11], v[26:27], 0, v[10:11]
	global_load_dwordx2 v[26:27], v[10:11], off sc0 sc1
	s_waitcnt vmcnt(0)
	global_atomic_cmpswap_x2 v[10:11], v31, v[26:29], s[6:7] offset:24 sc0 sc1
	s_waitcnt vmcnt(0)
	buffer_inv sc0 sc1
	v_cmp_ne_u64_e32 vcc, v[10:11], v[28:29]
	s_and_saveexec_b64 s[12:13], vcc
	s_cbranch_execz .LBB308_64
; %bb.61:                               ;   in Loop: Header=BB308_3 Depth=1
	s_mov_b64 s[14:15], 0
.LBB308_62:                             ;   Parent Loop BB308_3 Depth=1
                                        ; =>  This Inner Loop Header: Depth=2
	s_sleep 1
	global_load_dwordx2 v[26:27], v31, s[6:7] offset:40
	global_load_dwordx2 v[36:37], v31, s[6:7]
	v_mov_b64_e32 v[28:29], v[10:11]
	s_waitcnt vmcnt(1)
	v_and_b32_e32 v10, v26, v28
	s_waitcnt vmcnt(0)
	v_mad_u64_u32 v[10:11], s[16:17], v10, 24, v[36:37]
	v_and_b32_e32 v7, v27, v29
	v_mov_b32_e32 v26, v11
	v_mad_u64_u32 v[26:27], s[16:17], v7, 24, v[26:27]
	v_mov_b32_e32 v11, v26
	global_load_dwordx2 v[26:27], v[10:11], off sc0 sc1
	s_waitcnt vmcnt(0)
	global_atomic_cmpswap_x2 v[10:11], v31, v[26:29], s[6:7] offset:24 sc0 sc1
	s_waitcnt vmcnt(0)
	buffer_inv sc0 sc1
	v_cmp_eq_u64_e32 vcc, v[10:11], v[28:29]
	s_or_b64 s[14:15], vcc, s[14:15]
	s_andn2_b64 exec, exec, s[14:15]
	s_cbranch_execnz .LBB308_62
; %bb.63:                               ;   in Loop: Header=BB308_3 Depth=1
	s_or_b64 exec, exec, s[14:15]
.LBB308_64:                             ;   in Loop: Header=BB308_3 Depth=1
	s_or_b64 exec, exec, s[12:13]
.LBB308_65:                             ;   in Loop: Header=BB308_3 Depth=1
	s_or_b64 exec, exec, s[10:11]
	s_waitcnt lgkmcnt(0)
	global_load_dwordx2 v[36:37], v31, s[6:7] offset:40
	global_load_dwordx4 v[26:29], v31, s[6:7]
	v_readfirstlane_b32 s10, v10
	v_readfirstlane_b32 s11, v11
	s_mov_b64 s[12:13], exec
	s_waitcnt vmcnt(1)
	v_readfirstlane_b32 s14, v36
	v_readfirstlane_b32 s15, v37
	s_and_b64 s[14:15], s[10:11], s[14:15]
	s_mul_i32 s16, s15, 24
	s_mul_hi_u32 s17, s14, 24
	s_add_i32 s17, s17, s16
	s_mul_i32 s16, s14, 24
	s_waitcnt vmcnt(0)
	v_lshl_add_u64 v[36:37], v[26:27], 0, s[16:17]
	s_and_saveexec_b64 s[16:17], s[0:1]
	s_cbranch_execz .LBB308_67
; %bb.66:                               ;   in Loop: Header=BB308_3 Depth=1
	v_mov_b64_e32 v[10:11], s[12:13]
	global_store_dwordx4 v[36:37], v[10:13], off offset:8
.LBB308_67:                             ;   in Loop: Header=BB308_3 Depth=1
	s_or_b64 exec, exec, s[16:17]
	s_lshl_b64 s[12:13], s[14:15], 12
	v_or_b32_e32 v7, 0, v1
	v_cmp_lt_u64_e32 vcc, 56, v[4:5]
	v_lshl_add_u64 v[10:11], v[28:29], 0, s[12:13]
	v_or_b32_e32 v28, v0, v6
	v_cndmask_b32_e32 v1, v7, v1, vcc
	v_lshl_add_u32 v7, v34, 2, 28
	v_cndmask_b32_e32 v0, v28, v0, vcc
	v_and_b32_e32 v7, 0x1e0, v7
	v_and_or_b32 v0, v0, s19, v7
	v_lshlrev_b32_e32 v30, 6, v32
	v_readfirstlane_b32 s12, v10
	v_readfirstlane_b32 s13, v11
	s_nop 4
	global_store_dwordx4 v30, v[0:3], s[12:13]
	global_store_dwordx4 v30, v[14:17], s[12:13] offset:16
	global_store_dwordx4 v30, v[18:21], s[12:13] offset:32
	global_store_dwordx4 v30, v[22:25], s[12:13] offset:48
	s_and_saveexec_b64 s[12:13], s[0:1]
	s_cbranch_execz .LBB308_75
; %bb.68:                               ;   in Loop: Header=BB308_3 Depth=1
	global_load_dwordx2 v[18:19], v31, s[6:7] offset:32 sc0 sc1
	global_load_dwordx2 v[0:1], v31, s[6:7] offset:40
	v_mov_b32_e32 v16, s10
	v_mov_b32_e32 v17, s11
	s_waitcnt vmcnt(0)
	v_readfirstlane_b32 s14, v0
	v_readfirstlane_b32 s15, v1
	s_and_b64 s[14:15], s[14:15], s[10:11]
	s_mul_i32 s15, s15, 24
	s_mul_hi_u32 s16, s14, 24
	s_mul_i32 s14, s14, 24
	s_add_i32 s15, s16, s15
	v_lshl_add_u64 v[14:15], v[26:27], 0, s[14:15]
	global_store_dwordx2 v[14:15], v[18:19], off
	buffer_wbl2 sc0 sc1
	s_waitcnt vmcnt(0)
	global_atomic_cmpswap_x2 v[2:3], v31, v[16:19], s[6:7] offset:32 sc0 sc1
	s_waitcnt vmcnt(0)
	v_cmp_ne_u64_e32 vcc, v[2:3], v[18:19]
	s_and_saveexec_b64 s[14:15], vcc
	s_cbranch_execz .LBB308_71
; %bb.69:                               ;   in Loop: Header=BB308_3 Depth=1
	s_mov_b64 s[16:17], 0
.LBB308_70:                             ;   Parent Loop BB308_3 Depth=1
                                        ; =>  This Inner Loop Header: Depth=2
	s_sleep 1
	global_store_dwordx2 v[14:15], v[2:3], off
	v_mov_b32_e32 v0, s10
	v_mov_b32_e32 v1, s11
	buffer_wbl2 sc0 sc1
	s_waitcnt vmcnt(0)
	global_atomic_cmpswap_x2 v[0:1], v31, v[0:3], s[6:7] offset:32 sc0 sc1
	s_waitcnt vmcnt(0)
	v_cmp_eq_u64_e32 vcc, v[0:1], v[2:3]
	s_or_b64 s[16:17], vcc, s[16:17]
	v_mov_b64_e32 v[2:3], v[0:1]
	s_andn2_b64 exec, exec, s[16:17]
	s_cbranch_execnz .LBB308_70
.LBB308_71:                             ;   in Loop: Header=BB308_3 Depth=1
	s_or_b64 exec, exec, s[14:15]
	global_load_dwordx2 v[0:1], v31, s[6:7] offset:16
	s_mov_b64 s[16:17], exec
	v_mbcnt_lo_u32_b32 v2, s16, 0
	v_mbcnt_hi_u32_b32 v2, s17, v2
	v_cmp_eq_u32_e32 vcc, 0, v2
	s_and_saveexec_b64 s[14:15], vcc
	s_cbranch_execz .LBB308_73
; %bb.72:                               ;   in Loop: Header=BB308_3 Depth=1
	s_bcnt1_i32_b64 s16, s[16:17]
	v_mov_b32_e32 v2, s16
	v_mov_b32_e32 v3, v31
	buffer_wbl2 sc0 sc1
	s_waitcnt vmcnt(0)
	global_atomic_add_x2 v[0:1], v[2:3], off offset:8 sc1
.LBB308_73:                             ;   in Loop: Header=BB308_3 Depth=1
	s_or_b64 exec, exec, s[14:15]
	s_waitcnt vmcnt(0)
	global_load_dwordx2 v[2:3], v[0:1], off offset:16
	s_waitcnt vmcnt(0)
	v_cmp_eq_u64_e32 vcc, 0, v[2:3]
	s_cbranch_vccnz .LBB308_75
; %bb.74:                               ;   in Loop: Header=BB308_3 Depth=1
	global_load_dword v0, v[0:1], off offset:24
	v_mov_b32_e32 v1, v31
	buffer_wbl2 sc0 sc1
	s_waitcnt vmcnt(0)
	global_store_dwordx2 v[2:3], v[0:1], off sc0 sc1
	v_and_b32_e32 v0, 0xffffff, v0
	s_nop 0
	v_readfirstlane_b32 m0, v0
	s_sendmsg sendmsg(MSG_INTERRUPT)
.LBB308_75:                             ;   in Loop: Header=BB308_3 Depth=1
	s_or_b64 exec, exec, s[12:13]
	v_lshl_add_u64 v[0:1], v[10:11], 0, v[30:31]
	s_branch .LBB308_79
.LBB308_76:                             ;   in Loop: Header=BB308_79 Depth=2
	s_or_b64 exec, exec, s[12:13]
	v_readfirstlane_b32 s12, v2
	s_cmp_eq_u32 s12, 0
	s_cbranch_scc1 .LBB308_78
; %bb.77:                               ;   in Loop: Header=BB308_79 Depth=2
	s_sleep 1
	s_cbranch_execnz .LBB308_79
	s_branch .LBB308_81
.LBB308_78:                             ;   in Loop: Header=BB308_3 Depth=1
	s_branch .LBB308_81
.LBB308_79:                             ;   Parent Loop BB308_3 Depth=1
                                        ; =>  This Inner Loop Header: Depth=2
	v_mov_b32_e32 v2, 1
	s_and_saveexec_b64 s[12:13], s[0:1]
	s_cbranch_execz .LBB308_76
; %bb.80:                               ;   in Loop: Header=BB308_79 Depth=2
	global_load_dword v2, v[36:37], off offset:20 sc0 sc1
	s_waitcnt vmcnt(0)
	buffer_inv sc0 sc1
	v_and_b32_e32 v2, 1, v2
	s_branch .LBB308_76
.LBB308_81:                             ;   in Loop: Header=BB308_3 Depth=1
	global_load_dwordx4 v[0:3], v[0:1], off
	s_and_saveexec_b64 s[12:13], s[0:1]
	s_cbranch_execz .LBB308_2
; %bb.82:                               ;   in Loop: Header=BB308_3 Depth=1
	global_load_dwordx2 v[2:3], v31, s[6:7] offset:40
	global_load_dwordx2 v[10:11], v31, s[6:7] offset:24 sc0 sc1
	global_load_dwordx2 v[18:19], v31, s[6:7]
	s_waitcnt vmcnt(2)
	v_lshl_add_u64 v[14:15], v[2:3], 0, 1
	v_lshl_add_u64 v[20:21], v[14:15], 0, s[10:11]
	v_cmp_eq_u64_e32 vcc, 0, v[20:21]
	s_waitcnt vmcnt(1)
	v_mov_b32_e32 v16, v10
	v_mov_b32_e32 v17, v11
	v_cndmask_b32_e32 v15, v21, v15, vcc
	v_cndmask_b32_e32 v14, v20, v14, vcc
	v_and_b32_e32 v3, v15, v3
	v_and_b32_e32 v2, v14, v2
	v_mul_lo_u32 v3, v3, 24
	v_mul_hi_u32 v7, v2, 24
	v_mul_lo_u32 v2, v2, 24
	v_add_u32_e32 v3, v7, v3
	s_waitcnt vmcnt(0)
	v_lshl_add_u64 v[2:3], v[18:19], 0, v[2:3]
	global_store_dwordx2 v[2:3], v[10:11], off
	buffer_wbl2 sc0 sc1
	s_waitcnt vmcnt(0)
	global_atomic_cmpswap_x2 v[16:17], v31, v[14:17], s[6:7] offset:24 sc0 sc1
	s_waitcnt vmcnt(0)
	v_cmp_ne_u64_e32 vcc, v[16:17], v[10:11]
	s_and_b64 exec, exec, vcc
	s_cbranch_execz .LBB308_2
; %bb.83:                               ;   in Loop: Header=BB308_3 Depth=1
	s_mov_b64 s[0:1], 0
.LBB308_84:                             ;   Parent Loop BB308_3 Depth=1
                                        ; =>  This Inner Loop Header: Depth=2
	s_sleep 1
	global_store_dwordx2 v[2:3], v[16:17], off
	buffer_wbl2 sc0 sc1
	s_waitcnt vmcnt(0)
	global_atomic_cmpswap_x2 v[10:11], v31, v[14:17], s[6:7] offset:24 sc0 sc1
	s_waitcnt vmcnt(0)
	v_cmp_eq_u64_e32 vcc, v[10:11], v[16:17]
	s_or_b64 s[0:1], vcc, s[0:1]
	v_mov_b64_e32 v[16:17], v[10:11]
	s_andn2_b64 exec, exec, s[0:1]
	s_cbranch_execnz .LBB308_84
	s_branch .LBB308_2
.LBB308_85:
	s_or_b64 exec, exec, s[2:3]
                                        ; implicit-def: $vgpr0
                                        ; implicit-def: $vgpr1
                                        ; implicit-def: $vgpr2
.LBB308_86:
	s_andn2_saveexec_b64 s[2:3], s[4:5]
	s_cbranch_execz .LBB308_109
; %bb.87:
	s_load_dwordx2 s[4:5], s[8:9], 0x50
	s_waitcnt vmcnt(0)
	v_mbcnt_hi_u32_b32 v3, -1, v2
	v_mov_b64_e32 v[8:9], 0
	v_readfirstlane_b32 s0, v3
	s_nop 1
	v_cmp_eq_u32_e64 s[0:1], s0, v3
	s_and_saveexec_b64 s[6:7], s[0:1]
	s_cbranch_execz .LBB308_93
; %bb.88:
	v_mov_b32_e32 v2, 0
	s_waitcnt lgkmcnt(0)
	global_load_dwordx2 v[6:7], v2, s[4:5] offset:24 sc0 sc1
	s_waitcnt vmcnt(0)
	buffer_inv sc0 sc1
	global_load_dwordx2 v[4:5], v2, s[4:5] offset:40
	global_load_dwordx2 v[8:9], v2, s[4:5]
	s_waitcnt vmcnt(1)
	v_and_b32_e32 v4, v4, v6
	v_and_b32_e32 v5, v5, v7
	v_mul_lo_u32 v5, v5, 24
	v_mul_hi_u32 v10, v4, 24
	v_add_u32_e32 v5, v10, v5
	v_mul_lo_u32 v4, v4, 24
	s_waitcnt vmcnt(0)
	v_lshl_add_u64 v[4:5], v[8:9], 0, v[4:5]
	global_load_dwordx2 v[4:5], v[4:5], off sc0 sc1
	s_waitcnt vmcnt(0)
	global_atomic_cmpswap_x2 v[8:9], v2, v[4:7], s[4:5] offset:24 sc0 sc1
	s_waitcnt vmcnt(0)
	buffer_inv sc0 sc1
	v_cmp_ne_u64_e32 vcc, v[8:9], v[6:7]
	s_and_saveexec_b64 s[8:9], vcc
	s_cbranch_execz .LBB308_92
; %bb.89:
	s_mov_b64 s[10:11], 0
.LBB308_90:                             ; =>This Inner Loop Header: Depth=1
	s_sleep 1
	global_load_dwordx2 v[4:5], v2, s[4:5] offset:40
	global_load_dwordx2 v[10:11], v2, s[4:5]
	v_mov_b64_e32 v[6:7], v[8:9]
	s_waitcnt vmcnt(1)
	v_and_b32_e32 v4, v4, v6
	v_and_b32_e32 v9, v5, v7
	s_waitcnt vmcnt(0)
	v_mad_u64_u32 v[4:5], s[12:13], v4, 24, v[10:11]
	v_mov_b32_e32 v8, v5
	v_mad_u64_u32 v[8:9], s[12:13], v9, 24, v[8:9]
	v_mov_b32_e32 v5, v8
	global_load_dwordx2 v[4:5], v[4:5], off sc0 sc1
	s_waitcnt vmcnt(0)
	global_atomic_cmpswap_x2 v[8:9], v2, v[4:7], s[4:5] offset:24 sc0 sc1
	s_waitcnt vmcnt(0)
	buffer_inv sc0 sc1
	v_cmp_eq_u64_e32 vcc, v[8:9], v[6:7]
	s_or_b64 s[10:11], vcc, s[10:11]
	s_andn2_b64 exec, exec, s[10:11]
	s_cbranch_execnz .LBB308_90
; %bb.91:
	s_or_b64 exec, exec, s[10:11]
.LBB308_92:
	s_or_b64 exec, exec, s[8:9]
.LBB308_93:
	s_or_b64 exec, exec, s[6:7]
	v_mov_b32_e32 v2, 0
	s_waitcnt lgkmcnt(0)
	global_load_dwordx2 v[10:11], v2, s[4:5] offset:40
	global_load_dwordx4 v[4:7], v2, s[4:5]
	v_readfirstlane_b32 s6, v8
	v_readfirstlane_b32 s7, v9
	s_mov_b64 s[8:9], exec
	s_waitcnt vmcnt(1)
	v_readfirstlane_b32 s10, v10
	v_readfirstlane_b32 s11, v11
	s_and_b64 s[10:11], s[6:7], s[10:11]
	s_mul_i32 s12, s11, 24
	s_mul_hi_u32 s13, s10, 24
	s_add_i32 s13, s13, s12
	s_mul_i32 s12, s10, 24
	s_waitcnt vmcnt(0)
	v_lshl_add_u64 v[8:9], v[4:5], 0, s[12:13]
	s_and_saveexec_b64 s[12:13], s[0:1]
	s_cbranch_execz .LBB308_95
; %bb.94:
	v_mov_b64_e32 v[10:11], s[8:9]
	v_mov_b32_e32 v12, 2
	v_mov_b32_e32 v13, 1
	global_store_dwordx4 v[8:9], v[10:13], off offset:8
.LBB308_95:
	s_or_b64 exec, exec, s[12:13]
	s_lshl_b64 s[8:9], s[10:11], 12
	v_lshl_add_u64 v[6:7], v[6:7], 0, s[8:9]
	s_movk_i32 s8, 0xff1f
	v_and_or_b32 v0, v0, s8, 32
	s_mov_b32 s8, 0
	v_lshlrev_b32_e32 v10, 6, v3
	v_mov_b32_e32 v3, v2
	v_readfirstlane_b32 s12, v6
	v_readfirstlane_b32 s13, v7
	s_mov_b32 s9, s8
	s_mov_b32 s10, s8
	;; [unrolled: 1-line block ×3, first 2 shown]
	s_nop 1
	global_store_dwordx4 v10, v[0:3], s[12:13]
	s_nop 1
	v_mov_b64_e32 v[0:1], s[8:9]
	v_mov_b64_e32 v[2:3], s[10:11]
	global_store_dwordx4 v10, v[0:3], s[12:13] offset:16
	global_store_dwordx4 v10, v[0:3], s[12:13] offset:32
	;; [unrolled: 1-line block ×3, first 2 shown]
	s_and_saveexec_b64 s[8:9], s[0:1]
	s_cbranch_execz .LBB308_103
; %bb.96:
	v_mov_b32_e32 v6, 0
	global_load_dwordx2 v[12:13], v6, s[4:5] offset:32 sc0 sc1
	global_load_dwordx2 v[0:1], v6, s[4:5] offset:40
	v_mov_b32_e32 v10, s6
	v_mov_b32_e32 v11, s7
	s_waitcnt vmcnt(0)
	v_and_b32_e32 v0, s6, v0
	v_and_b32_e32 v1, s7, v1
	v_mul_lo_u32 v1, v1, 24
	v_mul_hi_u32 v2, v0, 24
	v_mul_lo_u32 v0, v0, 24
	v_add_u32_e32 v1, v2, v1
	v_lshl_add_u64 v[4:5], v[4:5], 0, v[0:1]
	global_store_dwordx2 v[4:5], v[12:13], off
	buffer_wbl2 sc0 sc1
	s_waitcnt vmcnt(0)
	global_atomic_cmpswap_x2 v[2:3], v6, v[10:13], s[4:5] offset:32 sc0 sc1
	s_waitcnt vmcnt(0)
	v_cmp_ne_u64_e32 vcc, v[2:3], v[12:13]
	s_and_saveexec_b64 s[10:11], vcc
	s_cbranch_execz .LBB308_99
; %bb.97:
	s_mov_b64 s[12:13], 0
.LBB308_98:                             ; =>This Inner Loop Header: Depth=1
	s_sleep 1
	global_store_dwordx2 v[4:5], v[2:3], off
	v_mov_b32_e32 v0, s6
	v_mov_b32_e32 v1, s7
	buffer_wbl2 sc0 sc1
	s_waitcnt vmcnt(0)
	global_atomic_cmpswap_x2 v[0:1], v6, v[0:3], s[4:5] offset:32 sc0 sc1
	s_waitcnt vmcnt(0)
	v_cmp_eq_u64_e32 vcc, v[0:1], v[2:3]
	s_or_b64 s[12:13], vcc, s[12:13]
	v_mov_b64_e32 v[2:3], v[0:1]
	s_andn2_b64 exec, exec, s[12:13]
	s_cbranch_execnz .LBB308_98
.LBB308_99:
	s_or_b64 exec, exec, s[10:11]
	v_mov_b32_e32 v3, 0
	global_load_dwordx2 v[0:1], v3, s[4:5] offset:16
	s_mov_b64 s[10:11], exec
	v_mbcnt_lo_u32_b32 v2, s10, 0
	v_mbcnt_hi_u32_b32 v2, s11, v2
	v_cmp_eq_u32_e32 vcc, 0, v2
	s_and_saveexec_b64 s[12:13], vcc
	s_cbranch_execz .LBB308_101
; %bb.100:
	s_bcnt1_i32_b64 s10, s[10:11]
	v_mov_b32_e32 v2, s10
	buffer_wbl2 sc0 sc1
	s_waitcnt vmcnt(0)
	global_atomic_add_x2 v[0:1], v[2:3], off offset:8 sc1
.LBB308_101:
	s_or_b64 exec, exec, s[12:13]
	s_waitcnt vmcnt(0)
	global_load_dwordx2 v[2:3], v[0:1], off offset:16
	s_waitcnt vmcnt(0)
	v_cmp_eq_u64_e32 vcc, 0, v[2:3]
	s_cbranch_vccnz .LBB308_103
; %bb.102:
	global_load_dword v0, v[0:1], off offset:24
	v_mov_b32_e32 v1, 0
	buffer_wbl2 sc0 sc1
	s_waitcnt vmcnt(0)
	global_store_dwordx2 v[2:3], v[0:1], off sc0 sc1
	v_and_b32_e32 v0, 0xffffff, v0
	s_nop 0
	v_readfirstlane_b32 m0, v0
	s_sendmsg sendmsg(MSG_INTERRUPT)
.LBB308_103:
	s_or_b64 exec, exec, s[8:9]
	s_branch .LBB308_107
.LBB308_104:                            ;   in Loop: Header=BB308_107 Depth=1
	s_or_b64 exec, exec, s[8:9]
	v_readfirstlane_b32 s8, v0
	s_cmp_eq_u32 s8, 0
	s_cbranch_scc1 .LBB308_106
; %bb.105:                              ;   in Loop: Header=BB308_107 Depth=1
	s_sleep 1
	s_cbranch_execnz .LBB308_107
	s_branch .LBB308_110
.LBB308_106:
	s_branch .LBB308_110
.LBB308_107:                            ; =>This Inner Loop Header: Depth=1
	v_mov_b32_e32 v0, 1
	s_and_saveexec_b64 s[8:9], s[0:1]
	s_cbranch_execz .LBB308_104
; %bb.108:                              ;   in Loop: Header=BB308_107 Depth=1
	global_load_dword v0, v[8:9], off offset:20 sc0 sc1
	s_waitcnt vmcnt(0)
	buffer_inv sc0 sc1
	v_and_b32_e32 v0, 1, v0
	s_branch .LBB308_104
.LBB308_109:
	s_or_b64 exec, exec, s[2:3]
	s_waitcnt vmcnt(0) lgkmcnt(0)
	s_setpc_b64 s[30:31]
.LBB308_110:
	s_and_saveexec_b64 s[8:9], s[0:1]
	s_cbranch_execz .LBB308_113
; %bb.111:
	v_mov_b32_e32 v6, 0
	global_load_dwordx2 v[4:5], v6, s[4:5] offset:40
	global_load_dwordx2 v[8:9], v6, s[4:5] offset:24 sc0 sc1
	global_load_dwordx2 v[10:11], v6, s[4:5]
	s_mov_b64 s[0:1], 0
	s_waitcnt vmcnt(2)
	v_lshl_add_u64 v[0:1], v[4:5], 0, 1
	v_lshl_add_u64 v[12:13], v[0:1], 0, s[6:7]
	v_cmp_eq_u64_e32 vcc, 0, v[12:13]
	s_waitcnt vmcnt(1)
	v_mov_b32_e32 v2, v8
	v_cndmask_b32_e32 v1, v13, v1, vcc
	v_cndmask_b32_e32 v0, v12, v0, vcc
	v_and_b32_e32 v3, v1, v5
	v_and_b32_e32 v4, v0, v4
	v_mul_lo_u32 v3, v3, 24
	v_mul_hi_u32 v5, v4, 24
	v_mul_lo_u32 v4, v4, 24
	v_add_u32_e32 v5, v5, v3
	s_waitcnt vmcnt(0)
	v_lshl_add_u64 v[4:5], v[10:11], 0, v[4:5]
	global_store_dwordx2 v[4:5], v[8:9], off
	v_mov_b32_e32 v3, v9
	buffer_wbl2 sc0 sc1
	s_waitcnt vmcnt(0)
	global_atomic_cmpswap_x2 v[2:3], v6, v[0:3], s[4:5] offset:24 sc0 sc1
	s_waitcnt vmcnt(0)
	v_cmp_ne_u64_e32 vcc, v[2:3], v[8:9]
	s_and_b64 exec, exec, vcc
	s_cbranch_execz .LBB308_113
.LBB308_112:                            ; =>This Inner Loop Header: Depth=1
	s_sleep 1
	global_store_dwordx2 v[4:5], v[2:3], off
	buffer_wbl2 sc0 sc1
	s_waitcnt vmcnt(0)
	global_atomic_cmpswap_x2 v[8:9], v6, v[0:3], s[4:5] offset:24 sc0 sc1
	s_waitcnt vmcnt(0)
	v_cmp_eq_u64_e32 vcc, v[8:9], v[2:3]
	s_or_b64 s[0:1], vcc, s[0:1]
	v_mov_b64_e32 v[2:3], v[8:9]
	s_andn2_b64 exec, exec, s[0:1]
	s_cbranch_execnz .LBB308_112
.LBB308_113:
	s_or_b64 exec, exec, s[8:9]
	s_or_b64 exec, exec, s[2:3]
	s_waitcnt vmcnt(0) lgkmcnt(0)
	s_setpc_b64 s[30:31]
.Lfunc_end308:
	.size	__ockl_fprintf_append_string_n, .Lfunc_end308-__ockl_fprintf_append_string_n
                                        ; -- End function
	.section	.AMDGPU.csdata,"",@progbits
; Function info:
; codeLenInByte = 4188
; NumSgprs: 38
; NumVgprs: 38
; NumAgprs: 0
; TotalNumVgprs: 38
; ScratchSize: 0
; MemoryBound: 0
	.text
	.p2align	2                               ; -- Begin function __assert_fail
	.type	__assert_fail,@function
__assert_fail:                          ; @__assert_fail
; %bb.0:
	s_waitcnt vmcnt(0) expcnt(0) lgkmcnt(0)
	s_mov_b32 s20, s33
	s_mov_b32 s33, s32
	s_xor_saveexec_b64 s[0:1], -1
	scratch_store_dword off, v39, s33 offset:48 ; 4-byte Folded Spill
	s_mov_b64 exec, s[0:1]
	v_writelane_b32 v39, s30, 0
	s_add_i32 s32, s32, 64
	s_nop 0
	v_writelane_b32 v39, s31, 1
	s_getpc_b64 s[0:1]
	s_add_u32 s0, s0, __const.__assert_fail.fmt@rel32@lo+4
	s_addc_u32 s1, s1, __const.__assert_fail.fmt@rel32@hi+12
	s_load_dwordx4 s[0:3], s[0:1], 0x0
	s_getpc_b64 s[4:5]
	s_add_u32 s4, s4, __const.__assert_fail.fmt@rel32@lo+20
	s_addc_u32 s5, s5, __const.__assert_fail.fmt@rel32@hi+28
	s_load_dwordx4 s[4:7], s[4:5], 0x0
	v_mov_b32_e32 v4, v0
	v_mov_b32_e32 v0, 0xa2e
	;; [unrolled: 1-line block ×3, first 2 shown]
	scratch_store_short off, v0, s33 offset:44
	s_waitcnt lgkmcnt(0)
	v_mov_b64_e32 v[0:1], s[0:1]
	v_mov_b64_e32 v[2:3], s[2:3]
	scratch_store_dwordx4 off, v[0:3], s33
	s_load_dwordx2 s[2:3], s[8:9], 0x50
	v_mov_b32_e32 v8, 0
	v_mov_b64_e32 v[0:1], s[4:5]
	v_mov_b64_e32 v[2:3], s[6:7]
	scratch_store_dwordx4 off, v[0:3], s33 offset:16
	v_mov_b64_e32 v[6:7], 0
	scratch_store_byte off, v8, s33 offset:46
	v_mov_b32_e32 v0, 0x73256020
	v_mov_b32_e32 v1, 0x61662027
	;; [unrolled: 1-line block ×3, first 2 shown]
	scratch_store_dwordx3 off, v[0:2], s33 offset:32
	s_nop 1
	v_mbcnt_lo_u32_b32 v0, -1, 0
	v_mbcnt_hi_u32_b32 v38, -1, v0
	s_nop 0
	v_readfirstlane_b32 s0, v38
	s_nop 1
	v_cmp_eq_u32_e64 s[0:1], s0, v38
	s_and_saveexec_b64 s[4:5], s[0:1]
	s_cbranch_execz .LBB309_6
; %bb.1:
	s_waitcnt lgkmcnt(0)
	global_load_dwordx2 v[2:3], v8, s[2:3] offset:24 sc0 sc1
	s_waitcnt vmcnt(0)
	buffer_inv sc0 sc1
	global_load_dwordx2 v[0:1], v8, s[2:3] offset:40
	global_load_dwordx2 v[6:7], v8, s[2:3]
	s_waitcnt vmcnt(1)
	v_and_b32_e32 v0, v0, v2
	v_and_b32_e32 v1, v1, v3
	v_mul_lo_u32 v1, v1, 24
	v_mul_hi_u32 v9, v0, 24
	v_add_u32_e32 v1, v9, v1
	v_mul_lo_u32 v0, v0, 24
	s_waitcnt vmcnt(0)
	v_lshl_add_u64 v[0:1], v[6:7], 0, v[0:1]
	global_load_dwordx2 v[0:1], v[0:1], off sc0 sc1
	s_waitcnt vmcnt(0)
	global_atomic_cmpswap_x2 v[6:7], v8, v[0:3], s[2:3] offset:24 sc0 sc1
	s_waitcnt vmcnt(0)
	buffer_inv sc0 sc1
	v_cmp_ne_u64_e32 vcc, v[6:7], v[2:3]
	s_and_saveexec_b64 s[6:7], vcc
	s_cbranch_execz .LBB309_5
; %bb.2:
	s_mov_b64 s[10:11], 0
.LBB309_3:                              ; =>This Inner Loop Header: Depth=1
	s_sleep 1
	global_load_dwordx2 v[0:1], v8, s[2:3] offset:40
	global_load_dwordx2 v[10:11], v8, s[2:3]
	v_mov_b64_e32 v[2:3], v[6:7]
	s_waitcnt vmcnt(1)
	v_and_b32_e32 v0, v0, v2
	v_and_b32_e32 v7, v1, v3
	s_waitcnt vmcnt(0)
	v_mad_u64_u32 v[0:1], s[12:13], v0, 24, v[10:11]
	v_mov_b32_e32 v6, v1
	v_mad_u64_u32 v[6:7], s[12:13], v7, 24, v[6:7]
	v_mov_b32_e32 v1, v6
	global_load_dwordx2 v[0:1], v[0:1], off sc0 sc1
	s_waitcnt vmcnt(0)
	global_atomic_cmpswap_x2 v[6:7], v8, v[0:3], s[2:3] offset:24 sc0 sc1
	s_waitcnt vmcnt(0)
	buffer_inv sc0 sc1
	v_cmp_eq_u64_e32 vcc, v[6:7], v[2:3]
	s_or_b64 s[10:11], vcc, s[10:11]
	s_andn2_b64 exec, exec, s[10:11]
	s_cbranch_execnz .LBB309_3
; %bb.4:
	s_or_b64 exec, exec, s[10:11]
.LBB309_5:
	s_or_b64 exec, exec, s[6:7]
.LBB309_6:
	s_or_b64 exec, exec, s[4:5]
	s_waitcnt lgkmcnt(0)
	global_load_dwordx2 v[10:11], v8, s[2:3] offset:40
	global_load_dwordx4 v[0:3], v8, s[2:3]
	v_readfirstlane_b32 s4, v6
	v_readfirstlane_b32 s5, v7
	s_mov_b64 s[6:7], exec
	s_waitcnt vmcnt(1)
	v_readfirstlane_b32 s10, v10
	v_readfirstlane_b32 s11, v11
	s_and_b64 s[10:11], s[4:5], s[10:11]
	s_mul_i32 s12, s11, 24
	s_mul_hi_u32 s13, s10, 24
	s_add_i32 s13, s13, s12
	s_mul_i32 s12, s10, 24
	s_waitcnt vmcnt(0)
	v_lshl_add_u64 v[6:7], v[0:1], 0, s[12:13]
	s_and_saveexec_b64 s[12:13], s[0:1]
	s_cbranch_execz .LBB309_8
; %bb.7:
	v_mov_b64_e32 v[8:9], s[6:7]
	v_mov_b32_e32 v10, 2
	v_mov_b32_e32 v11, 1
	global_store_dwordx4 v[6:7], v[8:11], off offset:8
.LBB309_8:
	s_or_b64 exec, exec, s[12:13]
	s_lshl_b64 s[6:7], s[10:11], 12
	v_lshl_add_u64 v[8:9], v[2:3], 0, s[6:7]
	s_mov_b32 s12, 0
	v_mov_b32_e32 v33, 0
	v_lshlrev_b32_e32 v32, 6, v38
	v_mov_b32_e32 v10, 33
	v_mov_b32_e32 v12, 1
	;; [unrolled: 1-line block ×4, first 2 shown]
	v_readfirstlane_b32 s6, v8
	v_readfirstlane_b32 s7, v9
	s_mov_b32 s13, s12
	s_mov_b32 s14, s12
	;; [unrolled: 1-line block ×3, first 2 shown]
	s_nop 1
	global_store_dwordx4 v32, v[10:13], s[6:7]
	s_nop 1
	v_mov_b64_e32 v[10:11], s[12:13]
	v_mov_b64_e32 v[12:13], s[14:15]
	global_store_dwordx4 v32, v[10:13], s[6:7] offset:16
	global_store_dwordx4 v32, v[10:13], s[6:7] offset:32
	;; [unrolled: 1-line block ×3, first 2 shown]
	s_and_saveexec_b64 s[6:7], s[0:1]
	s_cbranch_execz .LBB309_16
; %bb.9:
	global_load_dwordx2 v[14:15], v33, s[2:3] offset:32 sc0 sc1
	global_load_dwordx2 v[2:3], v33, s[2:3] offset:40
	v_mov_b32_e32 v12, s4
	v_mov_b32_e32 v13, s5
	s_waitcnt vmcnt(0)
	v_and_b32_e32 v2, s4, v2
	v_and_b32_e32 v3, s5, v3
	v_mul_lo_u32 v3, v3, 24
	v_mul_hi_u32 v10, v2, 24
	v_mul_lo_u32 v2, v2, 24
	v_add_u32_e32 v3, v10, v3
	v_lshl_add_u64 v[10:11], v[0:1], 0, v[2:3]
	global_store_dwordx2 v[10:11], v[14:15], off
	buffer_wbl2 sc0 sc1
	s_waitcnt vmcnt(0)
	global_atomic_cmpswap_x2 v[2:3], v33, v[12:15], s[2:3] offset:32 sc0 sc1
	s_waitcnt vmcnt(0)
	v_cmp_ne_u64_e32 vcc, v[2:3], v[14:15]
	s_and_saveexec_b64 s[10:11], vcc
	s_cbranch_execz .LBB309_12
; %bb.10:
	s_mov_b64 s[12:13], 0
.LBB309_11:                             ; =>This Inner Loop Header: Depth=1
	s_sleep 1
	global_store_dwordx2 v[10:11], v[2:3], off
	v_mov_b32_e32 v0, s4
	v_mov_b32_e32 v1, s5
	buffer_wbl2 sc0 sc1
	s_waitcnt vmcnt(0)
	global_atomic_cmpswap_x2 v[0:1], v33, v[0:3], s[2:3] offset:32 sc0 sc1
	s_waitcnt vmcnt(0)
	v_cmp_eq_u64_e32 vcc, v[0:1], v[2:3]
	s_or_b64 s[12:13], vcc, s[12:13]
	v_mov_b64_e32 v[2:3], v[0:1]
	s_andn2_b64 exec, exec, s[12:13]
	s_cbranch_execnz .LBB309_11
.LBB309_12:
	s_or_b64 exec, exec, s[10:11]
	v_mov_b32_e32 v3, 0
	global_load_dwordx2 v[0:1], v3, s[2:3] offset:16
	s_mov_b64 s[10:11], exec
	v_mbcnt_lo_u32_b32 v2, s10, 0
	v_mbcnt_hi_u32_b32 v2, s11, v2
	v_cmp_eq_u32_e32 vcc, 0, v2
	s_and_saveexec_b64 s[12:13], vcc
	s_cbranch_execz .LBB309_14
; %bb.13:
	s_bcnt1_i32_b64 s10, s[10:11]
	v_mov_b32_e32 v2, s10
	buffer_wbl2 sc0 sc1
	s_waitcnt vmcnt(0)
	global_atomic_add_x2 v[0:1], v[2:3], off offset:8 sc1
.LBB309_14:
	s_or_b64 exec, exec, s[12:13]
	s_waitcnt vmcnt(0)
	global_load_dwordx2 v[2:3], v[0:1], off offset:16
	s_waitcnt vmcnt(0)
	v_cmp_eq_u64_e32 vcc, 0, v[2:3]
	s_cbranch_vccnz .LBB309_16
; %bb.15:
	global_load_dword v0, v[0:1], off offset:24
	v_mov_b32_e32 v1, 0
	buffer_wbl2 sc0 sc1
	s_waitcnt vmcnt(0)
	global_store_dwordx2 v[2:3], v[0:1], off sc0 sc1
	v_and_b32_e32 v0, 0xffffff, v0
	s_nop 0
	v_readfirstlane_b32 m0, v0
	s_sendmsg sendmsg(MSG_INTERRUPT)
.LBB309_16:
	s_or_b64 exec, exec, s[6:7]
	v_lshl_add_u64 v[0:1], v[8:9], 0, v[32:33]
	s_branch .LBB309_20
.LBB309_17:                             ;   in Loop: Header=BB309_20 Depth=1
	s_or_b64 exec, exec, s[6:7]
	v_readfirstlane_b32 s6, v2
	s_cmp_eq_u32 s6, 0
	s_cbranch_scc1 .LBB309_19
; %bb.18:                               ;   in Loop: Header=BB309_20 Depth=1
	s_sleep 1
	s_cbranch_execnz .LBB309_20
	s_branch .LBB309_22
.LBB309_19:
	s_branch .LBB309_22
.LBB309_20:                             ; =>This Inner Loop Header: Depth=1
	v_mov_b32_e32 v2, 1
	s_and_saveexec_b64 s[6:7], s[0:1]
	s_cbranch_execz .LBB309_17
; %bb.21:                               ;   in Loop: Header=BB309_20 Depth=1
	global_load_dword v2, v[6:7], off offset:20 sc0 sc1
	s_waitcnt vmcnt(0)
	buffer_inv sc0 sc1
	v_and_b32_e32 v2, 1, v2
	s_branch .LBB309_17
.LBB309_22:
	global_load_dwordx2 v[6:7], v[0:1], off
	s_and_saveexec_b64 s[6:7], s[0:1]
	s_cbranch_execz .LBB309_25
; %bb.23:
	v_mov_b32_e32 v10, 0
	global_load_dwordx2 v[8:9], v10, s[2:3] offset:40
	global_load_dwordx2 v[12:13], v10, s[2:3] offset:24 sc0 sc1
	global_load_dwordx2 v[14:15], v10, s[2:3]
	s_mov_b64 s[0:1], 0
	s_waitcnt vmcnt(2)
	v_lshl_add_u64 v[0:1], v[8:9], 0, 1
	v_lshl_add_u64 v[16:17], v[0:1], 0, s[4:5]
	v_cmp_eq_u64_e32 vcc, 0, v[16:17]
	s_waitcnt vmcnt(1)
	v_mov_b32_e32 v2, v12
	v_cndmask_b32_e32 v1, v17, v1, vcc
	v_cndmask_b32_e32 v0, v16, v0, vcc
	v_and_b32_e32 v3, v1, v9
	v_and_b32_e32 v8, v0, v8
	v_mul_lo_u32 v3, v3, 24
	v_mul_hi_u32 v9, v8, 24
	v_mul_lo_u32 v8, v8, 24
	v_add_u32_e32 v9, v9, v3
	s_waitcnt vmcnt(0)
	v_lshl_add_u64 v[8:9], v[14:15], 0, v[8:9]
	global_store_dwordx2 v[8:9], v[12:13], off
	v_mov_b32_e32 v3, v13
	buffer_wbl2 sc0 sc1
	s_waitcnt vmcnt(0)
	global_atomic_cmpswap_x2 v[2:3], v10, v[0:3], s[2:3] offset:24 sc0 sc1
	s_waitcnt vmcnt(0)
	v_cmp_ne_u64_e32 vcc, v[2:3], v[12:13]
	s_and_b64 exec, exec, vcc
	s_cbranch_execz .LBB309_25
.LBB309_24:                             ; =>This Inner Loop Header: Depth=1
	s_sleep 1
	global_store_dwordx2 v[8:9], v[2:3], off
	buffer_wbl2 sc0 sc1
	s_waitcnt vmcnt(0)
	global_atomic_cmpswap_x2 v[12:13], v10, v[0:3], s[2:3] offset:24 sc0 sc1
	s_waitcnt vmcnt(0)
	v_cmp_eq_u64_e32 vcc, v[12:13], v[2:3]
	s_or_b64 s[0:1], vcc, s[0:1]
	v_mov_b64_e32 v[2:3], v[12:13]
	s_andn2_b64 exec, exec, s[0:1]
	s_cbranch_execnz .LBB309_24
.LBB309_25:
	s_or_b64 exec, exec, s[6:7]
	v_mov_b32_e32 v1, s33
	s_mov_b64 s[0:1], 0
.LBB309_26:                             ; =>This Inner Loop Header: Depth=1
	scratch_load_ubyte v2, v1, off
	v_add_u32_e32 v0, 1, v1
	v_mov_b32_e32 v1, v0
	s_waitcnt vmcnt(0)
	v_cmp_eq_u16_e32 vcc, 0, v2
	s_or_b64 s[0:1], vcc, s[0:1]
	s_andn2_b64 exec, exec, s[0:1]
	s_cbranch_execnz .LBB309_26
; %bb.27:
	s_or_b64 exec, exec, s[0:1]
	v_mov_b32_e32 v31, s33
	v_cmp_ne_u32_e32 vcc, -1, v31
	s_cbranch_vccz .LBB309_112
; %bb.28:
	v_subrev_u32_e32 v28, s33, v0
	v_ashrrev_i32_e32 v29, 31, v28
	v_and_b32_e32 v30, 2, v6
	v_mov_b32_e32 v33, 0
	v_and_b32_e32 v0, -3, v6
	v_mov_b32_e32 v1, v7
	s_mov_b64 s[4:5], 0
	s_mov_b32 s16, 0
	s_movk_i32 s17, 0xff1f
	v_mov_b32_e32 v10, 2
	v_mov_b32_e32 v11, 1
	s_branch .LBB309_30
.LBB309_29:                             ;   in Loop: Header=BB309_30 Depth=1
	s_or_b64 exec, exec, s[10:11]
	v_sub_co_u32_e32 v28, vcc, v28, v34
	v_add_u32_e32 v31, v31, v34
	s_nop 0
	v_subb_co_u32_e32 v29, vcc, v29, v35, vcc
	v_cmp_eq_u64_e32 vcc, 0, v[28:29]
	s_or_b64 s[4:5], vcc, s[4:5]
	s_andn2_b64 exec, exec, s[4:5]
	s_cbranch_execz .LBB309_113
.LBB309_30:                             ; =>This Loop Header: Depth=1
                                        ;     Child Loop BB309_33 Depth 2
                                        ;     Child Loop BB309_41 Depth 2
                                        ;     Child Loop BB309_49 Depth 2
                                        ;     Child Loop BB309_57 Depth 2
                                        ;     Child Loop BB309_65 Depth 2
                                        ;     Child Loop BB309_73 Depth 2
                                        ;     Child Loop BB309_81 Depth 2
                                        ;     Child Loop BB309_89 Depth 2
                                        ;     Child Loop BB309_97 Depth 2
                                        ;     Child Loop BB309_106 Depth 2
                                        ;     Child Loop BB309_111 Depth 2
	v_cmp_gt_u64_e32 vcc, 56, v[28:29]
                                        ; implicit-def: $vgpr2_vgpr3
                                        ; implicit-def: $sgpr6
	s_nop 1
	v_cndmask_b32_e32 v35, 0, v29, vcc
	v_cndmask_b32_e32 v34, 56, v28, vcc
	v_cmp_gt_u64_e32 vcc, 8, v[28:29]
	s_and_saveexec_b64 s[0:1], vcc
	s_xor_b64 s[0:1], exec, s[0:1]
	s_cbranch_execz .LBB309_36
; %bb.31:                               ;   in Loop: Header=BB309_30 Depth=1
	s_mov_b64 s[10:11], 0
	v_cmp_ne_u64_e32 vcc, 0, v[28:29]
	s_waitcnt vmcnt(0)
	v_mov_b64_e32 v[2:3], 0
	s_and_saveexec_b64 s[6:7], vcc
	s_cbranch_execz .LBB309_35
; %bb.32:                               ;   in Loop: Header=BB309_30 Depth=1
	v_lshlrev_b64 v[8:9], 3, v[34:35]
	v_mov_b64_e32 v[2:3], 0
	s_mov_b64 s[12:13], 0
	v_mov_b32_e32 v9, v31
.LBB309_33:                             ;   Parent Loop BB309_30 Depth=1
                                        ; =>  This Inner Loop Header: Depth=2
	scratch_load_ubyte v12, v9, off
	v_mov_b32_e32 v13, s16
	v_add_u32_e32 v9, 1, v9
	s_waitcnt vmcnt(0)
	v_and_b32_e32 v12, 0xffff, v12
	v_lshlrev_b64 v[12:13], s12, v[12:13]
	s_add_u32 s12, s12, 8
	s_addc_u32 s13, s13, 0
	v_cmp_eq_u32_e32 vcc, s12, v8
	v_or_b32_e32 v3, v13, v3
	s_or_b64 s[10:11], vcc, s[10:11]
	v_or_b32_e32 v2, v12, v2
	s_andn2_b64 exec, exec, s[10:11]
	s_cbranch_execnz .LBB309_33
; %bb.34:                               ;   in Loop: Header=BB309_30 Depth=1
	s_or_b64 exec, exec, s[10:11]
.LBB309_35:                             ;   in Loop: Header=BB309_30 Depth=1
	s_or_b64 exec, exec, s[6:7]
	s_mov_b32 s6, 0
.LBB309_36:                             ;   in Loop: Header=BB309_30 Depth=1
	s_or_saveexec_b64 s[0:1], s[0:1]
	v_mov_b32_e32 v9, s6
	v_mov_b32_e32 v8, v31
	s_xor_b64 exec, exec, s[0:1]
	s_cbranch_execz .LBB309_38
; %bb.37:                               ;   in Loop: Header=BB309_30 Depth=1
	scratch_load_dwordx2 v[2:3], v31, off
	v_add_u32_e32 v9, -8, v34
	s_waitcnt vmcnt(0)
	v_and_b32_e32 v8, 0xff, v3
	v_and_b32_e32 v12, 0xff00, v3
	;; [unrolled: 1-line block ×4, first 2 shown]
	v_or_b32_e32 v8, v8, v12
	v_or3_b32 v2, v2, 0, 0
	v_or3_b32 v3, v8, v13, v3
	v_add_u32_e32 v8, 8, v31
.LBB309_38:                             ;   in Loop: Header=BB309_30 Depth=1
	s_or_b64 exec, exec, s[0:1]
	v_cmp_gt_u32_e32 vcc, 8, v9
                                        ; implicit-def: $vgpr12_vgpr13
                                        ; implicit-def: $sgpr6
	s_and_saveexec_b64 s[0:1], vcc
	s_xor_b64 s[0:1], exec, s[0:1]
	s_cbranch_execz .LBB309_44
; %bb.39:                               ;   in Loop: Header=BB309_30 Depth=1
	v_cmp_ne_u32_e32 vcc, 0, v9
	v_mov_b64_e32 v[12:13], 0
	s_and_saveexec_b64 s[6:7], vcc
	s_cbranch_execz .LBB309_43
; %bb.40:                               ;   in Loop: Header=BB309_30 Depth=1
	s_mov_b32 s14, 0
	s_mov_b64 s[10:11], 0
	v_mov_b64_e32 v[12:13], 0
	s_mov_b64 s[12:13], 0
.LBB309_41:                             ;   Parent Loop BB309_30 Depth=1
                                        ; =>  This Inner Loop Header: Depth=2
	v_add_u32_e32 v14, s14, v8
	scratch_load_ubyte v14, v14, off
	v_mov_b32_e32 v15, s16
	s_add_i32 s14, s14, 1
	v_cmp_eq_u32_e32 vcc, s14, v9
	s_waitcnt vmcnt(0)
	v_and_b32_e32 v14, 0xffff, v14
	v_lshlrev_b64 v[14:15], s12, v[14:15]
	s_add_u32 s12, s12, 8
	s_addc_u32 s13, s13, 0
	v_or_b32_e32 v13, v15, v13
	s_or_b64 s[10:11], vcc, s[10:11]
	v_or_b32_e32 v12, v14, v12
	s_andn2_b64 exec, exec, s[10:11]
	s_cbranch_execnz .LBB309_41
; %bb.42:                               ;   in Loop: Header=BB309_30 Depth=1
	s_or_b64 exec, exec, s[10:11]
.LBB309_43:                             ;   in Loop: Header=BB309_30 Depth=1
	s_or_b64 exec, exec, s[6:7]
	s_mov_b32 s6, 0
                                        ; implicit-def: $vgpr9
.LBB309_44:                             ;   in Loop: Header=BB309_30 Depth=1
	s_or_saveexec_b64 s[0:1], s[0:1]
	v_mov_b32_e32 v16, s6
	s_xor_b64 exec, exec, s[0:1]
	s_cbranch_execz .LBB309_46
; %bb.45:                               ;   in Loop: Header=BB309_30 Depth=1
	scratch_load_dwordx2 v[12:13], v8, off
	v_add_u32_e32 v16, -8, v9
	v_add_u32_e32 v8, 8, v8
	s_waitcnt vmcnt(0)
	v_and_b32_e32 v9, 0xff, v13
	v_and_b32_e32 v14, 0xff00, v13
	;; [unrolled: 1-line block ×4, first 2 shown]
	v_or_b32_e32 v9, v9, v14
	v_or3_b32 v12, v12, 0, 0
	v_or3_b32 v13, v9, v15, v13
.LBB309_46:                             ;   in Loop: Header=BB309_30 Depth=1
	s_or_b64 exec, exec, s[0:1]
	v_cmp_gt_u32_e32 vcc, 8, v16
                                        ; implicit-def: $sgpr6
	s_and_saveexec_b64 s[0:1], vcc
	s_xor_b64 s[0:1], exec, s[0:1]
	s_cbranch_execz .LBB309_52
; %bb.47:                               ;   in Loop: Header=BB309_30 Depth=1
	v_cmp_ne_u32_e32 vcc, 0, v16
	v_mov_b64_e32 v[14:15], 0
	s_and_saveexec_b64 s[6:7], vcc
	s_cbranch_execz .LBB309_51
; %bb.48:                               ;   in Loop: Header=BB309_30 Depth=1
	s_mov_b32 s14, 0
	s_mov_b64 s[10:11], 0
	v_mov_b64_e32 v[14:15], 0
	s_mov_b64 s[12:13], 0
.LBB309_49:                             ;   Parent Loop BB309_30 Depth=1
                                        ; =>  This Inner Loop Header: Depth=2
	v_add_u32_e32 v9, s14, v8
	scratch_load_ubyte v9, v9, off
	v_mov_b32_e32 v19, s16
	s_add_i32 s14, s14, 1
	v_cmp_eq_u32_e32 vcc, s14, v16
	s_waitcnt vmcnt(0)
	v_and_b32_e32 v18, 0xffff, v9
	v_lshlrev_b64 v[18:19], s12, v[18:19]
	s_add_u32 s12, s12, 8
	s_addc_u32 s13, s13, 0
	v_or_b32_e32 v15, v19, v15
	s_or_b64 s[10:11], vcc, s[10:11]
	v_or_b32_e32 v14, v18, v14
	s_andn2_b64 exec, exec, s[10:11]
	s_cbranch_execnz .LBB309_49
; %bb.50:                               ;   in Loop: Header=BB309_30 Depth=1
	s_or_b64 exec, exec, s[10:11]
.LBB309_51:                             ;   in Loop: Header=BB309_30 Depth=1
	s_or_b64 exec, exec, s[6:7]
	s_mov_b32 s6, 0
                                        ; implicit-def: $vgpr16
.LBB309_52:                             ;   in Loop: Header=BB309_30 Depth=1
	s_or_saveexec_b64 s[0:1], s[0:1]
	v_mov_b32_e32 v9, s6
	s_xor_b64 exec, exec, s[0:1]
	s_cbranch_execz .LBB309_54
; %bb.53:                               ;   in Loop: Header=BB309_30 Depth=1
	scratch_load_dwordx2 v[14:15], v8, off
	v_add_u32_e32 v9, -8, v16
	v_add_u32_e32 v8, 8, v8
	s_waitcnt vmcnt(0)
	v_and_b32_e32 v16, 0xff, v15
	v_and_b32_e32 v17, 0xff00, v15
	;; [unrolled: 1-line block ×4, first 2 shown]
	v_or_b32_e32 v16, v16, v17
	v_or3_b32 v14, v14, 0, 0
	v_or3_b32 v15, v16, v18, v15
.LBB309_54:                             ;   in Loop: Header=BB309_30 Depth=1
	s_or_b64 exec, exec, s[0:1]
	v_cmp_gt_u32_e32 vcc, 8, v9
                                        ; implicit-def: $vgpr16_vgpr17
                                        ; implicit-def: $sgpr6
	s_and_saveexec_b64 s[0:1], vcc
	s_xor_b64 s[0:1], exec, s[0:1]
	s_cbranch_execz .LBB309_60
; %bb.55:                               ;   in Loop: Header=BB309_30 Depth=1
	v_cmp_ne_u32_e32 vcc, 0, v9
	v_mov_b64_e32 v[16:17], 0
	s_and_saveexec_b64 s[6:7], vcc
	s_cbranch_execz .LBB309_59
; %bb.56:                               ;   in Loop: Header=BB309_30 Depth=1
	s_mov_b32 s14, 0
	s_mov_b64 s[10:11], 0
	v_mov_b64_e32 v[16:17], 0
	s_mov_b64 s[12:13], 0
.LBB309_57:                             ;   Parent Loop BB309_30 Depth=1
                                        ; =>  This Inner Loop Header: Depth=2
	v_add_u32_e32 v18, s14, v8
	scratch_load_ubyte v18, v18, off
	v_mov_b32_e32 v19, s16
	s_add_i32 s14, s14, 1
	v_cmp_eq_u32_e32 vcc, s14, v9
	s_waitcnt vmcnt(0)
	v_and_b32_e32 v18, 0xffff, v18
	v_lshlrev_b64 v[18:19], s12, v[18:19]
	s_add_u32 s12, s12, 8
	s_addc_u32 s13, s13, 0
	v_or_b32_e32 v17, v19, v17
	s_or_b64 s[10:11], vcc, s[10:11]
	v_or_b32_e32 v16, v18, v16
	s_andn2_b64 exec, exec, s[10:11]
	s_cbranch_execnz .LBB309_57
; %bb.58:                               ;   in Loop: Header=BB309_30 Depth=1
	s_or_b64 exec, exec, s[10:11]
.LBB309_59:                             ;   in Loop: Header=BB309_30 Depth=1
	s_or_b64 exec, exec, s[6:7]
	s_mov_b32 s6, 0
                                        ; implicit-def: $vgpr9
.LBB309_60:                             ;   in Loop: Header=BB309_30 Depth=1
	s_or_saveexec_b64 s[0:1], s[0:1]
	v_mov_b32_e32 v20, s6
	s_xor_b64 exec, exec, s[0:1]
	s_cbranch_execz .LBB309_62
; %bb.61:                               ;   in Loop: Header=BB309_30 Depth=1
	scratch_load_dwordx2 v[16:17], v8, off
	v_add_u32_e32 v20, -8, v9
	v_add_u32_e32 v8, 8, v8
	s_waitcnt vmcnt(0)
	v_and_b32_e32 v9, 0xff, v17
	v_and_b32_e32 v18, 0xff00, v17
	;; [unrolled: 1-line block ×4, first 2 shown]
	v_or_b32_e32 v9, v9, v18
	v_or3_b32 v16, v16, 0, 0
	v_or3_b32 v17, v9, v19, v17
.LBB309_62:                             ;   in Loop: Header=BB309_30 Depth=1
	s_or_b64 exec, exec, s[0:1]
	v_cmp_gt_u32_e32 vcc, 8, v20
                                        ; implicit-def: $sgpr6
	s_and_saveexec_b64 s[0:1], vcc
	s_xor_b64 s[0:1], exec, s[0:1]
	s_cbranch_execz .LBB309_68
; %bb.63:                               ;   in Loop: Header=BB309_30 Depth=1
	v_cmp_ne_u32_e32 vcc, 0, v20
	v_mov_b64_e32 v[18:19], 0
	s_and_saveexec_b64 s[6:7], vcc
	s_cbranch_execz .LBB309_67
; %bb.64:                               ;   in Loop: Header=BB309_30 Depth=1
	s_mov_b32 s14, 0
	s_mov_b64 s[10:11], 0
	v_mov_b64_e32 v[18:19], 0
	s_mov_b64 s[12:13], 0
.LBB309_65:                             ;   Parent Loop BB309_30 Depth=1
                                        ; =>  This Inner Loop Header: Depth=2
	v_add_u32_e32 v9, s14, v8
	scratch_load_ubyte v9, v9, off
	v_mov_b32_e32 v23, s16
	s_add_i32 s14, s14, 1
	v_cmp_eq_u32_e32 vcc, s14, v20
	s_waitcnt vmcnt(0)
	v_and_b32_e32 v22, 0xffff, v9
	v_lshlrev_b64 v[22:23], s12, v[22:23]
	s_add_u32 s12, s12, 8
	s_addc_u32 s13, s13, 0
	v_or_b32_e32 v19, v23, v19
	s_or_b64 s[10:11], vcc, s[10:11]
	v_or_b32_e32 v18, v22, v18
	s_andn2_b64 exec, exec, s[10:11]
	s_cbranch_execnz .LBB309_65
; %bb.66:                               ;   in Loop: Header=BB309_30 Depth=1
	s_or_b64 exec, exec, s[10:11]
.LBB309_67:                             ;   in Loop: Header=BB309_30 Depth=1
	s_or_b64 exec, exec, s[6:7]
	s_mov_b32 s6, 0
                                        ; implicit-def: $vgpr20
.LBB309_68:                             ;   in Loop: Header=BB309_30 Depth=1
	s_or_saveexec_b64 s[0:1], s[0:1]
	v_mov_b32_e32 v9, s6
	s_xor_b64 exec, exec, s[0:1]
	s_cbranch_execz .LBB309_70
; %bb.69:                               ;   in Loop: Header=BB309_30 Depth=1
	scratch_load_dwordx2 v[18:19], v8, off
	v_add_u32_e32 v9, -8, v20
	v_add_u32_e32 v8, 8, v8
	s_waitcnt vmcnt(0)
	v_and_b32_e32 v20, 0xff, v19
	v_and_b32_e32 v21, 0xff00, v19
	;; [unrolled: 1-line block ×4, first 2 shown]
	v_or_b32_e32 v20, v20, v21
	v_or3_b32 v18, v18, 0, 0
	v_or3_b32 v19, v20, v22, v19
.LBB309_70:                             ;   in Loop: Header=BB309_30 Depth=1
	s_or_b64 exec, exec, s[0:1]
	v_cmp_gt_u32_e32 vcc, 8, v9
                                        ; implicit-def: $vgpr20_vgpr21
                                        ; implicit-def: $sgpr6
	s_and_saveexec_b64 s[0:1], vcc
	s_xor_b64 s[0:1], exec, s[0:1]
	s_cbranch_execz .LBB309_76
; %bb.71:                               ;   in Loop: Header=BB309_30 Depth=1
	v_cmp_ne_u32_e32 vcc, 0, v9
	v_mov_b64_e32 v[20:21], 0
	s_and_saveexec_b64 s[6:7], vcc
	s_cbranch_execz .LBB309_75
; %bb.72:                               ;   in Loop: Header=BB309_30 Depth=1
	s_mov_b32 s14, 0
	s_mov_b64 s[10:11], 0
	v_mov_b64_e32 v[20:21], 0
	s_mov_b64 s[12:13], 0
.LBB309_73:                             ;   Parent Loop BB309_30 Depth=1
                                        ; =>  This Inner Loop Header: Depth=2
	v_add_u32_e32 v22, s14, v8
	scratch_load_ubyte v22, v22, off
	v_mov_b32_e32 v23, s16
	s_add_i32 s14, s14, 1
	v_cmp_eq_u32_e32 vcc, s14, v9
	s_waitcnt vmcnt(0)
	v_and_b32_e32 v22, 0xffff, v22
	v_lshlrev_b64 v[22:23], s12, v[22:23]
	s_add_u32 s12, s12, 8
	s_addc_u32 s13, s13, 0
	v_or_b32_e32 v21, v23, v21
	s_or_b64 s[10:11], vcc, s[10:11]
	v_or_b32_e32 v20, v22, v20
	s_andn2_b64 exec, exec, s[10:11]
	s_cbranch_execnz .LBB309_73
; %bb.74:                               ;   in Loop: Header=BB309_30 Depth=1
	s_or_b64 exec, exec, s[10:11]
.LBB309_75:                             ;   in Loop: Header=BB309_30 Depth=1
	s_or_b64 exec, exec, s[6:7]
	s_mov_b32 s6, 0
                                        ; implicit-def: $vgpr9
.LBB309_76:                             ;   in Loop: Header=BB309_30 Depth=1
	s_or_saveexec_b64 s[0:1], s[0:1]
	v_mov_b32_e32 v24, s6
	s_xor_b64 exec, exec, s[0:1]
	s_cbranch_execz .LBB309_78
; %bb.77:                               ;   in Loop: Header=BB309_30 Depth=1
	scratch_load_dwordx2 v[20:21], v8, off
	v_add_u32_e32 v24, -8, v9
	v_add_u32_e32 v8, 8, v8
	s_waitcnt vmcnt(0)
	v_and_b32_e32 v9, 0xff, v21
	v_and_b32_e32 v22, 0xff00, v21
	;; [unrolled: 1-line block ×4, first 2 shown]
	v_or_b32_e32 v9, v9, v22
	v_or3_b32 v20, v20, 0, 0
	v_or3_b32 v21, v9, v23, v21
.LBB309_78:                             ;   in Loop: Header=BB309_30 Depth=1
	s_or_b64 exec, exec, s[0:1]
	v_cmp_gt_u32_e32 vcc, 8, v24
	s_and_saveexec_b64 s[0:1], vcc
	s_xor_b64 s[0:1], exec, s[0:1]
	s_cbranch_execz .LBB309_84
; %bb.79:                               ;   in Loop: Header=BB309_30 Depth=1
	v_cmp_ne_u32_e32 vcc, 0, v24
	v_mov_b64_e32 v[22:23], 0
	s_and_saveexec_b64 s[6:7], vcc
	s_cbranch_execz .LBB309_83
; %bb.80:                               ;   in Loop: Header=BB309_30 Depth=1
	s_mov_b64 s[10:11], 0
	v_mov_b64_e32 v[22:23], 0
	s_mov_b64 s[12:13], 0
.LBB309_81:                             ;   Parent Loop BB309_30 Depth=1
                                        ; =>  This Inner Loop Header: Depth=2
	scratch_load_ubyte v9, v8, off
	v_mov_b32_e32 v27, s16
	v_add_u32_e32 v24, -1, v24
	v_cmp_eq_u32_e32 vcc, 0, v24
	v_add_u32_e32 v8, 1, v8
	s_waitcnt vmcnt(0)
	v_and_b32_e32 v26, 0xffff, v9
	v_lshlrev_b64 v[26:27], s12, v[26:27]
	s_add_u32 s12, s12, 8
	s_addc_u32 s13, s13, 0
	v_or_b32_e32 v23, v27, v23
	s_or_b64 s[10:11], vcc, s[10:11]
	v_or_b32_e32 v22, v26, v22
	s_andn2_b64 exec, exec, s[10:11]
	s_cbranch_execnz .LBB309_81
; %bb.82:                               ;   in Loop: Header=BB309_30 Depth=1
	s_or_b64 exec, exec, s[10:11]
.LBB309_83:                             ;   in Loop: Header=BB309_30 Depth=1
	s_or_b64 exec, exec, s[6:7]
                                        ; implicit-def: $vgpr8
.LBB309_84:                             ;   in Loop: Header=BB309_30 Depth=1
	s_andn2_saveexec_b64 s[0:1], s[0:1]
	s_cbranch_execz .LBB309_86
; %bb.85:                               ;   in Loop: Header=BB309_30 Depth=1
	scratch_load_dwordx2 v[8:9], v8, off
	s_waitcnt vmcnt(0)
	v_and_b32_e32 v22, 0xff, v9
	v_and_b32_e32 v23, 0xff00, v9
	;; [unrolled: 1-line block ×4, first 2 shown]
	v_or_b32_e32 v22, v22, v23
	v_or3_b32 v23, v22, v24, v9
	v_or3_b32 v22, v8, 0, 0
.LBB309_86:                             ;   in Loop: Header=BB309_30 Depth=1
	s_or_b64 exec, exec, s[0:1]
	v_readfirstlane_b32 s0, v38
	v_mov_b64_e32 v[8:9], 0
	s_nop 0
	v_cmp_eq_u32_e64 s[0:1], s0, v38
	s_and_saveexec_b64 s[6:7], s[0:1]
	s_cbranch_execz .LBB309_92
; %bb.87:                               ;   in Loop: Header=BB309_30 Depth=1
	global_load_dwordx2 v[26:27], v33, s[2:3] offset:24 sc0 sc1
	s_waitcnt vmcnt(0)
	buffer_inv sc0 sc1
	global_load_dwordx2 v[8:9], v33, s[2:3] offset:40
	global_load_dwordx2 v[24:25], v33, s[2:3]
	s_waitcnt vmcnt(1)
	v_and_b32_e32 v8, v8, v26
	v_and_b32_e32 v9, v9, v27
	v_mul_lo_u32 v9, v9, 24
	v_mul_hi_u32 v36, v8, 24
	v_add_u32_e32 v9, v36, v9
	v_mul_lo_u32 v8, v8, 24
	s_waitcnt vmcnt(0)
	v_lshl_add_u64 v[8:9], v[24:25], 0, v[8:9]
	global_load_dwordx2 v[24:25], v[8:9], off sc0 sc1
	s_waitcnt vmcnt(0)
	global_atomic_cmpswap_x2 v[8:9], v33, v[24:27], s[2:3] offset:24 sc0 sc1
	s_waitcnt vmcnt(0)
	buffer_inv sc0 sc1
	v_cmp_ne_u64_e32 vcc, v[8:9], v[26:27]
	s_and_saveexec_b64 s[10:11], vcc
	s_cbranch_execz .LBB309_91
; %bb.88:                               ;   in Loop: Header=BB309_30 Depth=1
	s_mov_b64 s[12:13], 0
.LBB309_89:                             ;   Parent Loop BB309_30 Depth=1
                                        ; =>  This Inner Loop Header: Depth=2
	s_sleep 1
	global_load_dwordx2 v[24:25], v33, s[2:3] offset:40
	global_load_dwordx2 v[36:37], v33, s[2:3]
	v_mov_b64_e32 v[26:27], v[8:9]
	s_waitcnt vmcnt(1)
	v_and_b32_e32 v8, v24, v26
	s_waitcnt vmcnt(0)
	v_mad_u64_u32 v[8:9], s[14:15], v8, 24, v[36:37]
	v_and_b32_e32 v25, v25, v27
	v_mov_b32_e32 v24, v9
	v_mad_u64_u32 v[24:25], s[14:15], v25, 24, v[24:25]
	v_mov_b32_e32 v9, v24
	global_load_dwordx2 v[24:25], v[8:9], off sc0 sc1
	s_waitcnt vmcnt(0)
	global_atomic_cmpswap_x2 v[8:9], v33, v[24:27], s[2:3] offset:24 sc0 sc1
	s_waitcnt vmcnt(0)
	buffer_inv sc0 sc1
	v_cmp_eq_u64_e32 vcc, v[8:9], v[26:27]
	s_or_b64 s[12:13], vcc, s[12:13]
	s_andn2_b64 exec, exec, s[12:13]
	s_cbranch_execnz .LBB309_89
; %bb.90:                               ;   in Loop: Header=BB309_30 Depth=1
	s_or_b64 exec, exec, s[12:13]
.LBB309_91:                             ;   in Loop: Header=BB309_30 Depth=1
	s_or_b64 exec, exec, s[10:11]
.LBB309_92:                             ;   in Loop: Header=BB309_30 Depth=1
	s_or_b64 exec, exec, s[6:7]
	global_load_dwordx2 v[36:37], v33, s[2:3] offset:40
	global_load_dwordx4 v[24:27], v33, s[2:3]
	v_readfirstlane_b32 s6, v8
	v_readfirstlane_b32 s7, v9
	s_mov_b64 s[10:11], exec
	s_waitcnt vmcnt(1)
	v_readfirstlane_b32 s12, v36
	v_readfirstlane_b32 s13, v37
	s_and_b64 s[12:13], s[6:7], s[12:13]
	s_mul_i32 s14, s13, 24
	s_mul_hi_u32 s15, s12, 24
	s_add_i32 s15, s15, s14
	s_mul_i32 s14, s12, 24
	s_waitcnt vmcnt(0)
	v_lshl_add_u64 v[36:37], v[24:25], 0, s[14:15]
	s_and_saveexec_b64 s[14:15], s[0:1]
	s_cbranch_execz .LBB309_94
; %bb.93:                               ;   in Loop: Header=BB309_30 Depth=1
	v_mov_b64_e32 v[8:9], s[10:11]
	global_store_dwordx4 v[36:37], v[8:11], off offset:8
.LBB309_94:                             ;   in Loop: Header=BB309_30 Depth=1
	s_or_b64 exec, exec, s[14:15]
	s_lshl_b64 s[10:11], s[12:13], 12
	v_lshl_add_u64 v[8:9], v[26:27], 0, s[10:11]
	v_or_b32_e32 v26, 0, v1
	v_cmp_lt_u64_e32 vcc, 56, v[28:29]
	v_or_b32_e32 v27, v0, v30
	v_readfirstlane_b32 s10, v8
	v_cndmask_b32_e32 v1, v26, v1, vcc
	v_lshl_add_u32 v26, v34, 2, 28
	v_cndmask_b32_e32 v0, v27, v0, vcc
	v_and_b32_e32 v26, 0x1e0, v26
	v_and_or_b32 v0, v0, s17, v26
	v_readfirstlane_b32 s11, v9
	s_nop 4
	global_store_dwordx4 v32, v[0:3], s[10:11]
	global_store_dwordx4 v32, v[12:15], s[10:11] offset:16
	global_store_dwordx4 v32, v[16:19], s[10:11] offset:32
	;; [unrolled: 1-line block ×3, first 2 shown]
	s_and_saveexec_b64 s[10:11], s[0:1]
	s_cbranch_execz .LBB309_102
; %bb.95:                               ;   in Loop: Header=BB309_30 Depth=1
	global_load_dwordx2 v[16:17], v33, s[2:3] offset:32 sc0 sc1
	global_load_dwordx2 v[0:1], v33, s[2:3] offset:40
	v_mov_b32_e32 v14, s6
	v_mov_b32_e32 v15, s7
	s_waitcnt vmcnt(0)
	v_readfirstlane_b32 s12, v0
	v_readfirstlane_b32 s13, v1
	s_and_b64 s[12:13], s[12:13], s[6:7]
	s_mul_i32 s13, s13, 24
	s_mul_hi_u32 s14, s12, 24
	s_mul_i32 s12, s12, 24
	s_add_i32 s13, s14, s13
	v_lshl_add_u64 v[12:13], v[24:25], 0, s[12:13]
	global_store_dwordx2 v[12:13], v[16:17], off
	buffer_wbl2 sc0 sc1
	s_waitcnt vmcnt(0)
	global_atomic_cmpswap_x2 v[2:3], v33, v[14:17], s[2:3] offset:32 sc0 sc1
	s_waitcnt vmcnt(0)
	v_cmp_ne_u64_e32 vcc, v[2:3], v[16:17]
	s_and_saveexec_b64 s[12:13], vcc
	s_cbranch_execz .LBB309_98
; %bb.96:                               ;   in Loop: Header=BB309_30 Depth=1
	s_mov_b64 s[14:15], 0
.LBB309_97:                             ;   Parent Loop BB309_30 Depth=1
                                        ; =>  This Inner Loop Header: Depth=2
	s_sleep 1
	global_store_dwordx2 v[12:13], v[2:3], off
	v_mov_b32_e32 v0, s6
	v_mov_b32_e32 v1, s7
	buffer_wbl2 sc0 sc1
	s_waitcnt vmcnt(0)
	global_atomic_cmpswap_x2 v[0:1], v33, v[0:3], s[2:3] offset:32 sc0 sc1
	s_waitcnt vmcnt(0)
	v_cmp_eq_u64_e32 vcc, v[0:1], v[2:3]
	s_or_b64 s[14:15], vcc, s[14:15]
	v_mov_b64_e32 v[2:3], v[0:1]
	s_andn2_b64 exec, exec, s[14:15]
	s_cbranch_execnz .LBB309_97
.LBB309_98:                             ;   in Loop: Header=BB309_30 Depth=1
	s_or_b64 exec, exec, s[12:13]
	global_load_dwordx2 v[0:1], v33, s[2:3] offset:16
	s_mov_b64 s[14:15], exec
	v_mbcnt_lo_u32_b32 v2, s14, 0
	v_mbcnt_hi_u32_b32 v2, s15, v2
	v_cmp_eq_u32_e32 vcc, 0, v2
	s_and_saveexec_b64 s[12:13], vcc
	s_cbranch_execz .LBB309_100
; %bb.99:                               ;   in Loop: Header=BB309_30 Depth=1
	s_bcnt1_i32_b64 s14, s[14:15]
	v_mov_b32_e32 v2, s14
	v_mov_b32_e32 v3, v33
	buffer_wbl2 sc0 sc1
	s_waitcnt vmcnt(0)
	global_atomic_add_x2 v[0:1], v[2:3], off offset:8 sc1
.LBB309_100:                            ;   in Loop: Header=BB309_30 Depth=1
	s_or_b64 exec, exec, s[12:13]
	s_waitcnt vmcnt(0)
	global_load_dwordx2 v[2:3], v[0:1], off offset:16
	s_waitcnt vmcnt(0)
	v_cmp_eq_u64_e32 vcc, 0, v[2:3]
	s_cbranch_vccnz .LBB309_102
; %bb.101:                              ;   in Loop: Header=BB309_30 Depth=1
	global_load_dword v0, v[0:1], off offset:24
	v_mov_b32_e32 v1, v33
	buffer_wbl2 sc0 sc1
	s_waitcnt vmcnt(0)
	global_store_dwordx2 v[2:3], v[0:1], off sc0 sc1
	v_and_b32_e32 v0, 0xffffff, v0
	s_nop 0
	v_readfirstlane_b32 m0, v0
	s_sendmsg sendmsg(MSG_INTERRUPT)
.LBB309_102:                            ;   in Loop: Header=BB309_30 Depth=1
	s_or_b64 exec, exec, s[10:11]
	v_lshl_add_u64 v[0:1], v[8:9], 0, v[32:33]
	s_branch .LBB309_106
.LBB309_103:                            ;   in Loop: Header=BB309_106 Depth=2
	s_or_b64 exec, exec, s[10:11]
	v_readfirstlane_b32 s10, v2
	s_cmp_eq_u32 s10, 0
	s_cbranch_scc1 .LBB309_105
; %bb.104:                              ;   in Loop: Header=BB309_106 Depth=2
	s_sleep 1
	s_cbranch_execnz .LBB309_106
	s_branch .LBB309_108
.LBB309_105:                            ;   in Loop: Header=BB309_30 Depth=1
	s_branch .LBB309_108
.LBB309_106:                            ;   Parent Loop BB309_30 Depth=1
                                        ; =>  This Inner Loop Header: Depth=2
	v_mov_b32_e32 v2, 1
	s_and_saveexec_b64 s[10:11], s[0:1]
	s_cbranch_execz .LBB309_103
; %bb.107:                              ;   in Loop: Header=BB309_106 Depth=2
	global_load_dword v2, v[36:37], off offset:20 sc0 sc1
	s_waitcnt vmcnt(0)
	buffer_inv sc0 sc1
	v_and_b32_e32 v2, 1, v2
	s_branch .LBB309_103
.LBB309_108:                            ;   in Loop: Header=BB309_30 Depth=1
	global_load_dwordx4 v[0:3], v[0:1], off
	s_and_saveexec_b64 s[10:11], s[0:1]
	s_cbranch_execz .LBB309_29
; %bb.109:                              ;   in Loop: Header=BB309_30 Depth=1
	global_load_dwordx2 v[2:3], v33, s[2:3] offset:40
	global_load_dwordx2 v[8:9], v33, s[2:3] offset:24 sc0 sc1
	global_load_dwordx2 v[16:17], v33, s[2:3]
	s_waitcnt vmcnt(2)
	v_lshl_add_u64 v[12:13], v[2:3], 0, 1
	v_lshl_add_u64 v[18:19], v[12:13], 0, s[6:7]
	v_cmp_eq_u64_e32 vcc, 0, v[18:19]
	s_waitcnt vmcnt(1)
	v_mov_b32_e32 v14, v8
	v_cndmask_b32_e32 v13, v19, v13, vcc
	v_cndmask_b32_e32 v12, v18, v12, vcc
	v_and_b32_e32 v3, v13, v3
	v_and_b32_e32 v2, v12, v2
	v_mul_lo_u32 v3, v3, 24
	v_mul_hi_u32 v15, v2, 24
	v_mul_lo_u32 v2, v2, 24
	v_add_u32_e32 v3, v15, v3
	s_waitcnt vmcnt(0)
	v_lshl_add_u64 v[2:3], v[16:17], 0, v[2:3]
	global_store_dwordx2 v[2:3], v[8:9], off
	v_mov_b32_e32 v15, v9
	buffer_wbl2 sc0 sc1
	s_waitcnt vmcnt(0)
	global_atomic_cmpswap_x2 v[14:15], v33, v[12:15], s[2:3] offset:24 sc0 sc1
	s_waitcnt vmcnt(0)
	v_cmp_ne_u64_e32 vcc, v[14:15], v[8:9]
	s_and_b64 exec, exec, vcc
	s_cbranch_execz .LBB309_29
; %bb.110:                              ;   in Loop: Header=BB309_30 Depth=1
	s_mov_b64 s[0:1], 0
.LBB309_111:                            ;   Parent Loop BB309_30 Depth=1
                                        ; =>  This Inner Loop Header: Depth=2
	s_sleep 1
	global_store_dwordx2 v[2:3], v[14:15], off
	buffer_wbl2 sc0 sc1
	s_waitcnt vmcnt(0)
	global_atomic_cmpswap_x2 v[8:9], v33, v[12:15], s[2:3] offset:24 sc0 sc1
	s_waitcnt vmcnt(0)
	v_cmp_eq_u64_e32 vcc, v[8:9], v[14:15]
	s_or_b64 s[0:1], vcc, s[0:1]
	v_mov_b64_e32 v[14:15], v[8:9]
	s_andn2_b64 exec, exec, s[0:1]
	s_cbranch_execnz .LBB309_111
	s_branch .LBB309_29
.LBB309_112:
                                        ; implicit-def: $vgpr0_vgpr1
	s_cbranch_execnz .LBB309_114
	s_branch .LBB309_140
.LBB309_113:
	s_or_b64 exec, exec, s[4:5]
	s_branch .LBB309_140
.LBB309_114:
	v_readfirstlane_b32 s0, v38
	v_mov_b64_e32 v[8:9], 0
	s_nop 0
	v_cmp_eq_u32_e64 s[0:1], s0, v38
	s_and_saveexec_b64 s[4:5], s[0:1]
	s_cbranch_execz .LBB309_120
; %bb.115:
	s_waitcnt vmcnt(0)
	v_mov_b32_e32 v0, 0
	global_load_dwordx2 v[10:11], v0, s[2:3] offset:24 sc0 sc1
	s_waitcnt vmcnt(0)
	buffer_inv sc0 sc1
	global_load_dwordx2 v[2:3], v0, s[2:3] offset:40
	global_load_dwordx2 v[8:9], v0, s[2:3]
	s_waitcnt vmcnt(1)
	v_and_b32_e32 v1, v2, v10
	v_and_b32_e32 v2, v3, v11
	v_mul_lo_u32 v2, v2, 24
	v_mul_hi_u32 v3, v1, 24
	v_add_u32_e32 v3, v3, v2
	v_mul_lo_u32 v2, v1, 24
	s_waitcnt vmcnt(0)
	v_lshl_add_u64 v[2:3], v[8:9], 0, v[2:3]
	global_load_dwordx2 v[8:9], v[2:3], off sc0 sc1
	s_waitcnt vmcnt(0)
	global_atomic_cmpswap_x2 v[8:9], v0, v[8:11], s[2:3] offset:24 sc0 sc1
	s_waitcnt vmcnt(0)
	buffer_inv sc0 sc1
	v_cmp_ne_u64_e32 vcc, v[8:9], v[10:11]
	s_and_saveexec_b64 s[6:7], vcc
	s_cbranch_execz .LBB309_119
; %bb.116:
	s_mov_b64 s[10:11], 0
.LBB309_117:                            ; =>This Inner Loop Header: Depth=1
	s_sleep 1
	global_load_dwordx2 v[2:3], v0, s[2:3] offset:40
	global_load_dwordx2 v[12:13], v0, s[2:3]
	v_mov_b64_e32 v[10:11], v[8:9]
	s_waitcnt vmcnt(1)
	v_and_b32_e32 v2, v2, v10
	v_and_b32_e32 v1, v3, v11
	s_waitcnt vmcnt(0)
	v_mad_u64_u32 v[2:3], s[12:13], v2, 24, v[12:13]
	v_mov_b32_e32 v8, v3
	v_mad_u64_u32 v[8:9], s[12:13], v1, 24, v[8:9]
	v_mov_b32_e32 v3, v8
	global_load_dwordx2 v[8:9], v[2:3], off sc0 sc1
	s_waitcnt vmcnt(0)
	global_atomic_cmpswap_x2 v[8:9], v0, v[8:11], s[2:3] offset:24 sc0 sc1
	s_waitcnt vmcnt(0)
	buffer_inv sc0 sc1
	v_cmp_eq_u64_e32 vcc, v[8:9], v[10:11]
	s_or_b64 s[10:11], vcc, s[10:11]
	s_andn2_b64 exec, exec, s[10:11]
	s_cbranch_execnz .LBB309_117
; %bb.118:
	s_or_b64 exec, exec, s[10:11]
.LBB309_119:
	s_or_b64 exec, exec, s[6:7]
.LBB309_120:
	s_or_b64 exec, exec, s[4:5]
	v_mov_b32_e32 v33, 0
	global_load_dwordx2 v[10:11], v33, s[2:3] offset:40
	global_load_dwordx4 v[0:3], v33, s[2:3]
	v_readfirstlane_b32 s4, v8
	v_readfirstlane_b32 s5, v9
	s_mov_b64 s[6:7], exec
	s_waitcnt vmcnt(1)
	v_readfirstlane_b32 s10, v10
	v_readfirstlane_b32 s11, v11
	s_and_b64 s[10:11], s[4:5], s[10:11]
	s_mul_i32 s12, s11, 24
	s_mul_hi_u32 s13, s10, 24
	s_add_i32 s13, s13, s12
	s_mul_i32 s12, s10, 24
	s_waitcnt vmcnt(0)
	v_lshl_add_u64 v[10:11], v[0:1], 0, s[12:13]
	s_and_saveexec_b64 s[12:13], s[0:1]
	s_cbranch_execz .LBB309_122
; %bb.121:
	v_mov_b64_e32 v[12:13], s[6:7]
	v_mov_b32_e32 v14, 2
	v_mov_b32_e32 v15, 1
	global_store_dwordx4 v[10:11], v[12:15], off offset:8
.LBB309_122:
	s_or_b64 exec, exec, s[12:13]
	s_lshl_b64 s[6:7], s[10:11], 12
	v_lshl_add_u64 v[12:13], v[2:3], 0, s[6:7]
	s_movk_i32 s6, 0xff1f
	s_mov_b32 s12, 0
	v_and_or_b32 v6, v6, s6, 32
	v_mov_b32_e32 v8, v33
	v_mov_b32_e32 v9, v33
	v_readfirstlane_b32 s6, v12
	v_readfirstlane_b32 s7, v13
	s_mov_b32 s13, s12
	s_mov_b32 s14, s12
	;; [unrolled: 1-line block ×3, first 2 shown]
	s_nop 1
	global_store_dwordx4 v32, v[6:9], s[6:7]
	s_nop 1
	v_mov_b64_e32 v[6:7], s[12:13]
	v_mov_b64_e32 v[8:9], s[14:15]
	global_store_dwordx4 v32, v[6:9], s[6:7] offset:16
	global_store_dwordx4 v32, v[6:9], s[6:7] offset:32
	;; [unrolled: 1-line block ×3, first 2 shown]
	s_and_saveexec_b64 s[6:7], s[0:1]
	s_cbranch_execz .LBB309_130
; %bb.123:
	v_mov_b32_e32 v8, 0
	global_load_dwordx2 v[16:17], v8, s[2:3] offset:32 sc0 sc1
	global_load_dwordx2 v[2:3], v8, s[2:3] offset:40
	v_mov_b32_e32 v14, s4
	v_mov_b32_e32 v15, s5
	s_waitcnt vmcnt(0)
	v_readfirstlane_b32 s10, v2
	v_readfirstlane_b32 s11, v3
	s_and_b64 s[10:11], s[10:11], s[4:5]
	s_mul_i32 s11, s11, 24
	s_mul_hi_u32 s12, s10, 24
	s_mul_i32 s10, s10, 24
	s_add_i32 s11, s12, s11
	v_lshl_add_u64 v[6:7], v[0:1], 0, s[10:11]
	global_store_dwordx2 v[6:7], v[16:17], off
	buffer_wbl2 sc0 sc1
	s_waitcnt vmcnt(0)
	global_atomic_cmpswap_x2 v[2:3], v8, v[14:17], s[2:3] offset:32 sc0 sc1
	s_waitcnt vmcnt(0)
	v_cmp_ne_u64_e32 vcc, v[2:3], v[16:17]
	s_and_saveexec_b64 s[10:11], vcc
	s_cbranch_execz .LBB309_126
; %bb.124:
	s_mov_b64 s[12:13], 0
.LBB309_125:                            ; =>This Inner Loop Header: Depth=1
	s_sleep 1
	global_store_dwordx2 v[6:7], v[2:3], off
	v_mov_b32_e32 v0, s4
	v_mov_b32_e32 v1, s5
	buffer_wbl2 sc0 sc1
	s_waitcnt vmcnt(0)
	global_atomic_cmpswap_x2 v[0:1], v8, v[0:3], s[2:3] offset:32 sc0 sc1
	s_waitcnt vmcnt(0)
	v_cmp_eq_u64_e32 vcc, v[0:1], v[2:3]
	s_or_b64 s[12:13], vcc, s[12:13]
	v_mov_b64_e32 v[2:3], v[0:1]
	s_andn2_b64 exec, exec, s[12:13]
	s_cbranch_execnz .LBB309_125
.LBB309_126:
	s_or_b64 exec, exec, s[10:11]
	v_mov_b32_e32 v3, 0
	global_load_dwordx2 v[0:1], v3, s[2:3] offset:16
	s_mov_b64 s[10:11], exec
	v_mbcnt_lo_u32_b32 v2, s10, 0
	v_mbcnt_hi_u32_b32 v2, s11, v2
	v_cmp_eq_u32_e32 vcc, 0, v2
	s_and_saveexec_b64 s[12:13], vcc
	s_cbranch_execz .LBB309_128
; %bb.127:
	s_bcnt1_i32_b64 s10, s[10:11]
	v_mov_b32_e32 v2, s10
	buffer_wbl2 sc0 sc1
	s_waitcnt vmcnt(0)
	global_atomic_add_x2 v[0:1], v[2:3], off offset:8 sc1
.LBB309_128:
	s_or_b64 exec, exec, s[12:13]
	s_waitcnt vmcnt(0)
	global_load_dwordx2 v[2:3], v[0:1], off offset:16
	s_waitcnt vmcnt(0)
	v_cmp_eq_u64_e32 vcc, 0, v[2:3]
	s_cbranch_vccnz .LBB309_130
; %bb.129:
	global_load_dword v0, v[0:1], off offset:24
	v_mov_b32_e32 v1, 0
	buffer_wbl2 sc0 sc1
	s_waitcnt vmcnt(0)
	global_store_dwordx2 v[2:3], v[0:1], off sc0 sc1
	v_and_b32_e32 v0, 0xffffff, v0
	s_nop 0
	v_readfirstlane_b32 m0, v0
	s_sendmsg sendmsg(MSG_INTERRUPT)
.LBB309_130:
	s_or_b64 exec, exec, s[6:7]
	v_lshl_add_u64 v[0:1], v[12:13], 0, v[32:33]
	s_branch .LBB309_134
.LBB309_131:                            ;   in Loop: Header=BB309_134 Depth=1
	s_or_b64 exec, exec, s[6:7]
	v_readfirstlane_b32 s6, v2
	s_cmp_eq_u32 s6, 0
	s_cbranch_scc1 .LBB309_133
; %bb.132:                              ;   in Loop: Header=BB309_134 Depth=1
	s_sleep 1
	s_cbranch_execnz .LBB309_134
	s_branch .LBB309_136
.LBB309_133:
	s_branch .LBB309_136
.LBB309_134:                            ; =>This Inner Loop Header: Depth=1
	v_mov_b32_e32 v2, 1
	s_and_saveexec_b64 s[6:7], s[0:1]
	s_cbranch_execz .LBB309_131
; %bb.135:                              ;   in Loop: Header=BB309_134 Depth=1
	global_load_dword v2, v[10:11], off offset:20 sc0 sc1
	s_waitcnt vmcnt(0)
	buffer_inv sc0 sc1
	v_and_b32_e32 v2, 1, v2
	s_branch .LBB309_131
.LBB309_136:
	global_load_dwordx2 v[0:1], v[0:1], off
	s_and_saveexec_b64 s[6:7], s[0:1]
	s_cbranch_execz .LBB309_139
; %bb.137:
	v_mov_b32_e32 v10, 0
	global_load_dwordx2 v[2:3], v10, s[2:3] offset:40
	global_load_dwordx2 v[12:13], v10, s[2:3] offset:24 sc0 sc1
	global_load_dwordx2 v[14:15], v10, s[2:3]
	s_mov_b64 s[0:1], 0
	s_waitcnt vmcnt(2)
	v_lshl_add_u64 v[6:7], v[2:3], 0, 1
	v_lshl_add_u64 v[16:17], v[6:7], 0, s[4:5]
	v_cmp_eq_u64_e32 vcc, 0, v[16:17]
	s_waitcnt vmcnt(1)
	v_mov_b32_e32 v8, v12
	v_cndmask_b32_e32 v7, v17, v7, vcc
	v_cndmask_b32_e32 v6, v16, v6, vcc
	v_and_b32_e32 v3, v7, v3
	v_and_b32_e32 v2, v6, v2
	v_mul_lo_u32 v3, v3, 24
	v_mul_hi_u32 v9, v2, 24
	v_mul_lo_u32 v2, v2, 24
	v_add_u32_e32 v3, v9, v3
	s_waitcnt vmcnt(0)
	v_lshl_add_u64 v[2:3], v[14:15], 0, v[2:3]
	global_store_dwordx2 v[2:3], v[12:13], off
	v_mov_b32_e32 v9, v13
	buffer_wbl2 sc0 sc1
	s_waitcnt vmcnt(0)
	global_atomic_cmpswap_x2 v[8:9], v10, v[6:9], s[2:3] offset:24 sc0 sc1
	s_waitcnt vmcnt(0)
	v_cmp_ne_u64_e32 vcc, v[8:9], v[12:13]
	s_and_b64 exec, exec, vcc
	s_cbranch_execz .LBB309_139
.LBB309_138:                            ; =>This Inner Loop Header: Depth=1
	s_sleep 1
	global_store_dwordx2 v[2:3], v[8:9], off
	buffer_wbl2 sc0 sc1
	s_waitcnt vmcnt(0)
	global_atomic_cmpswap_x2 v[12:13], v10, v[6:9], s[2:3] offset:24 sc0 sc1
	s_waitcnt vmcnt(0)
	v_cmp_eq_u64_e32 vcc, v[12:13], v[8:9]
	s_or_b64 s[0:1], vcc, s[0:1]
	v_mov_b64_e32 v[8:9], v[12:13]
	s_andn2_b64 exec, exec, s[0:1]
	s_cbranch_execnz .LBB309_138
.LBB309_139:
	s_or_b64 exec, exec, s[6:7]
.LBB309_140:
	s_getpc_b64 s[4:5]
	s_add_u32 s4, s4, .str.2@rel32@lo+4
	s_addc_u32 s5, s5, .str.2@rel32@hi+12
	s_cmp_lg_u64 s[4:5], 0
	s_cbranch_scc0 .LBB309_224
; %bb.141:
	s_getpc_b64 s[0:1]
	s_add_u32 s0, s0, .str.2@rel32@lo+82
	s_addc_u32 s1, s1, .str.2@rel32@hi+90
	s_sub_i32 s6, s0, s4
	s_ashr_i32 s7, s6, 31
	s_waitcnt vmcnt(0)
	v_and_b32_e32 v2, 2, v0
	v_mov_b32_e32 v35, 0
	v_and_b32_e32 v6, -3, v0
	v_mov_b32_e32 v7, v1
	v_mov_b32_e32 v10, 2
	;; [unrolled: 1-line block ×3, first 2 shown]
	s_branch .LBB309_143
.LBB309_142:                            ;   in Loop: Header=BB309_143 Depth=1
	s_or_b64 exec, exec, s[14:15]
	s_sub_u32 s6, s6, s10
	s_subb_u32 s7, s7, s11
	s_add_u32 s4, s4, s10
	s_addc_u32 s5, s5, s11
	s_cmp_lg_u64 s[6:7], 0
	s_cbranch_scc0 .LBB309_225
.LBB309_143:                            ; =>This Loop Header: Depth=1
                                        ;     Child Loop BB309_146 Depth 2
                                        ;     Child Loop BB309_153 Depth 2
	;; [unrolled: 1-line block ×11, first 2 shown]
	v_cmp_lt_u64_e64 s[0:1], s[6:7], 56
	s_and_b64 s[0:1], s[0:1], exec
	v_cmp_gt_u64_e64 s[0:1], s[6:7], 7
	s_cselect_b32 s11, s7, 0
	s_cselect_b32 s10, s6, 56
	s_and_b64 vcc, exec, s[0:1]
	s_cbranch_vccnz .LBB309_148
; %bb.144:                              ;   in Loop: Header=BB309_143 Depth=1
	s_mov_b64 s[0:1], 0
	s_cmp_eq_u64 s[6:7], 0
	v_mov_b64_e32 v[14:15], 0
	s_cbranch_scc1 .LBB309_147
; %bb.145:                              ;   in Loop: Header=BB309_143 Depth=1
	s_lshl_b64 s[12:13], s[10:11], 3
	s_mov_b64 s[14:15], 0
	v_mov_b64_e32 v[14:15], 0
	s_mov_b64 s[16:17], s[4:5]
.LBB309_146:                            ;   Parent Loop BB309_143 Depth=1
                                        ; =>  This Inner Loop Header: Depth=2
	global_load_ubyte v3, v35, s[16:17]
	s_waitcnt vmcnt(0)
	v_and_b32_e32 v34, 0xffff, v3
	v_lshlrev_b64 v[8:9], s14, v[34:35]
	s_add_u32 s14, s14, 8
	s_addc_u32 s15, s15, 0
	s_add_u32 s16, s16, 1
	s_addc_u32 s17, s17, 0
	v_or_b32_e32 v14, v8, v14
	s_cmp_lg_u32 s12, s14
	v_or_b32_e32 v15, v9, v15
	s_cbranch_scc1 .LBB309_146
.LBB309_147:                            ;   in Loop: Header=BB309_143 Depth=1
	s_mov_b32 s16, 0
	s_andn2_b64 vcc, exec, s[0:1]
	s_mov_b64 s[0:1], s[4:5]
	s_cbranch_vccz .LBB309_149
	s_branch .LBB309_150
.LBB309_148:                            ;   in Loop: Header=BB309_143 Depth=1
                                        ; implicit-def: $vgpr14_vgpr15
                                        ; implicit-def: $sgpr16
	s_mov_b64 s[0:1], s[4:5]
.LBB309_149:                            ;   in Loop: Header=BB309_143 Depth=1
	global_load_dwordx2 v[14:15], v35, s[4:5]
	s_add_i32 s16, s10, -8
	s_add_u32 s0, s4, 8
	s_addc_u32 s1, s5, 0
.LBB309_150:                            ;   in Loop: Header=BB309_143 Depth=1
	s_cmp_gt_u32 s16, 7
	s_cbranch_scc1 .LBB309_154
; %bb.151:                              ;   in Loop: Header=BB309_143 Depth=1
	s_cmp_eq_u32 s16, 0
	s_cbranch_scc1 .LBB309_155
; %bb.152:                              ;   in Loop: Header=BB309_143 Depth=1
	s_mov_b64 s[12:13], 0
	v_mov_b64_e32 v[16:17], 0
	s_mov_b64 s[14:15], 0
.LBB309_153:                            ;   Parent Loop BB309_143 Depth=1
                                        ; =>  This Inner Loop Header: Depth=2
	s_add_u32 s18, s0, s14
	s_addc_u32 s19, s1, s15
	global_load_ubyte v3, v35, s[18:19]
	s_add_u32 s14, s14, 1
	s_addc_u32 s15, s15, 0
	s_waitcnt vmcnt(0)
	v_and_b32_e32 v34, 0xffff, v3
	v_lshlrev_b64 v[8:9], s12, v[34:35]
	s_add_u32 s12, s12, 8
	s_addc_u32 s13, s13, 0
	v_or_b32_e32 v16, v8, v16
	s_cmp_lg_u32 s16, s14
	v_or_b32_e32 v17, v9, v17
	s_cbranch_scc1 .LBB309_153
	s_branch .LBB309_156
.LBB309_154:                            ;   in Loop: Header=BB309_143 Depth=1
                                        ; implicit-def: $vgpr16_vgpr17
                                        ; implicit-def: $sgpr17
	s_branch .LBB309_157
.LBB309_155:                            ;   in Loop: Header=BB309_143 Depth=1
	v_mov_b64_e32 v[16:17], 0
.LBB309_156:                            ;   in Loop: Header=BB309_143 Depth=1
	s_mov_b32 s17, 0
	s_cbranch_execnz .LBB309_158
.LBB309_157:                            ;   in Loop: Header=BB309_143 Depth=1
	global_load_dwordx2 v[16:17], v35, s[0:1]
	s_add_i32 s17, s16, -8
	s_add_u32 s0, s0, 8
	s_addc_u32 s1, s1, 0
.LBB309_158:                            ;   in Loop: Header=BB309_143 Depth=1
	s_cmp_gt_u32 s17, 7
	s_cbranch_scc1 .LBB309_162
; %bb.159:                              ;   in Loop: Header=BB309_143 Depth=1
	s_cmp_eq_u32 s17, 0
	s_cbranch_scc1 .LBB309_163
; %bb.160:                              ;   in Loop: Header=BB309_143 Depth=1
	s_mov_b64 s[12:13], 0
	v_mov_b64_e32 v[18:19], 0
	s_mov_b64 s[14:15], 0
.LBB309_161:                            ;   Parent Loop BB309_143 Depth=1
                                        ; =>  This Inner Loop Header: Depth=2
	s_add_u32 s18, s0, s14
	s_addc_u32 s19, s1, s15
	global_load_ubyte v3, v35, s[18:19]
	s_add_u32 s14, s14, 1
	s_addc_u32 s15, s15, 0
	s_waitcnt vmcnt(0)
	v_and_b32_e32 v34, 0xffff, v3
	v_lshlrev_b64 v[8:9], s12, v[34:35]
	s_add_u32 s12, s12, 8
	s_addc_u32 s13, s13, 0
	v_or_b32_e32 v18, v8, v18
	s_cmp_lg_u32 s17, s14
	v_or_b32_e32 v19, v9, v19
	s_cbranch_scc1 .LBB309_161
	s_branch .LBB309_164
.LBB309_162:                            ;   in Loop: Header=BB309_143 Depth=1
                                        ; implicit-def: $sgpr16
	s_branch .LBB309_165
.LBB309_163:                            ;   in Loop: Header=BB309_143 Depth=1
	v_mov_b64_e32 v[18:19], 0
.LBB309_164:                            ;   in Loop: Header=BB309_143 Depth=1
	s_mov_b32 s16, 0
	s_cbranch_execnz .LBB309_166
.LBB309_165:                            ;   in Loop: Header=BB309_143 Depth=1
	global_load_dwordx2 v[18:19], v35, s[0:1]
	s_add_i32 s16, s17, -8
	s_add_u32 s0, s0, 8
	s_addc_u32 s1, s1, 0
.LBB309_166:                            ;   in Loop: Header=BB309_143 Depth=1
	s_cmp_gt_u32 s16, 7
	s_cbranch_scc1 .LBB309_170
; %bb.167:                              ;   in Loop: Header=BB309_143 Depth=1
	s_cmp_eq_u32 s16, 0
	s_cbranch_scc1 .LBB309_171
; %bb.168:                              ;   in Loop: Header=BB309_143 Depth=1
	s_mov_b64 s[12:13], 0
	v_mov_b64_e32 v[20:21], 0
	s_mov_b64 s[14:15], 0
.LBB309_169:                            ;   Parent Loop BB309_143 Depth=1
                                        ; =>  This Inner Loop Header: Depth=2
	s_add_u32 s18, s0, s14
	s_addc_u32 s19, s1, s15
	global_load_ubyte v3, v35, s[18:19]
	s_add_u32 s14, s14, 1
	s_addc_u32 s15, s15, 0
	s_waitcnt vmcnt(0)
	v_and_b32_e32 v34, 0xffff, v3
	v_lshlrev_b64 v[8:9], s12, v[34:35]
	s_add_u32 s12, s12, 8
	s_addc_u32 s13, s13, 0
	v_or_b32_e32 v20, v8, v20
	s_cmp_lg_u32 s16, s14
	v_or_b32_e32 v21, v9, v21
	s_cbranch_scc1 .LBB309_169
	s_branch .LBB309_172
.LBB309_170:                            ;   in Loop: Header=BB309_143 Depth=1
                                        ; implicit-def: $vgpr20_vgpr21
                                        ; implicit-def: $sgpr17
	s_branch .LBB309_173
.LBB309_171:                            ;   in Loop: Header=BB309_143 Depth=1
	v_mov_b64_e32 v[20:21], 0
.LBB309_172:                            ;   in Loop: Header=BB309_143 Depth=1
	s_mov_b32 s17, 0
	s_cbranch_execnz .LBB309_174
.LBB309_173:                            ;   in Loop: Header=BB309_143 Depth=1
	global_load_dwordx2 v[20:21], v35, s[0:1]
	s_add_i32 s17, s16, -8
	s_add_u32 s0, s0, 8
	s_addc_u32 s1, s1, 0
.LBB309_174:                            ;   in Loop: Header=BB309_143 Depth=1
	s_cmp_gt_u32 s17, 7
	s_cbranch_scc1 .LBB309_178
; %bb.175:                              ;   in Loop: Header=BB309_143 Depth=1
	s_cmp_eq_u32 s17, 0
	s_cbranch_scc1 .LBB309_179
; %bb.176:                              ;   in Loop: Header=BB309_143 Depth=1
	s_mov_b64 s[12:13], 0
	v_mov_b64_e32 v[22:23], 0
	s_mov_b64 s[14:15], 0
.LBB309_177:                            ;   Parent Loop BB309_143 Depth=1
                                        ; =>  This Inner Loop Header: Depth=2
	s_add_u32 s18, s0, s14
	s_addc_u32 s19, s1, s15
	global_load_ubyte v3, v35, s[18:19]
	s_add_u32 s14, s14, 1
	s_addc_u32 s15, s15, 0
	s_waitcnt vmcnt(0)
	v_and_b32_e32 v34, 0xffff, v3
	v_lshlrev_b64 v[8:9], s12, v[34:35]
	s_add_u32 s12, s12, 8
	s_addc_u32 s13, s13, 0
	v_or_b32_e32 v22, v8, v22
	s_cmp_lg_u32 s17, s14
	v_or_b32_e32 v23, v9, v23
	s_cbranch_scc1 .LBB309_177
	s_branch .LBB309_180
.LBB309_178:                            ;   in Loop: Header=BB309_143 Depth=1
                                        ; implicit-def: $sgpr16
	s_branch .LBB309_181
.LBB309_179:                            ;   in Loop: Header=BB309_143 Depth=1
	v_mov_b64_e32 v[22:23], 0
.LBB309_180:                            ;   in Loop: Header=BB309_143 Depth=1
	s_mov_b32 s16, 0
	s_cbranch_execnz .LBB309_182
.LBB309_181:                            ;   in Loop: Header=BB309_143 Depth=1
	global_load_dwordx2 v[22:23], v35, s[0:1]
	s_add_i32 s16, s17, -8
	s_add_u32 s0, s0, 8
	s_addc_u32 s1, s1, 0
.LBB309_182:                            ;   in Loop: Header=BB309_143 Depth=1
	s_cmp_gt_u32 s16, 7
	s_cbranch_scc1 .LBB309_186
; %bb.183:                              ;   in Loop: Header=BB309_143 Depth=1
	s_cmp_eq_u32 s16, 0
	s_cbranch_scc1 .LBB309_187
; %bb.184:                              ;   in Loop: Header=BB309_143 Depth=1
	s_mov_b64 s[12:13], 0
	v_mov_b64_e32 v[24:25], 0
	s_mov_b64 s[14:15], 0
.LBB309_185:                            ;   Parent Loop BB309_143 Depth=1
                                        ; =>  This Inner Loop Header: Depth=2
	s_add_u32 s18, s0, s14
	s_addc_u32 s19, s1, s15
	global_load_ubyte v3, v35, s[18:19]
	s_add_u32 s14, s14, 1
	s_addc_u32 s15, s15, 0
	s_waitcnt vmcnt(0)
	v_and_b32_e32 v34, 0xffff, v3
	v_lshlrev_b64 v[8:9], s12, v[34:35]
	s_add_u32 s12, s12, 8
	s_addc_u32 s13, s13, 0
	v_or_b32_e32 v24, v8, v24
	s_cmp_lg_u32 s16, s14
	v_or_b32_e32 v25, v9, v25
	s_cbranch_scc1 .LBB309_185
	s_branch .LBB309_188
.LBB309_186:                            ;   in Loop: Header=BB309_143 Depth=1
                                        ; implicit-def: $vgpr24_vgpr25
                                        ; implicit-def: $sgpr17
	s_branch .LBB309_189
.LBB309_187:                            ;   in Loop: Header=BB309_143 Depth=1
	v_mov_b64_e32 v[24:25], 0
.LBB309_188:                            ;   in Loop: Header=BB309_143 Depth=1
	s_mov_b32 s17, 0
	s_cbranch_execnz .LBB309_190
.LBB309_189:                            ;   in Loop: Header=BB309_143 Depth=1
	global_load_dwordx2 v[24:25], v35, s[0:1]
	s_add_i32 s17, s16, -8
	s_add_u32 s0, s0, 8
	s_addc_u32 s1, s1, 0
.LBB309_190:                            ;   in Loop: Header=BB309_143 Depth=1
	s_cmp_gt_u32 s17, 7
	s_cbranch_scc1 .LBB309_194
; %bb.191:                              ;   in Loop: Header=BB309_143 Depth=1
	s_cmp_eq_u32 s17, 0
	s_cbranch_scc1 .LBB309_195
; %bb.192:                              ;   in Loop: Header=BB309_143 Depth=1
	s_mov_b64 s[12:13], 0
	v_mov_b64_e32 v[26:27], 0
	s_mov_b64 s[14:15], s[0:1]
.LBB309_193:                            ;   Parent Loop BB309_143 Depth=1
                                        ; =>  This Inner Loop Header: Depth=2
	global_load_ubyte v3, v35, s[14:15]
	s_add_i32 s17, s17, -1
	s_waitcnt vmcnt(0)
	v_and_b32_e32 v34, 0xffff, v3
	v_lshlrev_b64 v[8:9], s12, v[34:35]
	s_add_u32 s12, s12, 8
	s_addc_u32 s13, s13, 0
	s_add_u32 s14, s14, 1
	s_addc_u32 s15, s15, 0
	v_or_b32_e32 v26, v8, v26
	s_cmp_lg_u32 s17, 0
	v_or_b32_e32 v27, v9, v27
	s_cbranch_scc1 .LBB309_193
	s_branch .LBB309_196
.LBB309_194:                            ;   in Loop: Header=BB309_143 Depth=1
	s_branch .LBB309_197
.LBB309_195:                            ;   in Loop: Header=BB309_143 Depth=1
	v_mov_b64_e32 v[26:27], 0
.LBB309_196:                            ;   in Loop: Header=BB309_143 Depth=1
	s_cbranch_execnz .LBB309_198
.LBB309_197:                            ;   in Loop: Header=BB309_143 Depth=1
	global_load_dwordx2 v[26:27], v35, s[0:1]
.LBB309_198:                            ;   in Loop: Header=BB309_143 Depth=1
	v_readfirstlane_b32 s0, v38
	s_waitcnt vmcnt(0)
	v_mov_b64_e32 v[8:9], 0
	v_cmp_eq_u32_e64 s[0:1], s0, v38
	s_and_saveexec_b64 s[12:13], s[0:1]
	s_cbranch_execz .LBB309_204
; %bb.199:                              ;   in Loop: Header=BB309_143 Depth=1
	global_load_dwordx2 v[30:31], v35, s[2:3] offset:24 sc0 sc1
	s_waitcnt vmcnt(0)
	buffer_inv sc0 sc1
	global_load_dwordx2 v[8:9], v35, s[2:3] offset:40
	global_load_dwordx2 v[12:13], v35, s[2:3]
	s_waitcnt vmcnt(1)
	v_and_b32_e32 v3, v8, v30
	v_and_b32_e32 v8, v9, v31
	v_mul_lo_u32 v8, v8, 24
	v_mul_hi_u32 v9, v3, 24
	v_add_u32_e32 v9, v9, v8
	v_mul_lo_u32 v8, v3, 24
	s_waitcnt vmcnt(0)
	v_lshl_add_u64 v[8:9], v[12:13], 0, v[8:9]
	global_load_dwordx2 v[28:29], v[8:9], off sc0 sc1
	s_waitcnt vmcnt(0)
	global_atomic_cmpswap_x2 v[8:9], v35, v[28:31], s[2:3] offset:24 sc0 sc1
	s_waitcnt vmcnt(0)
	buffer_inv sc0 sc1
	v_cmp_ne_u64_e32 vcc, v[8:9], v[30:31]
	s_and_saveexec_b64 s[14:15], vcc
	s_cbranch_execz .LBB309_203
; %bb.200:                              ;   in Loop: Header=BB309_143 Depth=1
	s_mov_b64 s[16:17], 0
.LBB309_201:                            ;   Parent Loop BB309_143 Depth=1
                                        ; =>  This Inner Loop Header: Depth=2
	s_sleep 1
	global_load_dwordx2 v[12:13], v35, s[2:3] offset:40
	global_load_dwordx2 v[28:29], v35, s[2:3]
	v_mov_b64_e32 v[30:31], v[8:9]
	s_waitcnt vmcnt(1)
	v_and_b32_e32 v8, v12, v30
	s_waitcnt vmcnt(0)
	v_mad_u64_u32 v[8:9], s[18:19], v8, 24, v[28:29]
	v_and_b32_e32 v3, v13, v31
	v_mov_b32_e32 v12, v9
	v_mad_u64_u32 v[12:13], s[18:19], v3, 24, v[12:13]
	v_mov_b32_e32 v9, v12
	global_load_dwordx2 v[28:29], v[8:9], off sc0 sc1
	s_waitcnt vmcnt(0)
	global_atomic_cmpswap_x2 v[8:9], v35, v[28:31], s[2:3] offset:24 sc0 sc1
	s_waitcnt vmcnt(0)
	buffer_inv sc0 sc1
	v_cmp_eq_u64_e32 vcc, v[8:9], v[30:31]
	s_or_b64 s[16:17], vcc, s[16:17]
	s_andn2_b64 exec, exec, s[16:17]
	s_cbranch_execnz .LBB309_201
; %bb.202:                              ;   in Loop: Header=BB309_143 Depth=1
	s_or_b64 exec, exec, s[16:17]
.LBB309_203:                            ;   in Loop: Header=BB309_143 Depth=1
	s_or_b64 exec, exec, s[14:15]
.LBB309_204:                            ;   in Loop: Header=BB309_143 Depth=1
	s_or_b64 exec, exec, s[12:13]
	global_load_dwordx2 v[12:13], v35, s[2:3] offset:40
	global_load_dwordx4 v[28:31], v35, s[2:3]
	v_readfirstlane_b32 s12, v8
	v_readfirstlane_b32 s13, v9
	s_mov_b64 s[14:15], exec
	s_waitcnt vmcnt(1)
	v_readfirstlane_b32 s16, v12
	v_readfirstlane_b32 s17, v13
	s_and_b64 s[16:17], s[12:13], s[16:17]
	s_mul_i32 s18, s17, 24
	s_mul_hi_u32 s19, s16, 24
	s_add_i32 s19, s19, s18
	s_mul_i32 s18, s16, 24
	s_waitcnt vmcnt(0)
	v_lshl_add_u64 v[36:37], v[28:29], 0, s[18:19]
	s_and_saveexec_b64 s[18:19], s[0:1]
	s_cbranch_execz .LBB309_206
; %bb.205:                              ;   in Loop: Header=BB309_143 Depth=1
	v_mov_b64_e32 v[8:9], s[14:15]
	global_store_dwordx4 v[36:37], v[8:11], off offset:8
.LBB309_206:                            ;   in Loop: Header=BB309_143 Depth=1
	s_or_b64 exec, exec, s[18:19]
	s_lshl_b64 s[14:15], s[16:17], 12
	v_lshl_add_u64 v[30:31], v[30:31], 0, s[14:15]
	v_or_b32_e32 v3, 0, v7
	v_or_b32_e32 v8, v6, v2
	v_cmp_gt_u64_e64 vcc, s[6:7], 56
	s_lshl_b32 s14, s10, 2
	s_add_i32 s14, s14, 28
	v_cndmask_b32_e32 v13, v3, v7, vcc
	v_cndmask_b32_e32 v3, v8, v6, vcc
	s_and_b32 s14, s14, 0x1e0
	v_and_b32_e32 v3, 0xffffff1f, v3
	v_or_b32_e32 v12, s14, v3
	v_readfirstlane_b32 s14, v30
	v_readfirstlane_b32 s15, v31
	s_nop 4
	global_store_dwordx4 v32, v[12:15], s[14:15]
	global_store_dwordx4 v32, v[16:19], s[14:15] offset:16
	global_store_dwordx4 v32, v[20:23], s[14:15] offset:32
	;; [unrolled: 1-line block ×3, first 2 shown]
	s_and_saveexec_b64 s[14:15], s[0:1]
	s_cbranch_execz .LBB309_214
; %bb.207:                              ;   in Loop: Header=BB309_143 Depth=1
	global_load_dwordx2 v[16:17], v35, s[2:3] offset:32 sc0 sc1
	global_load_dwordx2 v[6:7], v35, s[2:3] offset:40
	v_mov_b32_e32 v14, s12
	v_mov_b32_e32 v15, s13
	s_waitcnt vmcnt(0)
	v_readfirstlane_b32 s16, v6
	v_readfirstlane_b32 s17, v7
	s_and_b64 s[16:17], s[16:17], s[12:13]
	s_mul_i32 s17, s17, 24
	s_mul_hi_u32 s18, s16, 24
	s_mul_i32 s16, s16, 24
	s_add_i32 s17, s18, s17
	v_lshl_add_u64 v[12:13], v[28:29], 0, s[16:17]
	global_store_dwordx2 v[12:13], v[16:17], off
	buffer_wbl2 sc0 sc1
	s_waitcnt vmcnt(0)
	global_atomic_cmpswap_x2 v[8:9], v35, v[14:17], s[2:3] offset:32 sc0 sc1
	s_waitcnt vmcnt(0)
	v_cmp_ne_u64_e32 vcc, v[8:9], v[16:17]
	s_and_saveexec_b64 s[16:17], vcc
	s_cbranch_execz .LBB309_210
; %bb.208:                              ;   in Loop: Header=BB309_143 Depth=1
	s_mov_b64 s[18:19], 0
.LBB309_209:                            ;   Parent Loop BB309_143 Depth=1
                                        ; =>  This Inner Loop Header: Depth=2
	s_sleep 1
	global_store_dwordx2 v[12:13], v[8:9], off
	v_mov_b32_e32 v6, s12
	v_mov_b32_e32 v7, s13
	buffer_wbl2 sc0 sc1
	s_waitcnt vmcnt(0)
	global_atomic_cmpswap_x2 v[6:7], v35, v[6:9], s[2:3] offset:32 sc0 sc1
	s_waitcnt vmcnt(0)
	v_cmp_eq_u64_e32 vcc, v[6:7], v[8:9]
	s_or_b64 s[18:19], vcc, s[18:19]
	v_mov_b64_e32 v[8:9], v[6:7]
	s_andn2_b64 exec, exec, s[18:19]
	s_cbranch_execnz .LBB309_209
.LBB309_210:                            ;   in Loop: Header=BB309_143 Depth=1
	s_or_b64 exec, exec, s[16:17]
	global_load_dwordx2 v[6:7], v35, s[2:3] offset:16
	s_mov_b64 s[18:19], exec
	v_mbcnt_lo_u32_b32 v3, s18, 0
	v_mbcnt_hi_u32_b32 v3, s19, v3
	v_cmp_eq_u32_e32 vcc, 0, v3
	s_and_saveexec_b64 s[16:17], vcc
	s_cbranch_execz .LBB309_212
; %bb.211:                              ;   in Loop: Header=BB309_143 Depth=1
	s_bcnt1_i32_b64 s18, s[18:19]
	v_mov_b32_e32 v34, s18
	buffer_wbl2 sc0 sc1
	s_waitcnt vmcnt(0)
	global_atomic_add_x2 v[6:7], v[34:35], off offset:8 sc1
.LBB309_212:                            ;   in Loop: Header=BB309_143 Depth=1
	s_or_b64 exec, exec, s[16:17]
	s_waitcnt vmcnt(0)
	global_load_dwordx2 v[8:9], v[6:7], off offset:16
	s_waitcnt vmcnt(0)
	v_cmp_eq_u64_e32 vcc, 0, v[8:9]
	s_cbranch_vccnz .LBB309_214
; %bb.213:                              ;   in Loop: Header=BB309_143 Depth=1
	global_load_dword v34, v[6:7], off offset:24
	s_waitcnt vmcnt(0)
	v_and_b32_e32 v3, 0xffffff, v34
	s_nop 0
	v_readfirstlane_b32 m0, v3
	buffer_wbl2 sc0 sc1
	global_store_dwordx2 v[8:9], v[34:35], off sc0 sc1
	s_sendmsg sendmsg(MSG_INTERRUPT)
.LBB309_214:                            ;   in Loop: Header=BB309_143 Depth=1
	s_or_b64 exec, exec, s[14:15]
	v_mov_b32_e32 v33, v35
	v_lshl_add_u64 v[6:7], v[30:31], 0, v[32:33]
	s_branch .LBB309_218
.LBB309_215:                            ;   in Loop: Header=BB309_218 Depth=2
	s_or_b64 exec, exec, s[14:15]
	v_readfirstlane_b32 s14, v3
	s_cmp_eq_u32 s14, 0
	s_cbranch_scc1 .LBB309_217
; %bb.216:                              ;   in Loop: Header=BB309_218 Depth=2
	s_sleep 1
	s_cbranch_execnz .LBB309_218
	s_branch .LBB309_220
.LBB309_217:                            ;   in Loop: Header=BB309_143 Depth=1
	s_branch .LBB309_220
.LBB309_218:                            ;   Parent Loop BB309_143 Depth=1
                                        ; =>  This Inner Loop Header: Depth=2
	v_mov_b32_e32 v3, 1
	s_and_saveexec_b64 s[14:15], s[0:1]
	s_cbranch_execz .LBB309_215
; %bb.219:                              ;   in Loop: Header=BB309_218 Depth=2
	global_load_dword v3, v[36:37], off offset:20 sc0 sc1
	s_waitcnt vmcnt(0)
	buffer_inv sc0 sc1
	v_and_b32_e32 v3, 1, v3
	s_branch .LBB309_215
.LBB309_220:                            ;   in Loop: Header=BB309_143 Depth=1
	global_load_dwordx4 v[6:9], v[6:7], off
	s_and_saveexec_b64 s[14:15], s[0:1]
	s_cbranch_execz .LBB309_142
; %bb.221:                              ;   in Loop: Header=BB309_143 Depth=1
	global_load_dwordx2 v[8:9], v35, s[2:3] offset:40
	global_load_dwordx2 v[16:17], v35, s[2:3] offset:24 sc0 sc1
	global_load_dwordx2 v[18:19], v35, s[2:3]
	s_waitcnt vmcnt(2)
	v_lshl_add_u64 v[12:13], v[8:9], 0, 1
	v_lshl_add_u64 v[20:21], v[12:13], 0, s[12:13]
	v_cmp_eq_u64_e32 vcc, 0, v[20:21]
	s_waitcnt vmcnt(1)
	v_mov_b32_e32 v14, v16
	v_mov_b32_e32 v15, v17
	v_cndmask_b32_e32 v13, v21, v13, vcc
	v_cndmask_b32_e32 v12, v20, v12, vcc
	v_and_b32_e32 v3, v13, v9
	v_and_b32_e32 v8, v12, v8
	v_mul_lo_u32 v3, v3, 24
	v_mul_hi_u32 v9, v8, 24
	v_mul_lo_u32 v8, v8, 24
	v_add_u32_e32 v9, v9, v3
	s_waitcnt vmcnt(0)
	v_lshl_add_u64 v[8:9], v[18:19], 0, v[8:9]
	global_store_dwordx2 v[8:9], v[16:17], off
	buffer_wbl2 sc0 sc1
	s_waitcnt vmcnt(0)
	global_atomic_cmpswap_x2 v[14:15], v35, v[12:15], s[2:3] offset:24 sc0 sc1
	s_waitcnt vmcnt(0)
	v_cmp_ne_u64_e32 vcc, v[14:15], v[16:17]
	s_and_b64 exec, exec, vcc
	s_cbranch_execz .LBB309_142
; %bb.222:                              ;   in Loop: Header=BB309_143 Depth=1
	s_mov_b64 s[0:1], 0
.LBB309_223:                            ;   Parent Loop BB309_143 Depth=1
                                        ; =>  This Inner Loop Header: Depth=2
	s_sleep 1
	global_store_dwordx2 v[8:9], v[14:15], off
	buffer_wbl2 sc0 sc1
	s_waitcnt vmcnt(0)
	global_atomic_cmpswap_x2 v[16:17], v35, v[12:15], s[2:3] offset:24 sc0 sc1
	s_waitcnt vmcnt(0)
	v_cmp_eq_u64_e32 vcc, v[16:17], v[14:15]
	s_or_b64 s[0:1], vcc, s[0:1]
	v_mov_b64_e32 v[14:15], v[16:17]
	s_andn2_b64 exec, exec, s[0:1]
	s_cbranch_execnz .LBB309_223
	s_branch .LBB309_142
.LBB309_224:
                                        ; implicit-def: $vgpr6_vgpr7
	s_cbranch_execnz .LBB309_226
	s_branch .LBB309_252
.LBB309_225:
	s_branch .LBB309_252
.LBB309_226:
	v_readfirstlane_b32 s0, v38
	s_waitcnt vmcnt(0)
	v_mov_b64_e32 v[2:3], 0
	v_cmp_eq_u32_e64 s[0:1], s0, v38
	s_and_saveexec_b64 s[4:5], s[0:1]
	s_cbranch_execz .LBB309_232
; %bb.227:
	v_mov_b32_e32 v6, 0
	global_load_dwordx2 v[10:11], v6, s[2:3] offset:24 sc0 sc1
	s_waitcnt vmcnt(0)
	buffer_inv sc0 sc1
	global_load_dwordx2 v[2:3], v6, s[2:3] offset:40
	global_load_dwordx2 v[8:9], v6, s[2:3]
	s_waitcnt vmcnt(1)
	v_and_b32_e32 v2, v2, v10
	v_and_b32_e32 v3, v3, v11
	v_mul_lo_u32 v3, v3, 24
	v_mul_hi_u32 v7, v2, 24
	v_add_u32_e32 v3, v7, v3
	v_mul_lo_u32 v2, v2, 24
	s_waitcnt vmcnt(0)
	v_lshl_add_u64 v[2:3], v[8:9], 0, v[2:3]
	global_load_dwordx2 v[8:9], v[2:3], off sc0 sc1
	s_waitcnt vmcnt(0)
	global_atomic_cmpswap_x2 v[2:3], v6, v[8:11], s[2:3] offset:24 sc0 sc1
	s_waitcnt vmcnt(0)
	buffer_inv sc0 sc1
	v_cmp_ne_u64_e32 vcc, v[2:3], v[10:11]
	s_and_saveexec_b64 s[6:7], vcc
	s_cbranch_execz .LBB309_231
; %bb.228:
	s_mov_b64 s[10:11], 0
.LBB309_229:                            ; =>This Inner Loop Header: Depth=1
	s_sleep 1
	global_load_dwordx2 v[8:9], v6, s[2:3] offset:40
	global_load_dwordx2 v[12:13], v6, s[2:3]
	v_mov_b64_e32 v[10:11], v[2:3]
	s_waitcnt vmcnt(1)
	v_and_b32_e32 v2, v8, v10
	s_waitcnt vmcnt(0)
	v_mad_u64_u32 v[2:3], s[12:13], v2, 24, v[12:13]
	v_and_b32_e32 v7, v9, v11
	v_mov_b32_e32 v8, v3
	v_mad_u64_u32 v[8:9], s[12:13], v7, 24, v[8:9]
	v_mov_b32_e32 v3, v8
	global_load_dwordx2 v[8:9], v[2:3], off sc0 sc1
	s_waitcnt vmcnt(0)
	global_atomic_cmpswap_x2 v[2:3], v6, v[8:11], s[2:3] offset:24 sc0 sc1
	s_waitcnt vmcnt(0)
	buffer_inv sc0 sc1
	v_cmp_eq_u64_e32 vcc, v[2:3], v[10:11]
	s_or_b64 s[10:11], vcc, s[10:11]
	s_andn2_b64 exec, exec, s[10:11]
	s_cbranch_execnz .LBB309_229
; %bb.230:
	s_or_b64 exec, exec, s[10:11]
.LBB309_231:
	s_or_b64 exec, exec, s[6:7]
.LBB309_232:
	s_or_b64 exec, exec, s[4:5]
	v_mov_b32_e32 v33, 0
	global_load_dwordx2 v[10:11], v33, s[2:3] offset:40
	global_load_dwordx4 v[6:9], v33, s[2:3]
	v_readfirstlane_b32 s4, v2
	v_readfirstlane_b32 s5, v3
	s_mov_b64 s[6:7], exec
	s_waitcnt vmcnt(1)
	v_readfirstlane_b32 s10, v10
	v_readfirstlane_b32 s11, v11
	s_and_b64 s[10:11], s[4:5], s[10:11]
	s_mul_i32 s12, s11, 24
	s_mul_hi_u32 s13, s10, 24
	s_add_i32 s13, s13, s12
	s_mul_i32 s12, s10, 24
	s_waitcnt vmcnt(0)
	v_lshl_add_u64 v[10:11], v[6:7], 0, s[12:13]
	s_and_saveexec_b64 s[12:13], s[0:1]
	s_cbranch_execz .LBB309_234
; %bb.233:
	v_mov_b64_e32 v[12:13], s[6:7]
	v_mov_b32_e32 v14, 2
	v_mov_b32_e32 v15, 1
	global_store_dwordx4 v[10:11], v[12:15], off offset:8
.LBB309_234:
	s_or_b64 exec, exec, s[12:13]
	s_lshl_b64 s[6:7], s[10:11], 12
	v_lshl_add_u64 v[8:9], v[8:9], 0, s[6:7]
	s_movk_i32 s6, 0xff1f
	s_mov_b32 s12, 0
	v_and_or_b32 v0, v0, s6, 32
	v_mov_b32_e32 v2, v33
	v_mov_b32_e32 v3, v33
	v_readfirstlane_b32 s6, v8
	v_readfirstlane_b32 s7, v9
	s_mov_b32 s13, s12
	s_mov_b32 s14, s12
	;; [unrolled: 1-line block ×3, first 2 shown]
	s_nop 1
	global_store_dwordx4 v32, v[0:3], s[6:7]
	s_nop 1
	v_mov_b64_e32 v[0:1], s[12:13]
	v_mov_b64_e32 v[2:3], s[14:15]
	global_store_dwordx4 v32, v[0:3], s[6:7] offset:16
	global_store_dwordx4 v32, v[0:3], s[6:7] offset:32
	;; [unrolled: 1-line block ×3, first 2 shown]
	s_and_saveexec_b64 s[6:7], s[0:1]
	s_cbranch_execz .LBB309_242
; %bb.235:
	v_mov_b32_e32 v12, 0
	global_load_dwordx2 v[16:17], v12, s[2:3] offset:32 sc0 sc1
	global_load_dwordx2 v[0:1], v12, s[2:3] offset:40
	v_mov_b32_e32 v14, s4
	v_mov_b32_e32 v15, s5
	s_waitcnt vmcnt(0)
	v_readfirstlane_b32 s10, v0
	v_readfirstlane_b32 s11, v1
	s_and_b64 s[10:11], s[10:11], s[4:5]
	s_mul_i32 s11, s11, 24
	s_mul_hi_u32 s12, s10, 24
	s_mul_i32 s10, s10, 24
	s_add_i32 s11, s12, s11
	v_lshl_add_u64 v[6:7], v[6:7], 0, s[10:11]
	global_store_dwordx2 v[6:7], v[16:17], off
	buffer_wbl2 sc0 sc1
	s_waitcnt vmcnt(0)
	global_atomic_cmpswap_x2 v[2:3], v12, v[14:17], s[2:3] offset:32 sc0 sc1
	s_waitcnt vmcnt(0)
	v_cmp_ne_u64_e32 vcc, v[2:3], v[16:17]
	s_and_saveexec_b64 s[10:11], vcc
	s_cbranch_execz .LBB309_238
; %bb.236:
	s_mov_b64 s[12:13], 0
.LBB309_237:                            ; =>This Inner Loop Header: Depth=1
	s_sleep 1
	global_store_dwordx2 v[6:7], v[2:3], off
	v_mov_b32_e32 v0, s4
	v_mov_b32_e32 v1, s5
	buffer_wbl2 sc0 sc1
	s_waitcnt vmcnt(0)
	global_atomic_cmpswap_x2 v[0:1], v12, v[0:3], s[2:3] offset:32 sc0 sc1
	s_waitcnt vmcnt(0)
	v_cmp_eq_u64_e32 vcc, v[0:1], v[2:3]
	s_or_b64 s[12:13], vcc, s[12:13]
	v_mov_b64_e32 v[2:3], v[0:1]
	s_andn2_b64 exec, exec, s[12:13]
	s_cbranch_execnz .LBB309_237
.LBB309_238:
	s_or_b64 exec, exec, s[10:11]
	v_mov_b32_e32 v3, 0
	global_load_dwordx2 v[0:1], v3, s[2:3] offset:16
	s_mov_b64 s[10:11], exec
	v_mbcnt_lo_u32_b32 v2, s10, 0
	v_mbcnt_hi_u32_b32 v2, s11, v2
	v_cmp_eq_u32_e32 vcc, 0, v2
	s_and_saveexec_b64 s[12:13], vcc
	s_cbranch_execz .LBB309_240
; %bb.239:
	s_bcnt1_i32_b64 s10, s[10:11]
	v_mov_b32_e32 v2, s10
	buffer_wbl2 sc0 sc1
	s_waitcnt vmcnt(0)
	global_atomic_add_x2 v[0:1], v[2:3], off offset:8 sc1
.LBB309_240:
	s_or_b64 exec, exec, s[12:13]
	s_waitcnt vmcnt(0)
	global_load_dwordx2 v[2:3], v[0:1], off offset:16
	s_waitcnt vmcnt(0)
	v_cmp_eq_u64_e32 vcc, 0, v[2:3]
	s_cbranch_vccnz .LBB309_242
; %bb.241:
	global_load_dword v0, v[0:1], off offset:24
	v_mov_b32_e32 v1, 0
	buffer_wbl2 sc0 sc1
	s_waitcnt vmcnt(0)
	global_store_dwordx2 v[2:3], v[0:1], off sc0 sc1
	v_and_b32_e32 v0, 0xffffff, v0
	s_nop 0
	v_readfirstlane_b32 m0, v0
	s_sendmsg sendmsg(MSG_INTERRUPT)
.LBB309_242:
	s_or_b64 exec, exec, s[6:7]
	v_lshl_add_u64 v[0:1], v[8:9], 0, v[32:33]
	s_branch .LBB309_246
.LBB309_243:                            ;   in Loop: Header=BB309_246 Depth=1
	s_or_b64 exec, exec, s[6:7]
	v_readfirstlane_b32 s6, v2
	s_cmp_eq_u32 s6, 0
	s_cbranch_scc1 .LBB309_245
; %bb.244:                              ;   in Loop: Header=BB309_246 Depth=1
	s_sleep 1
	s_cbranch_execnz .LBB309_246
	s_branch .LBB309_248
.LBB309_245:
	s_branch .LBB309_248
.LBB309_246:                            ; =>This Inner Loop Header: Depth=1
	v_mov_b32_e32 v2, 1
	s_and_saveexec_b64 s[6:7], s[0:1]
	s_cbranch_execz .LBB309_243
; %bb.247:                              ;   in Loop: Header=BB309_246 Depth=1
	global_load_dword v2, v[10:11], off offset:20 sc0 sc1
	s_waitcnt vmcnt(0)
	buffer_inv sc0 sc1
	v_and_b32_e32 v2, 1, v2
	s_branch .LBB309_243
.LBB309_248:
	global_load_dwordx2 v[6:7], v[0:1], off
	s_and_saveexec_b64 s[6:7], s[0:1]
	s_cbranch_execz .LBB309_251
; %bb.249:
	v_mov_b32_e32 v10, 0
	global_load_dwordx2 v[8:9], v10, s[2:3] offset:40
	global_load_dwordx2 v[12:13], v10, s[2:3] offset:24 sc0 sc1
	global_load_dwordx2 v[14:15], v10, s[2:3]
	s_mov_b64 s[0:1], 0
	s_waitcnt vmcnt(2)
	v_lshl_add_u64 v[0:1], v[8:9], 0, 1
	v_lshl_add_u64 v[16:17], v[0:1], 0, s[4:5]
	v_cmp_eq_u64_e32 vcc, 0, v[16:17]
	s_waitcnt vmcnt(1)
	v_mov_b32_e32 v2, v12
	v_cndmask_b32_e32 v1, v17, v1, vcc
	v_cndmask_b32_e32 v0, v16, v0, vcc
	v_and_b32_e32 v3, v1, v9
	v_and_b32_e32 v8, v0, v8
	v_mul_lo_u32 v3, v3, 24
	v_mul_hi_u32 v9, v8, 24
	v_mul_lo_u32 v8, v8, 24
	v_add_u32_e32 v9, v9, v3
	s_waitcnt vmcnt(0)
	v_lshl_add_u64 v[8:9], v[14:15], 0, v[8:9]
	global_store_dwordx2 v[8:9], v[12:13], off
	v_mov_b32_e32 v3, v13
	buffer_wbl2 sc0 sc1
	s_waitcnt vmcnt(0)
	global_atomic_cmpswap_x2 v[2:3], v10, v[0:3], s[2:3] offset:24 sc0 sc1
	s_waitcnt vmcnt(0)
	v_cmp_ne_u64_e32 vcc, v[2:3], v[12:13]
	s_and_b64 exec, exec, vcc
	s_cbranch_execz .LBB309_251
.LBB309_250:                            ; =>This Inner Loop Header: Depth=1
	s_sleep 1
	global_store_dwordx2 v[8:9], v[2:3], off
	buffer_wbl2 sc0 sc1
	s_waitcnt vmcnt(0)
	global_atomic_cmpswap_x2 v[12:13], v10, v[0:3], s[2:3] offset:24 sc0 sc1
	s_waitcnt vmcnt(0)
	v_cmp_eq_u64_e32 vcc, v[12:13], v[2:3]
	s_or_b64 s[0:1], vcc, s[0:1]
	v_mov_b64_e32 v[2:3], v[12:13]
	s_andn2_b64 exec, exec, s[0:1]
	s_cbranch_execnz .LBB309_250
.LBB309_251:
	s_or_b64 exec, exec, s[6:7]
.LBB309_252:
	v_readfirstlane_b32 s0, v38
	s_waitcnt vmcnt(0)
	v_mov_b64_e32 v[8:9], 0
	v_cmp_eq_u32_e64 s[0:1], s0, v38
	s_and_saveexec_b64 s[4:5], s[0:1]
	s_cbranch_execz .LBB309_258
; %bb.253:
	v_mov_b32_e32 v0, 0
	global_load_dwordx2 v[10:11], v0, s[2:3] offset:24 sc0 sc1
	s_waitcnt vmcnt(0)
	buffer_inv sc0 sc1
	global_load_dwordx2 v[2:3], v0, s[2:3] offset:40
	global_load_dwordx2 v[8:9], v0, s[2:3]
	s_waitcnt vmcnt(1)
	v_and_b32_e32 v1, v2, v10
	v_and_b32_e32 v2, v3, v11
	v_mul_lo_u32 v2, v2, 24
	v_mul_hi_u32 v3, v1, 24
	v_add_u32_e32 v3, v3, v2
	v_mul_lo_u32 v2, v1, 24
	s_waitcnt vmcnt(0)
	v_lshl_add_u64 v[2:3], v[8:9], 0, v[2:3]
	global_load_dwordx2 v[8:9], v[2:3], off sc0 sc1
	s_waitcnt vmcnt(0)
	global_atomic_cmpswap_x2 v[8:9], v0, v[8:11], s[2:3] offset:24 sc0 sc1
	s_waitcnt vmcnt(0)
	buffer_inv sc0 sc1
	v_cmp_ne_u64_e32 vcc, v[8:9], v[10:11]
	s_and_saveexec_b64 s[6:7], vcc
	s_cbranch_execz .LBB309_257
; %bb.254:
	s_mov_b64 s[10:11], 0
.LBB309_255:                            ; =>This Inner Loop Header: Depth=1
	s_sleep 1
	global_load_dwordx2 v[2:3], v0, s[2:3] offset:40
	global_load_dwordx2 v[12:13], v0, s[2:3]
	v_mov_b64_e32 v[10:11], v[8:9]
	s_waitcnt vmcnt(1)
	v_and_b32_e32 v2, v2, v10
	v_and_b32_e32 v1, v3, v11
	s_waitcnt vmcnt(0)
	v_mad_u64_u32 v[2:3], s[12:13], v2, 24, v[12:13]
	v_mov_b32_e32 v8, v3
	v_mad_u64_u32 v[8:9], s[12:13], v1, 24, v[8:9]
	v_mov_b32_e32 v3, v8
	global_load_dwordx2 v[8:9], v[2:3], off sc0 sc1
	s_waitcnt vmcnt(0)
	global_atomic_cmpswap_x2 v[8:9], v0, v[8:11], s[2:3] offset:24 sc0 sc1
	s_waitcnt vmcnt(0)
	buffer_inv sc0 sc1
	v_cmp_eq_u64_e32 vcc, v[8:9], v[10:11]
	s_or_b64 s[10:11], vcc, s[10:11]
	s_andn2_b64 exec, exec, s[10:11]
	s_cbranch_execnz .LBB309_255
; %bb.256:
	s_or_b64 exec, exec, s[10:11]
.LBB309_257:
	s_or_b64 exec, exec, s[6:7]
.LBB309_258:
	s_or_b64 exec, exec, s[4:5]
	v_mov_b32_e32 v33, 0
	global_load_dwordx2 v[10:11], v33, s[2:3] offset:40
	global_load_dwordx4 v[0:3], v33, s[2:3]
	v_readfirstlane_b32 s4, v8
	v_readfirstlane_b32 s5, v9
	s_mov_b64 s[6:7], exec
	s_waitcnt vmcnt(1)
	v_readfirstlane_b32 s10, v10
	v_readfirstlane_b32 s11, v11
	s_and_b64 s[10:11], s[4:5], s[10:11]
	s_mul_i32 s12, s11, 24
	s_mul_hi_u32 s13, s10, 24
	s_add_i32 s13, s13, s12
	s_mul_i32 s12, s10, 24
	s_waitcnt vmcnt(0)
	v_lshl_add_u64 v[10:11], v[0:1], 0, s[12:13]
	s_and_saveexec_b64 s[12:13], s[0:1]
	s_cbranch_execz .LBB309_260
; %bb.259:
	v_mov_b64_e32 v[12:13], s[6:7]
	v_mov_b32_e32 v14, 2
	v_mov_b32_e32 v15, 1
	global_store_dwordx4 v[10:11], v[12:15], off offset:8
.LBB309_260:
	s_or_b64 exec, exec, s[12:13]
	s_lshl_b64 s[6:7], s[10:11], 12
	v_lshl_add_u64 v[12:13], v[2:3], 0, s[6:7]
	s_movk_i32 s6, 0xff1f
	s_mov_b32 s12, 0
	v_and_or_b32 v6, v6, s6, 32
	v_mov_b32_e32 v8, 0x6c9
	v_mov_b32_e32 v9, v33
	v_readfirstlane_b32 s6, v12
	v_readfirstlane_b32 s7, v13
	s_mov_b32 s13, s12
	s_mov_b32 s14, s12
	;; [unrolled: 1-line block ×3, first 2 shown]
	s_nop 1
	global_store_dwordx4 v32, v[6:9], s[6:7]
	s_nop 1
	v_mov_b64_e32 v[6:7], s[12:13]
	v_mov_b64_e32 v[8:9], s[14:15]
	global_store_dwordx4 v32, v[6:9], s[6:7] offset:16
	global_store_dwordx4 v32, v[6:9], s[6:7] offset:32
	;; [unrolled: 1-line block ×3, first 2 shown]
	s_and_saveexec_b64 s[6:7], s[0:1]
	s_cbranch_execz .LBB309_268
; %bb.261:
	v_mov_b32_e32 v8, 0
	global_load_dwordx2 v[16:17], v8, s[2:3] offset:32 sc0 sc1
	global_load_dwordx2 v[2:3], v8, s[2:3] offset:40
	v_mov_b32_e32 v14, s4
	v_mov_b32_e32 v15, s5
	s_waitcnt vmcnt(0)
	v_readfirstlane_b32 s10, v2
	v_readfirstlane_b32 s11, v3
	s_and_b64 s[10:11], s[10:11], s[4:5]
	s_mul_i32 s11, s11, 24
	s_mul_hi_u32 s12, s10, 24
	s_mul_i32 s10, s10, 24
	s_add_i32 s11, s12, s11
	v_lshl_add_u64 v[6:7], v[0:1], 0, s[10:11]
	global_store_dwordx2 v[6:7], v[16:17], off
	buffer_wbl2 sc0 sc1
	s_waitcnt vmcnt(0)
	global_atomic_cmpswap_x2 v[2:3], v8, v[14:17], s[2:3] offset:32 sc0 sc1
	s_waitcnt vmcnt(0)
	v_cmp_ne_u64_e32 vcc, v[2:3], v[16:17]
	s_and_saveexec_b64 s[10:11], vcc
	s_cbranch_execz .LBB309_264
; %bb.262:
	s_mov_b64 s[12:13], 0
.LBB309_263:                            ; =>This Inner Loop Header: Depth=1
	s_sleep 1
	global_store_dwordx2 v[6:7], v[2:3], off
	v_mov_b32_e32 v0, s4
	v_mov_b32_e32 v1, s5
	buffer_wbl2 sc0 sc1
	s_waitcnt vmcnt(0)
	global_atomic_cmpswap_x2 v[0:1], v8, v[0:3], s[2:3] offset:32 sc0 sc1
	s_waitcnt vmcnt(0)
	v_cmp_eq_u64_e32 vcc, v[0:1], v[2:3]
	s_or_b64 s[12:13], vcc, s[12:13]
	v_mov_b64_e32 v[2:3], v[0:1]
	s_andn2_b64 exec, exec, s[12:13]
	s_cbranch_execnz .LBB309_263
.LBB309_264:
	s_or_b64 exec, exec, s[10:11]
	v_mov_b32_e32 v3, 0
	global_load_dwordx2 v[0:1], v3, s[2:3] offset:16
	s_mov_b64 s[10:11], exec
	v_mbcnt_lo_u32_b32 v2, s10, 0
	v_mbcnt_hi_u32_b32 v2, s11, v2
	v_cmp_eq_u32_e32 vcc, 0, v2
	s_and_saveexec_b64 s[12:13], vcc
	s_cbranch_execz .LBB309_266
; %bb.265:
	s_bcnt1_i32_b64 s10, s[10:11]
	v_mov_b32_e32 v2, s10
	buffer_wbl2 sc0 sc1
	s_waitcnt vmcnt(0)
	global_atomic_add_x2 v[0:1], v[2:3], off offset:8 sc1
.LBB309_266:
	s_or_b64 exec, exec, s[12:13]
	s_waitcnt vmcnt(0)
	global_load_dwordx2 v[2:3], v[0:1], off offset:16
	s_waitcnt vmcnt(0)
	v_cmp_eq_u64_e32 vcc, 0, v[2:3]
	s_cbranch_vccnz .LBB309_268
; %bb.267:
	global_load_dword v0, v[0:1], off offset:24
	v_mov_b32_e32 v1, 0
	buffer_wbl2 sc0 sc1
	s_waitcnt vmcnt(0)
	global_store_dwordx2 v[2:3], v[0:1], off sc0 sc1
	v_and_b32_e32 v0, 0xffffff, v0
	s_nop 0
	v_readfirstlane_b32 m0, v0
	s_sendmsg sendmsg(MSG_INTERRUPT)
.LBB309_268:
	s_or_b64 exec, exec, s[6:7]
	v_lshl_add_u64 v[0:1], v[12:13], 0, v[32:33]
	s_branch .LBB309_272
.LBB309_269:                            ;   in Loop: Header=BB309_272 Depth=1
	s_or_b64 exec, exec, s[6:7]
	v_readfirstlane_b32 s6, v2
	s_cmp_eq_u32 s6, 0
	s_cbranch_scc1 .LBB309_271
; %bb.270:                              ;   in Loop: Header=BB309_272 Depth=1
	s_sleep 1
	s_cbranch_execnz .LBB309_272
	s_branch .LBB309_274
.LBB309_271:
	s_branch .LBB309_274
.LBB309_272:                            ; =>This Inner Loop Header: Depth=1
	v_mov_b32_e32 v2, 1
	s_and_saveexec_b64 s[6:7], s[0:1]
	s_cbranch_execz .LBB309_269
; %bb.273:                              ;   in Loop: Header=BB309_272 Depth=1
	global_load_dword v2, v[10:11], off offset:20 sc0 sc1
	s_waitcnt vmcnt(0)
	buffer_inv sc0 sc1
	v_and_b32_e32 v2, 1, v2
	s_branch .LBB309_269
.LBB309_274:
	global_load_dwordx2 v[0:1], v[0:1], off
	s_and_saveexec_b64 s[6:7], s[0:1]
	s_cbranch_execz .LBB309_277
; %bb.275:
	v_mov_b32_e32 v10, 0
	global_load_dwordx2 v[2:3], v10, s[2:3] offset:40
	global_load_dwordx2 v[12:13], v10, s[2:3] offset:24 sc0 sc1
	global_load_dwordx2 v[14:15], v10, s[2:3]
	s_mov_b64 s[0:1], 0
	s_waitcnt vmcnt(2)
	v_lshl_add_u64 v[6:7], v[2:3], 0, 1
	v_lshl_add_u64 v[16:17], v[6:7], 0, s[4:5]
	v_cmp_eq_u64_e32 vcc, 0, v[16:17]
	s_waitcnt vmcnt(1)
	v_mov_b32_e32 v8, v12
	v_cndmask_b32_e32 v7, v17, v7, vcc
	v_cndmask_b32_e32 v6, v16, v6, vcc
	v_and_b32_e32 v3, v7, v3
	v_and_b32_e32 v2, v6, v2
	v_mul_lo_u32 v3, v3, 24
	v_mul_hi_u32 v9, v2, 24
	v_mul_lo_u32 v2, v2, 24
	v_add_u32_e32 v3, v9, v3
	s_waitcnt vmcnt(0)
	v_lshl_add_u64 v[2:3], v[14:15], 0, v[2:3]
	global_store_dwordx2 v[2:3], v[12:13], off
	v_mov_b32_e32 v9, v13
	buffer_wbl2 sc0 sc1
	s_waitcnt vmcnt(0)
	global_atomic_cmpswap_x2 v[8:9], v10, v[6:9], s[2:3] offset:24 sc0 sc1
	s_waitcnt vmcnt(0)
	v_cmp_ne_u64_e32 vcc, v[8:9], v[12:13]
	s_and_b64 exec, exec, vcc
	s_cbranch_execz .LBB309_277
.LBB309_276:                            ; =>This Inner Loop Header: Depth=1
	s_sleep 1
	global_store_dwordx2 v[2:3], v[8:9], off
	buffer_wbl2 sc0 sc1
	s_waitcnt vmcnt(0)
	global_atomic_cmpswap_x2 v[12:13], v10, v[6:9], s[2:3] offset:24 sc0 sc1
	s_waitcnt vmcnt(0)
	v_cmp_eq_u64_e32 vcc, v[12:13], v[8:9]
	s_or_b64 s[0:1], vcc, s[0:1]
	v_mov_b64_e32 v[8:9], v[12:13]
	s_andn2_b64 exec, exec, s[0:1]
	s_cbranch_execnz .LBB309_276
.LBB309_277:
	s_or_b64 exec, exec, s[6:7]
	s_mov_b64 s[0:1], 0
	v_mov_b64_e32 v[2:3], v[4:5]
.LBB309_278:                            ; =>This Inner Loop Header: Depth=1
	flat_load_ubyte v6, v[2:3]
	v_lshl_add_u64 v[2:3], v[2:3], 0, 1
	s_waitcnt vmcnt(0) lgkmcnt(0)
	v_cmp_eq_u16_e32 vcc, 0, v6
	s_or_b64 s[0:1], vcc, s[0:1]
	s_andn2_b64 exec, exec, s[0:1]
	s_cbranch_execnz .LBB309_278
; %bb.279:
	s_or_b64 exec, exec, s[0:1]
	s_mov_b64 s[4:5], 0
	v_cmp_ne_u64_e32 vcc, 0, v[4:5]
	s_and_saveexec_b64 s[0:1], vcc
	s_xor_b64 s[6:7], exec, s[0:1]
	s_cbranch_execz .LBB309_365
; %bb.280:
	v_sub_u32_e32 v26, v2, v4
	v_ashrrev_i32_e32 v27, 31, v26
	v_and_b32_e32 v28, 2, v0
	v_mov_b32_e32 v33, 0
	v_and_b32_e32 v0, -3, v0
	s_mov_b32 s18, 0
	s_movk_i32 s19, 0xff1f
	v_mov_b32_e32 v8, 2
	v_mov_b32_e32 v9, 1
	s_branch .LBB309_282
.LBB309_281:                            ;   in Loop: Header=BB309_282 Depth=1
	s_or_b64 exec, exec, s[12:13]
	v_sub_co_u32_e32 v26, vcc, v26, v30
	v_lshl_add_u64 v[4:5], v[4:5], 0, v[30:31]
	s_nop 0
	v_subb_co_u32_e32 v27, vcc, v27, v31, vcc
	v_cmp_eq_u64_e32 vcc, 0, v[26:27]
	s_or_b64 s[4:5], vcc, s[4:5]
	s_andn2_b64 exec, exec, s[4:5]
	s_cbranch_execz .LBB309_364
.LBB309_282:                            ; =>This Loop Header: Depth=1
                                        ;     Child Loop BB309_285 Depth 2
                                        ;     Child Loop BB309_293 Depth 2
	;; [unrolled: 1-line block ×11, first 2 shown]
	v_cmp_gt_u64_e32 vcc, 56, v[26:27]
                                        ; implicit-def: $vgpr2_vgpr3
                                        ; implicit-def: $sgpr10
	s_nop 1
	v_cndmask_b32_e32 v31, 0, v27, vcc
	v_cndmask_b32_e32 v30, 56, v26, vcc
	v_cmp_gt_u64_e32 vcc, 8, v[26:27]
	s_and_saveexec_b64 s[0:1], vcc
	s_xor_b64 s[0:1], exec, s[0:1]
	s_cbranch_execz .LBB309_288
; %bb.283:                              ;   in Loop: Header=BB309_282 Depth=1
	s_mov_b64 s[12:13], 0
	v_cmp_ne_u64_e32 vcc, 0, v[26:27]
	s_waitcnt vmcnt(0)
	v_mov_b64_e32 v[2:3], 0
	s_and_saveexec_b64 s[10:11], vcc
	s_cbranch_execz .LBB309_287
; %bb.284:                              ;   in Loop: Header=BB309_282 Depth=1
	v_lshlrev_b64 v[6:7], 3, v[30:31]
	v_mov_b64_e32 v[2:3], 0
	v_mov_b64_e32 v[10:11], v[4:5]
	s_mov_b64 s[14:15], 0
.LBB309_285:                            ;   Parent Loop BB309_282 Depth=1
                                        ; =>  This Inner Loop Header: Depth=2
	flat_load_ubyte v7, v[10:11]
	v_mov_b32_e32 v13, s18
	v_lshl_add_u64 v[10:11], v[10:11], 0, 1
	s_waitcnt vmcnt(0) lgkmcnt(0)
	v_and_b32_e32 v12, 0xffff, v7
	v_lshlrev_b64 v[12:13], s14, v[12:13]
	s_add_u32 s14, s14, 8
	s_addc_u32 s15, s15, 0
	v_cmp_eq_u32_e32 vcc, s14, v6
	v_or_b32_e32 v3, v13, v3
	s_or_b64 s[12:13], vcc, s[12:13]
	v_or_b32_e32 v2, v12, v2
	s_andn2_b64 exec, exec, s[12:13]
	s_cbranch_execnz .LBB309_285
; %bb.286:                              ;   in Loop: Header=BB309_282 Depth=1
	s_or_b64 exec, exec, s[12:13]
.LBB309_287:                            ;   in Loop: Header=BB309_282 Depth=1
	s_or_b64 exec, exec, s[10:11]
	s_mov_b32 s10, 0
.LBB309_288:                            ;   in Loop: Header=BB309_282 Depth=1
	s_or_saveexec_b64 s[0:1], s[0:1]
	v_mov_b32_e32 v12, s10
	v_mov_b64_e32 v[6:7], v[4:5]
	s_xor_b64 exec, exec, s[0:1]
	s_cbranch_execz .LBB309_290
; %bb.289:                              ;   in Loop: Header=BB309_282 Depth=1
	s_waitcnt vmcnt(0)
	flat_load_dwordx2 v[2:3], v[4:5]
	v_add_u32_e32 v12, -8, v30
	s_waitcnt vmcnt(0) lgkmcnt(0)
	v_and_b32_e32 v6, 0xff, v3
	v_and_b32_e32 v7, 0xff00, v3
	;; [unrolled: 1-line block ×4, first 2 shown]
	v_or_b32_e32 v6, v6, v7
	v_or3_b32 v2, v2, 0, 0
	v_or3_b32 v3, v6, v10, v3
	v_lshl_add_u64 v[6:7], v[4:5], 0, 8
.LBB309_290:                            ;   in Loop: Header=BB309_282 Depth=1
	s_or_b64 exec, exec, s[0:1]
	v_cmp_gt_u32_e32 vcc, 8, v12
                                        ; implicit-def: $vgpr10_vgpr11
                                        ; implicit-def: $sgpr10
	s_and_saveexec_b64 s[0:1], vcc
	s_xor_b64 s[0:1], exec, s[0:1]
	s_cbranch_execz .LBB309_296
; %bb.291:                              ;   in Loop: Header=BB309_282 Depth=1
	v_cmp_ne_u32_e32 vcc, 0, v12
	v_mov_b64_e32 v[10:11], 0
	s_and_saveexec_b64 s[10:11], vcc
	s_cbranch_execz .LBB309_295
; %bb.292:                              ;   in Loop: Header=BB309_282 Depth=1
	s_mov_b64 s[12:13], 0
	v_mov_b64_e32 v[10:11], 0
	s_mov_b64 s[14:15], 0
	s_mov_b64 s[16:17], 0
.LBB309_293:                            ;   Parent Loop BB309_282 Depth=1
                                        ; =>  This Inner Loop Header: Depth=2
	v_lshl_add_u64 v[14:15], v[6:7], 0, s[16:17]
	flat_load_ubyte v13, v[14:15]
	s_add_u32 s16, s16, 1
	v_mov_b32_e32 v15, s18
	s_addc_u32 s17, s17, 0
	v_cmp_eq_u32_e32 vcc, s16, v12
	s_waitcnt vmcnt(0) lgkmcnt(0)
	v_and_b32_e32 v14, 0xffff, v13
	v_lshlrev_b64 v[14:15], s14, v[14:15]
	s_add_u32 s14, s14, 8
	s_addc_u32 s15, s15, 0
	v_or_b32_e32 v11, v15, v11
	s_or_b64 s[12:13], vcc, s[12:13]
	v_or_b32_e32 v10, v14, v10
	s_andn2_b64 exec, exec, s[12:13]
	s_cbranch_execnz .LBB309_293
; %bb.294:                              ;   in Loop: Header=BB309_282 Depth=1
	s_or_b64 exec, exec, s[12:13]
.LBB309_295:                            ;   in Loop: Header=BB309_282 Depth=1
	s_or_b64 exec, exec, s[10:11]
	s_mov_b32 s10, 0
                                        ; implicit-def: $vgpr12
.LBB309_296:                            ;   in Loop: Header=BB309_282 Depth=1
	s_or_saveexec_b64 s[0:1], s[0:1]
	v_mov_b32_e32 v14, s10
	s_xor_b64 exec, exec, s[0:1]
	s_cbranch_execz .LBB309_298
; %bb.297:                              ;   in Loop: Header=BB309_282 Depth=1
	flat_load_dwordx2 v[10:11], v[6:7]
	v_add_u32_e32 v14, -8, v12
	v_lshl_add_u64 v[6:7], v[6:7], 0, 8
	s_waitcnt vmcnt(0) lgkmcnt(0)
	v_and_b32_e32 v12, 0xff, v11
	v_and_b32_e32 v13, 0xff00, v11
	;; [unrolled: 1-line block ×4, first 2 shown]
	v_or_b32_e32 v12, v12, v13
	v_or3_b32 v10, v10, 0, 0
	v_or3_b32 v11, v12, v15, v11
.LBB309_298:                            ;   in Loop: Header=BB309_282 Depth=1
	s_or_b64 exec, exec, s[0:1]
	v_cmp_gt_u32_e32 vcc, 8, v14
                                        ; implicit-def: $sgpr10
	s_and_saveexec_b64 s[0:1], vcc
	s_xor_b64 s[0:1], exec, s[0:1]
	s_cbranch_execz .LBB309_304
; %bb.299:                              ;   in Loop: Header=BB309_282 Depth=1
	v_cmp_ne_u32_e32 vcc, 0, v14
	v_mov_b64_e32 v[12:13], 0
	s_and_saveexec_b64 s[10:11], vcc
	s_cbranch_execz .LBB309_303
; %bb.300:                              ;   in Loop: Header=BB309_282 Depth=1
	s_mov_b64 s[12:13], 0
	v_mov_b64_e32 v[12:13], 0
	s_mov_b64 s[14:15], 0
	s_mov_b64 s[16:17], 0
.LBB309_301:                            ;   Parent Loop BB309_282 Depth=1
                                        ; =>  This Inner Loop Header: Depth=2
	v_lshl_add_u64 v[16:17], v[6:7], 0, s[16:17]
	flat_load_ubyte v15, v[16:17]
	s_add_u32 s16, s16, 1
	v_mov_b32_e32 v17, s18
	s_addc_u32 s17, s17, 0
	v_cmp_eq_u32_e32 vcc, s16, v14
	s_waitcnt vmcnt(0) lgkmcnt(0)
	v_and_b32_e32 v16, 0xffff, v15
	v_lshlrev_b64 v[16:17], s14, v[16:17]
	s_add_u32 s14, s14, 8
	s_addc_u32 s15, s15, 0
	v_or_b32_e32 v13, v17, v13
	s_or_b64 s[12:13], vcc, s[12:13]
	v_or_b32_e32 v12, v16, v12
	s_andn2_b64 exec, exec, s[12:13]
	s_cbranch_execnz .LBB309_301
; %bb.302:                              ;   in Loop: Header=BB309_282 Depth=1
	s_or_b64 exec, exec, s[12:13]
.LBB309_303:                            ;   in Loop: Header=BB309_282 Depth=1
	s_or_b64 exec, exec, s[10:11]
	s_mov_b32 s10, 0
                                        ; implicit-def: $vgpr14
.LBB309_304:                            ;   in Loop: Header=BB309_282 Depth=1
	s_or_saveexec_b64 s[0:1], s[0:1]
	v_mov_b32_e32 v16, s10
	s_xor_b64 exec, exec, s[0:1]
	s_cbranch_execz .LBB309_306
; %bb.305:                              ;   in Loop: Header=BB309_282 Depth=1
	flat_load_dwordx2 v[12:13], v[6:7]
	v_add_u32_e32 v16, -8, v14
	v_lshl_add_u64 v[6:7], v[6:7], 0, 8
	s_waitcnt vmcnt(0) lgkmcnt(0)
	v_and_b32_e32 v14, 0xff, v13
	v_and_b32_e32 v15, 0xff00, v13
	;; [unrolled: 1-line block ×4, first 2 shown]
	v_or_b32_e32 v14, v14, v15
	v_or3_b32 v12, v12, 0, 0
	v_or3_b32 v13, v14, v17, v13
.LBB309_306:                            ;   in Loop: Header=BB309_282 Depth=1
	s_or_b64 exec, exec, s[0:1]
	v_cmp_gt_u32_e32 vcc, 8, v16
                                        ; implicit-def: $vgpr14_vgpr15
                                        ; implicit-def: $sgpr10
	s_and_saveexec_b64 s[0:1], vcc
	s_xor_b64 s[0:1], exec, s[0:1]
	s_cbranch_execz .LBB309_312
; %bb.307:                              ;   in Loop: Header=BB309_282 Depth=1
	v_cmp_ne_u32_e32 vcc, 0, v16
	v_mov_b64_e32 v[14:15], 0
	s_and_saveexec_b64 s[10:11], vcc
	s_cbranch_execz .LBB309_311
; %bb.308:                              ;   in Loop: Header=BB309_282 Depth=1
	s_mov_b64 s[12:13], 0
	v_mov_b64_e32 v[14:15], 0
	s_mov_b64 s[14:15], 0
	s_mov_b64 s[16:17], 0
.LBB309_309:                            ;   Parent Loop BB309_282 Depth=1
                                        ; =>  This Inner Loop Header: Depth=2
	v_lshl_add_u64 v[18:19], v[6:7], 0, s[16:17]
	flat_load_ubyte v17, v[18:19]
	s_add_u32 s16, s16, 1
	v_mov_b32_e32 v19, s18
	s_addc_u32 s17, s17, 0
	v_cmp_eq_u32_e32 vcc, s16, v16
	s_waitcnt vmcnt(0) lgkmcnt(0)
	v_and_b32_e32 v18, 0xffff, v17
	v_lshlrev_b64 v[18:19], s14, v[18:19]
	s_add_u32 s14, s14, 8
	s_addc_u32 s15, s15, 0
	v_or_b32_e32 v15, v19, v15
	s_or_b64 s[12:13], vcc, s[12:13]
	v_or_b32_e32 v14, v18, v14
	s_andn2_b64 exec, exec, s[12:13]
	s_cbranch_execnz .LBB309_309
; %bb.310:                              ;   in Loop: Header=BB309_282 Depth=1
	s_or_b64 exec, exec, s[12:13]
.LBB309_311:                            ;   in Loop: Header=BB309_282 Depth=1
	s_or_b64 exec, exec, s[10:11]
	s_mov_b32 s10, 0
                                        ; implicit-def: $vgpr16
.LBB309_312:                            ;   in Loop: Header=BB309_282 Depth=1
	s_or_saveexec_b64 s[0:1], s[0:1]
	v_mov_b32_e32 v18, s10
	s_xor_b64 exec, exec, s[0:1]
	s_cbranch_execz .LBB309_314
; %bb.313:                              ;   in Loop: Header=BB309_282 Depth=1
	flat_load_dwordx2 v[14:15], v[6:7]
	v_add_u32_e32 v18, -8, v16
	v_lshl_add_u64 v[6:7], v[6:7], 0, 8
	s_waitcnt vmcnt(0) lgkmcnt(0)
	v_and_b32_e32 v16, 0xff, v15
	v_and_b32_e32 v17, 0xff00, v15
	;; [unrolled: 1-line block ×4, first 2 shown]
	v_or_b32_e32 v16, v16, v17
	v_or3_b32 v14, v14, 0, 0
	v_or3_b32 v15, v16, v19, v15
.LBB309_314:                            ;   in Loop: Header=BB309_282 Depth=1
	s_or_b64 exec, exec, s[0:1]
	v_cmp_gt_u32_e32 vcc, 8, v18
                                        ; implicit-def: $sgpr10
	s_and_saveexec_b64 s[0:1], vcc
	s_xor_b64 s[0:1], exec, s[0:1]
	s_cbranch_execz .LBB309_320
; %bb.315:                              ;   in Loop: Header=BB309_282 Depth=1
	v_cmp_ne_u32_e32 vcc, 0, v18
	v_mov_b64_e32 v[16:17], 0
	s_and_saveexec_b64 s[10:11], vcc
	s_cbranch_execz .LBB309_319
; %bb.316:                              ;   in Loop: Header=BB309_282 Depth=1
	s_mov_b64 s[12:13], 0
	v_mov_b64_e32 v[16:17], 0
	s_mov_b64 s[14:15], 0
	s_mov_b64 s[16:17], 0
.LBB309_317:                            ;   Parent Loop BB309_282 Depth=1
                                        ; =>  This Inner Loop Header: Depth=2
	v_lshl_add_u64 v[20:21], v[6:7], 0, s[16:17]
	flat_load_ubyte v19, v[20:21]
	s_add_u32 s16, s16, 1
	v_mov_b32_e32 v21, s18
	s_addc_u32 s17, s17, 0
	v_cmp_eq_u32_e32 vcc, s16, v18
	s_waitcnt vmcnt(0) lgkmcnt(0)
	v_and_b32_e32 v20, 0xffff, v19
	v_lshlrev_b64 v[20:21], s14, v[20:21]
	s_add_u32 s14, s14, 8
	s_addc_u32 s15, s15, 0
	v_or_b32_e32 v17, v21, v17
	s_or_b64 s[12:13], vcc, s[12:13]
	v_or_b32_e32 v16, v20, v16
	s_andn2_b64 exec, exec, s[12:13]
	s_cbranch_execnz .LBB309_317
; %bb.318:                              ;   in Loop: Header=BB309_282 Depth=1
	s_or_b64 exec, exec, s[12:13]
.LBB309_319:                            ;   in Loop: Header=BB309_282 Depth=1
	s_or_b64 exec, exec, s[10:11]
	s_mov_b32 s10, 0
                                        ; implicit-def: $vgpr18
.LBB309_320:                            ;   in Loop: Header=BB309_282 Depth=1
	s_or_saveexec_b64 s[0:1], s[0:1]
	v_mov_b32_e32 v20, s10
	s_xor_b64 exec, exec, s[0:1]
	s_cbranch_execz .LBB309_322
; %bb.321:                              ;   in Loop: Header=BB309_282 Depth=1
	flat_load_dwordx2 v[16:17], v[6:7]
	v_add_u32_e32 v20, -8, v18
	v_lshl_add_u64 v[6:7], v[6:7], 0, 8
	s_waitcnt vmcnt(0) lgkmcnt(0)
	v_and_b32_e32 v18, 0xff, v17
	v_and_b32_e32 v19, 0xff00, v17
	;; [unrolled: 1-line block ×4, first 2 shown]
	v_or_b32_e32 v18, v18, v19
	v_or3_b32 v16, v16, 0, 0
	v_or3_b32 v17, v18, v21, v17
.LBB309_322:                            ;   in Loop: Header=BB309_282 Depth=1
	s_or_b64 exec, exec, s[0:1]
	v_cmp_gt_u32_e32 vcc, 8, v20
                                        ; implicit-def: $vgpr18_vgpr19
                                        ; implicit-def: $sgpr10
	s_and_saveexec_b64 s[0:1], vcc
	s_xor_b64 s[0:1], exec, s[0:1]
	s_cbranch_execz .LBB309_328
; %bb.323:                              ;   in Loop: Header=BB309_282 Depth=1
	v_cmp_ne_u32_e32 vcc, 0, v20
	v_mov_b64_e32 v[18:19], 0
	s_and_saveexec_b64 s[10:11], vcc
	s_cbranch_execz .LBB309_327
; %bb.324:                              ;   in Loop: Header=BB309_282 Depth=1
	s_mov_b64 s[12:13], 0
	v_mov_b64_e32 v[18:19], 0
	s_mov_b64 s[14:15], 0
	s_mov_b64 s[16:17], 0
.LBB309_325:                            ;   Parent Loop BB309_282 Depth=1
                                        ; =>  This Inner Loop Header: Depth=2
	v_lshl_add_u64 v[22:23], v[6:7], 0, s[16:17]
	flat_load_ubyte v21, v[22:23]
	s_add_u32 s16, s16, 1
	v_mov_b32_e32 v23, s18
	s_addc_u32 s17, s17, 0
	v_cmp_eq_u32_e32 vcc, s16, v20
	s_waitcnt vmcnt(0) lgkmcnt(0)
	v_and_b32_e32 v22, 0xffff, v21
	v_lshlrev_b64 v[22:23], s14, v[22:23]
	s_add_u32 s14, s14, 8
	s_addc_u32 s15, s15, 0
	v_or_b32_e32 v19, v23, v19
	s_or_b64 s[12:13], vcc, s[12:13]
	v_or_b32_e32 v18, v22, v18
	s_andn2_b64 exec, exec, s[12:13]
	s_cbranch_execnz .LBB309_325
; %bb.326:                              ;   in Loop: Header=BB309_282 Depth=1
	s_or_b64 exec, exec, s[12:13]
.LBB309_327:                            ;   in Loop: Header=BB309_282 Depth=1
	s_or_b64 exec, exec, s[10:11]
	s_mov_b32 s10, 0
                                        ; implicit-def: $vgpr20
.LBB309_328:                            ;   in Loop: Header=BB309_282 Depth=1
	s_or_saveexec_b64 s[0:1], s[0:1]
	v_mov_b32_e32 v22, s10
	s_xor_b64 exec, exec, s[0:1]
	s_cbranch_execz .LBB309_330
; %bb.329:                              ;   in Loop: Header=BB309_282 Depth=1
	flat_load_dwordx2 v[18:19], v[6:7]
	v_add_u32_e32 v22, -8, v20
	v_lshl_add_u64 v[6:7], v[6:7], 0, 8
	s_waitcnt vmcnt(0) lgkmcnt(0)
	v_and_b32_e32 v20, 0xff, v19
	v_and_b32_e32 v21, 0xff00, v19
	;; [unrolled: 1-line block ×4, first 2 shown]
	v_or_b32_e32 v20, v20, v21
	v_or3_b32 v18, v18, 0, 0
	v_or3_b32 v19, v20, v23, v19
.LBB309_330:                            ;   in Loop: Header=BB309_282 Depth=1
	s_or_b64 exec, exec, s[0:1]
	v_cmp_gt_u32_e32 vcc, 8, v22
	s_and_saveexec_b64 s[0:1], vcc
	s_xor_b64 s[0:1], exec, s[0:1]
	s_cbranch_execz .LBB309_336
; %bb.331:                              ;   in Loop: Header=BB309_282 Depth=1
	v_cmp_ne_u32_e32 vcc, 0, v22
	v_mov_b64_e32 v[20:21], 0
	s_and_saveexec_b64 s[10:11], vcc
	s_cbranch_execz .LBB309_335
; %bb.332:                              ;   in Loop: Header=BB309_282 Depth=1
	s_mov_b64 s[12:13], 0
	v_mov_b64_e32 v[20:21], 0
	s_mov_b64 s[14:15], 0
.LBB309_333:                            ;   Parent Loop BB309_282 Depth=1
                                        ; =>  This Inner Loop Header: Depth=2
	flat_load_ubyte v23, v[6:7]
	v_mov_b32_e32 v25, s18
	v_add_u32_e32 v22, -1, v22
	v_cmp_eq_u32_e32 vcc, 0, v22
	v_lshl_add_u64 v[6:7], v[6:7], 0, 1
	s_waitcnt vmcnt(0) lgkmcnt(0)
	v_and_b32_e32 v24, 0xffff, v23
	v_lshlrev_b64 v[24:25], s14, v[24:25]
	s_add_u32 s14, s14, 8
	s_addc_u32 s15, s15, 0
	v_or_b32_e32 v21, v25, v21
	s_or_b64 s[12:13], vcc, s[12:13]
	v_or_b32_e32 v20, v24, v20
	s_andn2_b64 exec, exec, s[12:13]
	s_cbranch_execnz .LBB309_333
; %bb.334:                              ;   in Loop: Header=BB309_282 Depth=1
	s_or_b64 exec, exec, s[12:13]
.LBB309_335:                            ;   in Loop: Header=BB309_282 Depth=1
	s_or_b64 exec, exec, s[10:11]
                                        ; implicit-def: $vgpr6_vgpr7
.LBB309_336:                            ;   in Loop: Header=BB309_282 Depth=1
	s_andn2_saveexec_b64 s[0:1], s[0:1]
	s_cbranch_execz .LBB309_338
; %bb.337:                              ;   in Loop: Header=BB309_282 Depth=1
	flat_load_dwordx2 v[6:7], v[6:7]
	s_waitcnt vmcnt(0) lgkmcnt(0)
	v_and_b32_e32 v20, 0xff, v7
	v_and_b32_e32 v21, 0xff00, v7
	;; [unrolled: 1-line block ×4, first 2 shown]
	v_or_b32_e32 v20, v20, v21
	v_or3_b32 v21, v20, v22, v7
	v_or3_b32 v20, v6, 0, 0
.LBB309_338:                            ;   in Loop: Header=BB309_282 Depth=1
	s_or_b64 exec, exec, s[0:1]
	v_readfirstlane_b32 s0, v38
	v_mov_b64_e32 v[6:7], 0
	s_nop 0
	v_cmp_eq_u32_e64 s[0:1], s0, v38
	s_and_saveexec_b64 s[10:11], s[0:1]
	s_cbranch_execz .LBB309_344
; %bb.339:                              ;   in Loop: Header=BB309_282 Depth=1
	global_load_dwordx2 v[24:25], v33, s[2:3] offset:24 sc0 sc1
	s_waitcnt vmcnt(0)
	buffer_inv sc0 sc1
	global_load_dwordx2 v[6:7], v33, s[2:3] offset:40
	global_load_dwordx2 v[22:23], v33, s[2:3]
	s_waitcnt vmcnt(1)
	v_and_b32_e32 v6, v6, v24
	v_and_b32_e32 v7, v7, v25
	v_mul_lo_u32 v7, v7, 24
	v_mul_hi_u32 v29, v6, 24
	v_add_u32_e32 v7, v29, v7
	v_mul_lo_u32 v6, v6, 24
	s_waitcnt vmcnt(0)
	v_lshl_add_u64 v[6:7], v[22:23], 0, v[6:7]
	global_load_dwordx2 v[22:23], v[6:7], off sc0 sc1
	s_waitcnt vmcnt(0)
	global_atomic_cmpswap_x2 v[6:7], v33, v[22:25], s[2:3] offset:24 sc0 sc1
	s_waitcnt vmcnt(0)
	buffer_inv sc0 sc1
	v_cmp_ne_u64_e32 vcc, v[6:7], v[24:25]
	s_and_saveexec_b64 s[12:13], vcc
	s_cbranch_execz .LBB309_343
; %bb.340:                              ;   in Loop: Header=BB309_282 Depth=1
	s_mov_b64 s[14:15], 0
.LBB309_341:                            ;   Parent Loop BB309_282 Depth=1
                                        ; =>  This Inner Loop Header: Depth=2
	s_sleep 1
	global_load_dwordx2 v[22:23], v33, s[2:3] offset:40
	global_load_dwordx2 v[34:35], v33, s[2:3]
	v_mov_b64_e32 v[24:25], v[6:7]
	s_waitcnt vmcnt(1)
	v_and_b32_e32 v6, v22, v24
	s_waitcnt vmcnt(0)
	v_mad_u64_u32 v[6:7], s[16:17], v6, 24, v[34:35]
	v_and_b32_e32 v23, v23, v25
	v_mov_b32_e32 v22, v7
	v_mad_u64_u32 v[22:23], s[16:17], v23, 24, v[22:23]
	v_mov_b32_e32 v7, v22
	global_load_dwordx2 v[22:23], v[6:7], off sc0 sc1
	s_waitcnt vmcnt(0)
	global_atomic_cmpswap_x2 v[6:7], v33, v[22:25], s[2:3] offset:24 sc0 sc1
	s_waitcnt vmcnt(0)
	buffer_inv sc0 sc1
	v_cmp_eq_u64_e32 vcc, v[6:7], v[24:25]
	s_or_b64 s[14:15], vcc, s[14:15]
	s_andn2_b64 exec, exec, s[14:15]
	s_cbranch_execnz .LBB309_341
; %bb.342:                              ;   in Loop: Header=BB309_282 Depth=1
	s_or_b64 exec, exec, s[14:15]
.LBB309_343:                            ;   in Loop: Header=BB309_282 Depth=1
	s_or_b64 exec, exec, s[12:13]
.LBB309_344:                            ;   in Loop: Header=BB309_282 Depth=1
	s_or_b64 exec, exec, s[10:11]
	global_load_dwordx2 v[34:35], v33, s[2:3] offset:40
	global_load_dwordx4 v[22:25], v33, s[2:3]
	v_readfirstlane_b32 s10, v6
	v_readfirstlane_b32 s11, v7
	s_mov_b64 s[12:13], exec
	s_waitcnt vmcnt(1)
	v_readfirstlane_b32 s14, v34
	v_readfirstlane_b32 s15, v35
	s_and_b64 s[14:15], s[10:11], s[14:15]
	s_mul_i32 s16, s15, 24
	s_mul_hi_u32 s17, s14, 24
	s_add_i32 s17, s17, s16
	s_mul_i32 s16, s14, 24
	s_waitcnt vmcnt(0)
	v_lshl_add_u64 v[34:35], v[22:23], 0, s[16:17]
	s_and_saveexec_b64 s[16:17], s[0:1]
	s_cbranch_execz .LBB309_346
; %bb.345:                              ;   in Loop: Header=BB309_282 Depth=1
	v_mov_b64_e32 v[6:7], s[12:13]
	global_store_dwordx4 v[34:35], v[6:9], off offset:8
.LBB309_346:                            ;   in Loop: Header=BB309_282 Depth=1
	s_or_b64 exec, exec, s[16:17]
	s_lshl_b64 s[12:13], s[14:15], 12
	v_lshl_add_u64 v[6:7], v[24:25], 0, s[12:13]
	v_or_b32_e32 v24, 0, v1
	v_cmp_lt_u64_e32 vcc, 56, v[26:27]
	v_or_b32_e32 v25, v0, v28
	v_readfirstlane_b32 s12, v6
	v_cndmask_b32_e32 v1, v24, v1, vcc
	v_lshl_add_u32 v24, v30, 2, 28
	v_cndmask_b32_e32 v0, v25, v0, vcc
	v_and_b32_e32 v24, 0x1e0, v24
	v_and_or_b32 v0, v0, s19, v24
	v_readfirstlane_b32 s13, v7
	s_nop 4
	global_store_dwordx4 v32, v[0:3], s[12:13]
	global_store_dwordx4 v32, v[10:13], s[12:13] offset:16
	global_store_dwordx4 v32, v[14:17], s[12:13] offset:32
	;; [unrolled: 1-line block ×3, first 2 shown]
	s_and_saveexec_b64 s[12:13], s[0:1]
	s_cbranch_execz .LBB309_354
; %bb.347:                              ;   in Loop: Header=BB309_282 Depth=1
	global_load_dwordx2 v[14:15], v33, s[2:3] offset:32 sc0 sc1
	global_load_dwordx2 v[0:1], v33, s[2:3] offset:40
	v_mov_b32_e32 v12, s10
	v_mov_b32_e32 v13, s11
	s_waitcnt vmcnt(0)
	v_readfirstlane_b32 s14, v0
	v_readfirstlane_b32 s15, v1
	s_and_b64 s[14:15], s[14:15], s[10:11]
	s_mul_i32 s15, s15, 24
	s_mul_hi_u32 s16, s14, 24
	s_mul_i32 s14, s14, 24
	s_add_i32 s15, s16, s15
	v_lshl_add_u64 v[10:11], v[22:23], 0, s[14:15]
	global_store_dwordx2 v[10:11], v[14:15], off
	buffer_wbl2 sc0 sc1
	s_waitcnt vmcnt(0)
	global_atomic_cmpswap_x2 v[2:3], v33, v[12:15], s[2:3] offset:32 sc0 sc1
	s_waitcnt vmcnt(0)
	v_cmp_ne_u64_e32 vcc, v[2:3], v[14:15]
	s_and_saveexec_b64 s[14:15], vcc
	s_cbranch_execz .LBB309_350
; %bb.348:                              ;   in Loop: Header=BB309_282 Depth=1
	s_mov_b64 s[16:17], 0
.LBB309_349:                            ;   Parent Loop BB309_282 Depth=1
                                        ; =>  This Inner Loop Header: Depth=2
	s_sleep 1
	global_store_dwordx2 v[10:11], v[2:3], off
	v_mov_b32_e32 v0, s10
	v_mov_b32_e32 v1, s11
	buffer_wbl2 sc0 sc1
	s_waitcnt vmcnt(0)
	global_atomic_cmpswap_x2 v[0:1], v33, v[0:3], s[2:3] offset:32 sc0 sc1
	s_waitcnt vmcnt(0)
	v_cmp_eq_u64_e32 vcc, v[0:1], v[2:3]
	s_or_b64 s[16:17], vcc, s[16:17]
	v_mov_b64_e32 v[2:3], v[0:1]
	s_andn2_b64 exec, exec, s[16:17]
	s_cbranch_execnz .LBB309_349
.LBB309_350:                            ;   in Loop: Header=BB309_282 Depth=1
	s_or_b64 exec, exec, s[14:15]
	global_load_dwordx2 v[0:1], v33, s[2:3] offset:16
	s_mov_b64 s[16:17], exec
	v_mbcnt_lo_u32_b32 v2, s16, 0
	v_mbcnt_hi_u32_b32 v2, s17, v2
	v_cmp_eq_u32_e32 vcc, 0, v2
	s_and_saveexec_b64 s[14:15], vcc
	s_cbranch_execz .LBB309_352
; %bb.351:                              ;   in Loop: Header=BB309_282 Depth=1
	s_bcnt1_i32_b64 s16, s[16:17]
	v_mov_b32_e32 v2, s16
	v_mov_b32_e32 v3, v33
	buffer_wbl2 sc0 sc1
	s_waitcnt vmcnt(0)
	global_atomic_add_x2 v[0:1], v[2:3], off offset:8 sc1
.LBB309_352:                            ;   in Loop: Header=BB309_282 Depth=1
	s_or_b64 exec, exec, s[14:15]
	s_waitcnt vmcnt(0)
	global_load_dwordx2 v[2:3], v[0:1], off offset:16
	s_waitcnt vmcnt(0)
	v_cmp_eq_u64_e32 vcc, 0, v[2:3]
	s_cbranch_vccnz .LBB309_354
; %bb.353:                              ;   in Loop: Header=BB309_282 Depth=1
	global_load_dword v0, v[0:1], off offset:24
	v_mov_b32_e32 v1, v33
	buffer_wbl2 sc0 sc1
	s_waitcnt vmcnt(0)
	global_store_dwordx2 v[2:3], v[0:1], off sc0 sc1
	v_and_b32_e32 v0, 0xffffff, v0
	s_nop 0
	v_readfirstlane_b32 m0, v0
	s_sendmsg sendmsg(MSG_INTERRUPT)
.LBB309_354:                            ;   in Loop: Header=BB309_282 Depth=1
	s_or_b64 exec, exec, s[12:13]
	v_lshl_add_u64 v[0:1], v[6:7], 0, v[32:33]
	s_branch .LBB309_358
.LBB309_355:                            ;   in Loop: Header=BB309_358 Depth=2
	s_or_b64 exec, exec, s[12:13]
	v_readfirstlane_b32 s12, v2
	s_cmp_eq_u32 s12, 0
	s_cbranch_scc1 .LBB309_357
; %bb.356:                              ;   in Loop: Header=BB309_358 Depth=2
	s_sleep 1
	s_cbranch_execnz .LBB309_358
	s_branch .LBB309_360
.LBB309_357:                            ;   in Loop: Header=BB309_282 Depth=1
	s_branch .LBB309_360
.LBB309_358:                            ;   Parent Loop BB309_282 Depth=1
                                        ; =>  This Inner Loop Header: Depth=2
	v_mov_b32_e32 v2, 1
	s_and_saveexec_b64 s[12:13], s[0:1]
	s_cbranch_execz .LBB309_355
; %bb.359:                              ;   in Loop: Header=BB309_358 Depth=2
	global_load_dword v2, v[34:35], off offset:20 sc0 sc1
	s_waitcnt vmcnt(0)
	buffer_inv sc0 sc1
	v_and_b32_e32 v2, 1, v2
	s_branch .LBB309_355
.LBB309_360:                            ;   in Loop: Header=BB309_282 Depth=1
	global_load_dwordx4 v[0:3], v[0:1], off
	s_and_saveexec_b64 s[12:13], s[0:1]
	s_cbranch_execz .LBB309_281
; %bb.361:                              ;   in Loop: Header=BB309_282 Depth=1
	global_load_dwordx2 v[2:3], v33, s[2:3] offset:40
	global_load_dwordx2 v[6:7], v33, s[2:3] offset:24 sc0 sc1
	global_load_dwordx2 v[14:15], v33, s[2:3]
	s_waitcnt vmcnt(2)
	v_lshl_add_u64 v[10:11], v[2:3], 0, 1
	v_lshl_add_u64 v[16:17], v[10:11], 0, s[10:11]
	v_cmp_eq_u64_e32 vcc, 0, v[16:17]
	s_waitcnt vmcnt(1)
	v_mov_b32_e32 v12, v6
	v_cndmask_b32_e32 v11, v17, v11, vcc
	v_cndmask_b32_e32 v10, v16, v10, vcc
	v_and_b32_e32 v3, v11, v3
	v_and_b32_e32 v2, v10, v2
	v_mul_lo_u32 v3, v3, 24
	v_mul_hi_u32 v13, v2, 24
	v_mul_lo_u32 v2, v2, 24
	v_add_u32_e32 v3, v13, v3
	s_waitcnt vmcnt(0)
	v_lshl_add_u64 v[2:3], v[14:15], 0, v[2:3]
	global_store_dwordx2 v[2:3], v[6:7], off
	v_mov_b32_e32 v13, v7
	buffer_wbl2 sc0 sc1
	s_waitcnt vmcnt(0)
	global_atomic_cmpswap_x2 v[12:13], v33, v[10:13], s[2:3] offset:24 sc0 sc1
	s_waitcnt vmcnt(0)
	v_cmp_ne_u64_e32 vcc, v[12:13], v[6:7]
	s_and_b64 exec, exec, vcc
	s_cbranch_execz .LBB309_281
; %bb.362:                              ;   in Loop: Header=BB309_282 Depth=1
	s_mov_b64 s[0:1], 0
.LBB309_363:                            ;   Parent Loop BB309_282 Depth=1
                                        ; =>  This Inner Loop Header: Depth=2
	s_sleep 1
	global_store_dwordx2 v[2:3], v[12:13], off
	buffer_wbl2 sc0 sc1
	s_waitcnt vmcnt(0)
	global_atomic_cmpswap_x2 v[6:7], v33, v[10:13], s[2:3] offset:24 sc0 sc1
	s_waitcnt vmcnt(0)
	v_cmp_eq_u64_e32 vcc, v[6:7], v[12:13]
	s_or_b64 s[0:1], vcc, s[0:1]
	v_mov_b64_e32 v[12:13], v[6:7]
	s_andn2_b64 exec, exec, s[0:1]
	s_cbranch_execnz .LBB309_363
	s_branch .LBB309_281
.LBB309_364:
	s_or_b64 exec, exec, s[4:5]
                                        ; implicit-def: $vgpr32
                                        ; implicit-def: $vgpr38
.LBB309_365:
	s_andn2_saveexec_b64 s[4:5], s[6:7]
	s_cbranch_execz .LBB309_392
; %bb.366:
	v_readfirstlane_b32 s0, v38
	s_waitcnt vmcnt(0)
	v_mov_b64_e32 v[2:3], 0
	v_cmp_eq_u32_e64 s[0:1], s0, v38
	s_and_saveexec_b64 s[6:7], s[0:1]
	s_cbranch_execz .LBB309_372
; %bb.367:
	v_mov_b32_e32 v4, 0
	global_load_dwordx2 v[8:9], v4, s[2:3] offset:24 sc0 sc1
	s_waitcnt vmcnt(0)
	buffer_inv sc0 sc1
	global_load_dwordx2 v[2:3], v4, s[2:3] offset:40
	global_load_dwordx2 v[6:7], v4, s[2:3]
	s_waitcnt vmcnt(1)
	v_and_b32_e32 v2, v2, v8
	v_and_b32_e32 v3, v3, v9
	v_mul_lo_u32 v3, v3, 24
	v_mul_hi_u32 v5, v2, 24
	v_add_u32_e32 v3, v5, v3
	v_mul_lo_u32 v2, v2, 24
	s_waitcnt vmcnt(0)
	v_lshl_add_u64 v[2:3], v[6:7], 0, v[2:3]
	global_load_dwordx2 v[6:7], v[2:3], off sc0 sc1
	s_waitcnt vmcnt(0)
	global_atomic_cmpswap_x2 v[2:3], v4, v[6:9], s[2:3] offset:24 sc0 sc1
	s_waitcnt vmcnt(0)
	buffer_inv sc0 sc1
	v_cmp_ne_u64_e32 vcc, v[2:3], v[8:9]
	s_and_saveexec_b64 s[10:11], vcc
	s_cbranch_execz .LBB309_371
; %bb.368:
	s_mov_b64 s[12:13], 0
.LBB309_369:                            ; =>This Inner Loop Header: Depth=1
	s_sleep 1
	global_load_dwordx2 v[6:7], v4, s[2:3] offset:40
	global_load_dwordx2 v[10:11], v4, s[2:3]
	v_mov_b64_e32 v[8:9], v[2:3]
	s_waitcnt vmcnt(1)
	v_and_b32_e32 v2, v6, v8
	s_waitcnt vmcnt(0)
	v_mad_u64_u32 v[2:3], s[14:15], v2, 24, v[10:11]
	v_and_b32_e32 v5, v7, v9
	v_mov_b32_e32 v6, v3
	v_mad_u64_u32 v[6:7], s[14:15], v5, 24, v[6:7]
	v_mov_b32_e32 v3, v6
	global_load_dwordx2 v[6:7], v[2:3], off sc0 sc1
	s_waitcnt vmcnt(0)
	global_atomic_cmpswap_x2 v[2:3], v4, v[6:9], s[2:3] offset:24 sc0 sc1
	s_waitcnt vmcnt(0)
	buffer_inv sc0 sc1
	v_cmp_eq_u64_e32 vcc, v[2:3], v[8:9]
	s_or_b64 s[12:13], vcc, s[12:13]
	s_andn2_b64 exec, exec, s[12:13]
	s_cbranch_execnz .LBB309_369
; %bb.370:
	s_or_b64 exec, exec, s[12:13]
.LBB309_371:
	s_or_b64 exec, exec, s[10:11]
.LBB309_372:
	s_or_b64 exec, exec, s[6:7]
	v_mov_b32_e32 v33, 0
	global_load_dwordx2 v[8:9], v33, s[2:3] offset:40
	global_load_dwordx4 v[4:7], v33, s[2:3]
	v_readfirstlane_b32 s6, v2
	v_readfirstlane_b32 s7, v3
	s_mov_b64 s[10:11], exec
	s_waitcnt vmcnt(1)
	v_readfirstlane_b32 s12, v8
	v_readfirstlane_b32 s13, v9
	s_and_b64 s[12:13], s[6:7], s[12:13]
	s_mul_i32 s14, s13, 24
	s_mul_hi_u32 s15, s12, 24
	s_add_i32 s15, s15, s14
	s_mul_i32 s14, s12, 24
	s_waitcnt vmcnt(0)
	v_lshl_add_u64 v[8:9], v[4:5], 0, s[14:15]
	s_and_saveexec_b64 s[14:15], s[0:1]
	s_cbranch_execz .LBB309_374
; %bb.373:
	v_mov_b64_e32 v[10:11], s[10:11]
	v_mov_b32_e32 v12, 2
	v_mov_b32_e32 v13, 1
	global_store_dwordx4 v[8:9], v[10:13], off offset:8
.LBB309_374:
	s_or_b64 exec, exec, s[14:15]
	s_lshl_b64 s[10:11], s[12:13], 12
	v_lshl_add_u64 v[6:7], v[6:7], 0, s[10:11]
	s_movk_i32 s10, 0xff1f
	s_mov_b32 s12, 0
	v_and_or_b32 v0, v0, s10, 32
	v_mov_b32_e32 v2, v33
	v_mov_b32_e32 v3, v33
	v_readfirstlane_b32 s10, v6
	v_readfirstlane_b32 s11, v7
	s_mov_b32 s13, s12
	s_mov_b32 s14, s12
	s_mov_b32 s15, s12
	s_nop 1
	global_store_dwordx4 v32, v[0:3], s[10:11]
	s_nop 1
	v_mov_b64_e32 v[0:1], s[12:13]
	v_mov_b64_e32 v[2:3], s[14:15]
	global_store_dwordx4 v32, v[0:3], s[10:11] offset:16
	global_store_dwordx4 v32, v[0:3], s[10:11] offset:32
	;; [unrolled: 1-line block ×3, first 2 shown]
	s_and_saveexec_b64 s[10:11], s[0:1]
	s_cbranch_execz .LBB309_382
; %bb.375:
	v_mov_b32_e32 v10, 0
	global_load_dwordx2 v[14:15], v10, s[2:3] offset:32 sc0 sc1
	global_load_dwordx2 v[0:1], v10, s[2:3] offset:40
	v_mov_b32_e32 v12, s6
	v_mov_b32_e32 v13, s7
	s_waitcnt vmcnt(0)
	v_readfirstlane_b32 s12, v0
	v_readfirstlane_b32 s13, v1
	s_and_b64 s[12:13], s[12:13], s[6:7]
	s_mul_i32 s13, s13, 24
	s_mul_hi_u32 s14, s12, 24
	s_mul_i32 s12, s12, 24
	s_add_i32 s13, s14, s13
	v_lshl_add_u64 v[4:5], v[4:5], 0, s[12:13]
	global_store_dwordx2 v[4:5], v[14:15], off
	buffer_wbl2 sc0 sc1
	s_waitcnt vmcnt(0)
	global_atomic_cmpswap_x2 v[2:3], v10, v[12:15], s[2:3] offset:32 sc0 sc1
	s_waitcnt vmcnt(0)
	v_cmp_ne_u64_e32 vcc, v[2:3], v[14:15]
	s_and_saveexec_b64 s[12:13], vcc
	s_cbranch_execz .LBB309_378
; %bb.376:
	s_mov_b64 s[14:15], 0
.LBB309_377:                            ; =>This Inner Loop Header: Depth=1
	s_sleep 1
	global_store_dwordx2 v[4:5], v[2:3], off
	v_mov_b32_e32 v0, s6
	v_mov_b32_e32 v1, s7
	buffer_wbl2 sc0 sc1
	s_waitcnt vmcnt(0)
	global_atomic_cmpswap_x2 v[0:1], v10, v[0:3], s[2:3] offset:32 sc0 sc1
	s_waitcnt vmcnt(0)
	v_cmp_eq_u64_e32 vcc, v[0:1], v[2:3]
	s_or_b64 s[14:15], vcc, s[14:15]
	v_mov_b64_e32 v[2:3], v[0:1]
	s_andn2_b64 exec, exec, s[14:15]
	s_cbranch_execnz .LBB309_377
.LBB309_378:
	s_or_b64 exec, exec, s[12:13]
	v_mov_b32_e32 v3, 0
	global_load_dwordx2 v[0:1], v3, s[2:3] offset:16
	s_mov_b64 s[12:13], exec
	v_mbcnt_lo_u32_b32 v2, s12, 0
	v_mbcnt_hi_u32_b32 v2, s13, v2
	v_cmp_eq_u32_e32 vcc, 0, v2
	s_and_saveexec_b64 s[14:15], vcc
	s_cbranch_execz .LBB309_380
; %bb.379:
	s_bcnt1_i32_b64 s12, s[12:13]
	v_mov_b32_e32 v2, s12
	buffer_wbl2 sc0 sc1
	s_waitcnt vmcnt(0)
	global_atomic_add_x2 v[0:1], v[2:3], off offset:8 sc1
.LBB309_380:
	s_or_b64 exec, exec, s[14:15]
	s_waitcnt vmcnt(0)
	global_load_dwordx2 v[2:3], v[0:1], off offset:16
	s_waitcnt vmcnt(0)
	v_cmp_eq_u64_e32 vcc, 0, v[2:3]
	s_cbranch_vccnz .LBB309_382
; %bb.381:
	global_load_dword v0, v[0:1], off offset:24
	v_mov_b32_e32 v1, 0
	buffer_wbl2 sc0 sc1
	s_waitcnt vmcnt(0)
	global_store_dwordx2 v[2:3], v[0:1], off sc0 sc1
	v_and_b32_e32 v0, 0xffffff, v0
	s_nop 0
	v_readfirstlane_b32 m0, v0
	s_sendmsg sendmsg(MSG_INTERRUPT)
.LBB309_382:
	s_or_b64 exec, exec, s[10:11]
	v_lshl_add_u64 v[0:1], v[6:7], 0, v[32:33]
	s_branch .LBB309_386
.LBB309_383:                            ;   in Loop: Header=BB309_386 Depth=1
	s_or_b64 exec, exec, s[10:11]
	v_readfirstlane_b32 s10, v2
	s_cmp_eq_u32 s10, 0
	s_cbranch_scc1 .LBB309_385
; %bb.384:                              ;   in Loop: Header=BB309_386 Depth=1
	s_sleep 1
	s_cbranch_execnz .LBB309_386
	s_branch .LBB309_388
.LBB309_385:
	s_branch .LBB309_388
.LBB309_386:                            ; =>This Inner Loop Header: Depth=1
	v_mov_b32_e32 v2, 1
	s_and_saveexec_b64 s[10:11], s[0:1]
	s_cbranch_execz .LBB309_383
; %bb.387:                              ;   in Loop: Header=BB309_386 Depth=1
	global_load_dword v2, v[8:9], off offset:20 sc0 sc1
	s_waitcnt vmcnt(0)
	buffer_inv sc0 sc1
	v_and_b32_e32 v2, 1, v2
	s_branch .LBB309_383
.LBB309_388:
	global_load_dwordx2 v[0:1], v[0:1], off
	s_and_saveexec_b64 s[10:11], s[0:1]
	s_cbranch_execz .LBB309_391
; %bb.389:
	v_mov_b32_e32 v8, 0
	global_load_dwordx2 v[6:7], v8, s[2:3] offset:40
	global_load_dwordx2 v[10:11], v8, s[2:3] offset:24 sc0 sc1
	global_load_dwordx2 v[12:13], v8, s[2:3]
	s_mov_b64 s[0:1], 0
	s_waitcnt vmcnt(2)
	v_lshl_add_u64 v[2:3], v[6:7], 0, 1
	v_lshl_add_u64 v[14:15], v[2:3], 0, s[6:7]
	v_cmp_eq_u64_e32 vcc, 0, v[14:15]
	s_waitcnt vmcnt(1)
	v_mov_b32_e32 v4, v10
	v_cndmask_b32_e32 v3, v15, v3, vcc
	v_cndmask_b32_e32 v2, v14, v2, vcc
	v_and_b32_e32 v5, v3, v7
	v_and_b32_e32 v6, v2, v6
	v_mul_lo_u32 v5, v5, 24
	v_mul_hi_u32 v7, v6, 24
	v_mul_lo_u32 v6, v6, 24
	v_add_u32_e32 v7, v7, v5
	s_waitcnt vmcnt(0)
	v_lshl_add_u64 v[6:7], v[12:13], 0, v[6:7]
	global_store_dwordx2 v[6:7], v[10:11], off
	v_mov_b32_e32 v5, v11
	buffer_wbl2 sc0 sc1
	s_waitcnt vmcnt(0)
	global_atomic_cmpswap_x2 v[4:5], v8, v[2:5], s[2:3] offset:24 sc0 sc1
	s_waitcnt vmcnt(0)
	v_cmp_ne_u64_e32 vcc, v[4:5], v[10:11]
	s_and_b64 exec, exec, vcc
	s_cbranch_execz .LBB309_391
.LBB309_390:                            ; =>This Inner Loop Header: Depth=1
	s_sleep 1
	global_store_dwordx2 v[6:7], v[4:5], off
	buffer_wbl2 sc0 sc1
	s_waitcnt vmcnt(0)
	global_atomic_cmpswap_x2 v[10:11], v8, v[2:5], s[2:3] offset:24 sc0 sc1
	s_waitcnt vmcnt(0)
	v_cmp_eq_u64_e32 vcc, v[10:11], v[4:5]
	s_or_b64 s[0:1], vcc, s[0:1]
	v_mov_b64_e32 v[4:5], v[10:11]
	s_andn2_b64 exec, exec, s[0:1]
	s_cbranch_execnz .LBB309_390
.LBB309_391:
	s_or_b64 exec, exec, s[10:11]
.LBB309_392:
	s_or_b64 exec, exec, s[4:5]
	s_getpc_b64 s[0:1]
	s_add_u32 s0, s0, .str.1@rel32@lo+4
	s_addc_u32 s1, s1, .str.1@rel32@hi+12
	s_getpc_b64 s[2:3]
	s_add_u32 s2, s2, .str.1@rel32@lo+10
	s_addc_u32 s3, s3, .str.1@rel32@hi+18
	s_sub_i32 s4, s2, s0
	s_ashr_i32 s5, s4, 31
	s_waitcnt vmcnt(0)
	v_mov_b32_e32 v2, s0
	v_mov_b32_e32 v3, s1
	;; [unrolled: 1-line block ×5, first 2 shown]
	s_getpc_b64 s[2:3]
	s_add_u32 s2, s2, __ockl_fprintf_append_string_n@rel32@lo+4
	s_addc_u32 s3, s3, __ockl_fprintf_append_string_n@rel32@hi+12
	s_swappc_b64 s[30:31], s[2:3]
	s_trap 2
.Lfunc_end309:
	.size	__assert_fail, .Lfunc_end309-__assert_fail
                                        ; -- End function
	.section	.AMDGPU.csdata,"",@progbits
; Function info:
; codeLenInByte = 14360
; NumSgprs: 40
; NumVgprs: 40
; NumAgprs: 0
; TotalNumVgprs: 40
; ScratchSize: 64
; MemoryBound: 0
	.section	.text._Z11wvSplitKrc_I6__halfLi64ELi16ELi4ELi8ELi1ELi16ELi1ELi1ELi1EEviiiiiiPKT_S3_S3_PfPiPS1_i,"axG",@progbits,_Z11wvSplitKrc_I6__halfLi64ELi16ELi4ELi8ELi1ELi16ELi1ELi1ELi1EEviiiiiiPKT_S3_S3_PfPiPS1_i,comdat
	.protected	_Z11wvSplitKrc_I6__halfLi64ELi16ELi4ELi8ELi1ELi16ELi1ELi1ELi1EEviiiiiiPKT_S3_S3_PfPiPS1_i ; -- Begin function _Z11wvSplitKrc_I6__halfLi64ELi16ELi4ELi8ELi1ELi16ELi1ELi1ELi1EEviiiiiiPKT_S3_S3_PfPiPS1_i
	.globl	_Z11wvSplitKrc_I6__halfLi64ELi16ELi4ELi8ELi1ELi16ELi1ELi1ELi1EEviiiiiiPKT_S3_S3_PfPiPS1_i
	.p2align	8
	.type	_Z11wvSplitKrc_I6__halfLi64ELi16ELi4ELi8ELi1ELi16ELi1ELi1ELi1EEviiiiiiPKT_S3_S3_PfPiPS1_i,@function
_Z11wvSplitKrc_I6__halfLi64ELi16ELi4ELi8ELi1ELi16ELi1ELi1ELi1EEviiiiiiPKT_S3_S3_PfPiPS1_i: ; @_Z11wvSplitKrc_I6__halfLi64ELi16ELi4ELi8ELi1ELi16ELi1ELi1ELi1EEviiiiiiPKT_S3_S3_PfPiPS1_i
; %bb.0:
	s_add_u32 s8, s0, 0x50
	s_addc_u32 s9, s1, 0
	s_getpc_b64 s[0:1]
	s_add_u32 s0, s0, __PRETTY_FUNCTION__._Z11wvSplitKrc_I6__halfLi64ELi16ELi4ELi8ELi1ELi16ELi1ELi1ELi1EEviiiiiiPKT_S3_S3_PfPiPS1_i@rel32@lo+4
	s_addc_u32 s1, s1, __PRETTY_FUNCTION__._Z11wvSplitKrc_I6__halfLi64ELi16ELi4ELi8ELi1ELi16ELi1ELi1ELi1EEviiiiiiPKT_S3_S3_PfPiPS1_i@rel32@hi+12
	v_mov_b32_e32 v0, s0
	v_mov_b32_e32 v1, s1
	s_mov_b32 s32, 0
	s_getpc_b64 s[2:3]
	s_add_u32 s2, s2, __assert_fail@rel32@lo+4
	s_addc_u32 s3, s3, __assert_fail@rel32@hi+12
	s_swappc_b64 s[30:31], s[2:3]
	.section	.rodata,"a",@progbits
	.p2align	6, 0x0
	.amdhsa_kernel _Z11wvSplitKrc_I6__halfLi64ELi16ELi4ELi8ELi1ELi16ELi1ELi1ELi1EEviiiiiiPKT_S3_S3_PfPiPS1_i
		.amdhsa_group_segment_fixed_size 0
		.amdhsa_private_segment_fixed_size 64
		.amdhsa_kernarg_size 336
		.amdhsa_user_sgpr_count 2
		.amdhsa_user_sgpr_dispatch_ptr 0
		.amdhsa_user_sgpr_queue_ptr 0
		.amdhsa_user_sgpr_kernarg_segment_ptr 1
		.amdhsa_user_sgpr_dispatch_id 0
		.amdhsa_user_sgpr_kernarg_preload_length 0
		.amdhsa_user_sgpr_kernarg_preload_offset 0
		.amdhsa_user_sgpr_private_segment_size 0
		.amdhsa_uses_dynamic_stack 0
		.amdhsa_enable_private_segment 1
		.amdhsa_system_sgpr_workgroup_id_x 1
		.amdhsa_system_sgpr_workgroup_id_y 0
		.amdhsa_system_sgpr_workgroup_id_z 0
		.amdhsa_system_sgpr_workgroup_info 0
		.amdhsa_system_vgpr_workitem_id 0
		.amdhsa_next_free_vgpr 40
		.amdhsa_next_free_sgpr 34
		.amdhsa_accum_offset 40
		.amdhsa_reserve_vcc 1
		.amdhsa_float_round_mode_32 0
		.amdhsa_float_round_mode_16_64 0
		.amdhsa_float_denorm_mode_32 3
		.amdhsa_float_denorm_mode_16_64 3
		.amdhsa_dx10_clamp 1
		.amdhsa_ieee_mode 1
		.amdhsa_fp16_overflow 0
		.amdhsa_tg_split 0
		.amdhsa_exception_fp_ieee_invalid_op 0
		.amdhsa_exception_fp_denorm_src 0
		.amdhsa_exception_fp_ieee_div_zero 0
		.amdhsa_exception_fp_ieee_overflow 0
		.amdhsa_exception_fp_ieee_underflow 0
		.amdhsa_exception_fp_ieee_inexact 0
		.amdhsa_exception_int_div_zero 0
	.end_amdhsa_kernel
	.section	.text._Z11wvSplitKrc_I6__halfLi64ELi16ELi4ELi8ELi1ELi16ELi1ELi1ELi1EEviiiiiiPKT_S3_S3_PfPiPS1_i,"axG",@progbits,_Z11wvSplitKrc_I6__halfLi64ELi16ELi4ELi8ELi1ELi16ELi1ELi1ELi1EEviiiiiiPKT_S3_S3_PfPiPS1_i,comdat
.Lfunc_end310:
	.size	_Z11wvSplitKrc_I6__halfLi64ELi16ELi4ELi8ELi1ELi16ELi1ELi1ELi1EEviiiiiiPKT_S3_S3_PfPiPS1_i, .Lfunc_end310-_Z11wvSplitKrc_I6__halfLi64ELi16ELi4ELi8ELi1ELi16ELi1ELi1ELi1EEviiiiiiPKT_S3_S3_PfPiPS1_i
                                        ; -- End function
	.section	.AMDGPU.csdata,"",@progbits
; Kernel info:
; codeLenInByte = 68
; NumSgprs: 40
; NumVgprs: 40
; NumAgprs: 0
; TotalNumVgprs: 40
; ScratchSize: 64
; MemoryBound: 0
; FloatMode: 240
; IeeeMode: 1
; LDSByteSize: 0 bytes/workgroup (compile time only)
; SGPRBlocks: 4
; VGPRBlocks: 4
; NumSGPRsForWavesPerEU: 40
; NumVGPRsForWavesPerEU: 40
; AccumOffset: 40
; Occupancy: 8
; WaveLimiterHint : 1
; COMPUTE_PGM_RSRC2:SCRATCH_EN: 1
; COMPUTE_PGM_RSRC2:USER_SGPR: 2
; COMPUTE_PGM_RSRC2:TRAP_HANDLER: 0
; COMPUTE_PGM_RSRC2:TGID_X_EN: 1
; COMPUTE_PGM_RSRC2:TGID_Y_EN: 0
; COMPUTE_PGM_RSRC2:TGID_Z_EN: 0
; COMPUTE_PGM_RSRC2:TIDIG_COMP_CNT: 0
; COMPUTE_PGM_RSRC3_GFX90A:ACCUM_OFFSET: 9
; COMPUTE_PGM_RSRC3_GFX90A:TG_SPLIT: 0
	.section	.text._Z11wvSplitKrc_I6__halfLi64ELi16ELi4ELi8ELi1ELi16ELi1ELi1ELi0EEviiiiiiPKT_S3_S3_PfPiPS1_i,"axG",@progbits,_Z11wvSplitKrc_I6__halfLi64ELi16ELi4ELi8ELi1ELi16ELi1ELi1ELi0EEviiiiiiPKT_S3_S3_PfPiPS1_i,comdat
	.protected	_Z11wvSplitKrc_I6__halfLi64ELi16ELi4ELi8ELi1ELi16ELi1ELi1ELi0EEviiiiiiPKT_S3_S3_PfPiPS1_i ; -- Begin function _Z11wvSplitKrc_I6__halfLi64ELi16ELi4ELi8ELi1ELi16ELi1ELi1ELi0EEviiiiiiPKT_S3_S3_PfPiPS1_i
	.globl	_Z11wvSplitKrc_I6__halfLi64ELi16ELi4ELi8ELi1ELi16ELi1ELi1ELi0EEviiiiiiPKT_S3_S3_PfPiPS1_i
	.p2align	8
	.type	_Z11wvSplitKrc_I6__halfLi64ELi16ELi4ELi8ELi1ELi16ELi1ELi1ELi0EEviiiiiiPKT_S3_S3_PfPiPS1_i,@function
_Z11wvSplitKrc_I6__halfLi64ELi16ELi4ELi8ELi1ELi16ELi1ELi1ELi0EEviiiiiiPKT_S3_S3_PfPiPS1_i: ; @_Z11wvSplitKrc_I6__halfLi64ELi16ELi4ELi8ELi1ELi16ELi1ELi1ELi0EEviiiiiiPKT_S3_S3_PfPiPS1_i
; %bb.0:
	s_add_u32 s8, s0, 0x50
	s_addc_u32 s9, s1, 0
	s_getpc_b64 s[0:1]
	s_add_u32 s0, s0, __PRETTY_FUNCTION__._Z11wvSplitKrc_I6__halfLi64ELi16ELi4ELi8ELi1ELi16ELi1ELi1ELi0EEviiiiiiPKT_S3_S3_PfPiPS1_i@rel32@lo+4
	s_addc_u32 s1, s1, __PRETTY_FUNCTION__._Z11wvSplitKrc_I6__halfLi64ELi16ELi4ELi8ELi1ELi16ELi1ELi1ELi0EEviiiiiiPKT_S3_S3_PfPiPS1_i@rel32@hi+12
	v_mov_b32_e32 v0, s0
	v_mov_b32_e32 v1, s1
	s_mov_b32 s32, 0
	s_getpc_b64 s[2:3]
	s_add_u32 s2, s2, __assert_fail@rel32@lo+4
	s_addc_u32 s3, s3, __assert_fail@rel32@hi+12
	s_swappc_b64 s[30:31], s[2:3]
	.section	.rodata,"a",@progbits
	.p2align	6, 0x0
	.amdhsa_kernel _Z11wvSplitKrc_I6__halfLi64ELi16ELi4ELi8ELi1ELi16ELi1ELi1ELi0EEviiiiiiPKT_S3_S3_PfPiPS1_i
		.amdhsa_group_segment_fixed_size 0
		.amdhsa_private_segment_fixed_size 64
		.amdhsa_kernarg_size 336
		.amdhsa_user_sgpr_count 2
		.amdhsa_user_sgpr_dispatch_ptr 0
		.amdhsa_user_sgpr_queue_ptr 0
		.amdhsa_user_sgpr_kernarg_segment_ptr 1
		.amdhsa_user_sgpr_dispatch_id 0
		.amdhsa_user_sgpr_kernarg_preload_length 0
		.amdhsa_user_sgpr_kernarg_preload_offset 0
		.amdhsa_user_sgpr_private_segment_size 0
		.amdhsa_uses_dynamic_stack 0
		.amdhsa_enable_private_segment 1
		.amdhsa_system_sgpr_workgroup_id_x 1
		.amdhsa_system_sgpr_workgroup_id_y 0
		.amdhsa_system_sgpr_workgroup_id_z 0
		.amdhsa_system_sgpr_workgroup_info 0
		.amdhsa_system_vgpr_workitem_id 0
		.amdhsa_next_free_vgpr 40
		.amdhsa_next_free_sgpr 34
		.amdhsa_accum_offset 40
		.amdhsa_reserve_vcc 1
		.amdhsa_float_round_mode_32 0
		.amdhsa_float_round_mode_16_64 0
		.amdhsa_float_denorm_mode_32 3
		.amdhsa_float_denorm_mode_16_64 3
		.amdhsa_dx10_clamp 1
		.amdhsa_ieee_mode 1
		.amdhsa_fp16_overflow 0
		.amdhsa_tg_split 0
		.amdhsa_exception_fp_ieee_invalid_op 0
		.amdhsa_exception_fp_denorm_src 0
		.amdhsa_exception_fp_ieee_div_zero 0
		.amdhsa_exception_fp_ieee_overflow 0
		.amdhsa_exception_fp_ieee_underflow 0
		.amdhsa_exception_fp_ieee_inexact 0
		.amdhsa_exception_int_div_zero 0
	.end_amdhsa_kernel
	.section	.text._Z11wvSplitKrc_I6__halfLi64ELi16ELi4ELi8ELi1ELi16ELi1ELi1ELi0EEviiiiiiPKT_S3_S3_PfPiPS1_i,"axG",@progbits,_Z11wvSplitKrc_I6__halfLi64ELi16ELi4ELi8ELi1ELi16ELi1ELi1ELi0EEviiiiiiPKT_S3_S3_PfPiPS1_i,comdat
.Lfunc_end311:
	.size	_Z11wvSplitKrc_I6__halfLi64ELi16ELi4ELi8ELi1ELi16ELi1ELi1ELi0EEviiiiiiPKT_S3_S3_PfPiPS1_i, .Lfunc_end311-_Z11wvSplitKrc_I6__halfLi64ELi16ELi4ELi8ELi1ELi16ELi1ELi1ELi0EEviiiiiiPKT_S3_S3_PfPiPS1_i
                                        ; -- End function
	.section	.AMDGPU.csdata,"",@progbits
; Kernel info:
; codeLenInByte = 68
; NumSgprs: 40
; NumVgprs: 40
; NumAgprs: 0
; TotalNumVgprs: 40
; ScratchSize: 64
; MemoryBound: 0
; FloatMode: 240
; IeeeMode: 1
; LDSByteSize: 0 bytes/workgroup (compile time only)
; SGPRBlocks: 4
; VGPRBlocks: 4
; NumSGPRsForWavesPerEU: 40
; NumVGPRsForWavesPerEU: 40
; AccumOffset: 40
; Occupancy: 8
; WaveLimiterHint : 1
; COMPUTE_PGM_RSRC2:SCRATCH_EN: 1
; COMPUTE_PGM_RSRC2:USER_SGPR: 2
; COMPUTE_PGM_RSRC2:TRAP_HANDLER: 0
; COMPUTE_PGM_RSRC2:TGID_X_EN: 1
; COMPUTE_PGM_RSRC2:TGID_Y_EN: 0
; COMPUTE_PGM_RSRC2:TGID_Z_EN: 0
; COMPUTE_PGM_RSRC2:TIDIG_COMP_CNT: 0
; COMPUTE_PGM_RSRC3_GFX90A:ACCUM_OFFSET: 9
; COMPUTE_PGM_RSRC3_GFX90A:TG_SPLIT: 0
	.section	.text._Z11wvSplitKrc_I6__halfLi64ELi16ELi4ELi8ELi1ELi32ELi2ELi2ELi1EEviiiiiiPKT_S3_S3_PfPiPS1_i,"axG",@progbits,_Z11wvSplitKrc_I6__halfLi64ELi16ELi4ELi8ELi1ELi32ELi2ELi2ELi1EEviiiiiiPKT_S3_S3_PfPiPS1_i,comdat
	.protected	_Z11wvSplitKrc_I6__halfLi64ELi16ELi4ELi8ELi1ELi32ELi2ELi2ELi1EEviiiiiiPKT_S3_S3_PfPiPS1_i ; -- Begin function _Z11wvSplitKrc_I6__halfLi64ELi16ELi4ELi8ELi1ELi32ELi2ELi2ELi1EEviiiiiiPKT_S3_S3_PfPiPS1_i
	.globl	_Z11wvSplitKrc_I6__halfLi64ELi16ELi4ELi8ELi1ELi32ELi2ELi2ELi1EEviiiiiiPKT_S3_S3_PfPiPS1_i
	.p2align	8
	.type	_Z11wvSplitKrc_I6__halfLi64ELi16ELi4ELi8ELi1ELi32ELi2ELi2ELi1EEviiiiiiPKT_S3_S3_PfPiPS1_i,@function
_Z11wvSplitKrc_I6__halfLi64ELi16ELi4ELi8ELi1ELi32ELi2ELi2ELi1EEviiiiiiPKT_S3_S3_PfPiPS1_i: ; @_Z11wvSplitKrc_I6__halfLi64ELi16ELi4ELi8ELi1ELi32ELi2ELi2ELi1EEviiiiiiPKT_S3_S3_PfPiPS1_i
; %bb.0:
	s_add_u32 s8, s0, 0x50
	s_addc_u32 s9, s1, 0
	s_getpc_b64 s[0:1]
	s_add_u32 s0, s0, __PRETTY_FUNCTION__._Z11wvSplitKrc_I6__halfLi64ELi16ELi4ELi8ELi1ELi32ELi2ELi2ELi1EEviiiiiiPKT_S3_S3_PfPiPS1_i@rel32@lo+4
	s_addc_u32 s1, s1, __PRETTY_FUNCTION__._Z11wvSplitKrc_I6__halfLi64ELi16ELi4ELi8ELi1ELi32ELi2ELi2ELi1EEviiiiiiPKT_S3_S3_PfPiPS1_i@rel32@hi+12
	v_mov_b32_e32 v0, s0
	v_mov_b32_e32 v1, s1
	s_mov_b32 s32, 0
	s_getpc_b64 s[2:3]
	s_add_u32 s2, s2, __assert_fail@rel32@lo+4
	s_addc_u32 s3, s3, __assert_fail@rel32@hi+12
	s_swappc_b64 s[30:31], s[2:3]
	.section	.rodata,"a",@progbits
	.p2align	6, 0x0
	.amdhsa_kernel _Z11wvSplitKrc_I6__halfLi64ELi16ELi4ELi8ELi1ELi32ELi2ELi2ELi1EEviiiiiiPKT_S3_S3_PfPiPS1_i
		.amdhsa_group_segment_fixed_size 0
		.amdhsa_private_segment_fixed_size 64
		.amdhsa_kernarg_size 336
		.amdhsa_user_sgpr_count 2
		.amdhsa_user_sgpr_dispatch_ptr 0
		.amdhsa_user_sgpr_queue_ptr 0
		.amdhsa_user_sgpr_kernarg_segment_ptr 1
		.amdhsa_user_sgpr_dispatch_id 0
		.amdhsa_user_sgpr_kernarg_preload_length 0
		.amdhsa_user_sgpr_kernarg_preload_offset 0
		.amdhsa_user_sgpr_private_segment_size 0
		.amdhsa_uses_dynamic_stack 0
		.amdhsa_enable_private_segment 1
		.amdhsa_system_sgpr_workgroup_id_x 1
		.amdhsa_system_sgpr_workgroup_id_y 0
		.amdhsa_system_sgpr_workgroup_id_z 0
		.amdhsa_system_sgpr_workgroup_info 0
		.amdhsa_system_vgpr_workitem_id 0
		.amdhsa_next_free_vgpr 40
		.amdhsa_next_free_sgpr 34
		.amdhsa_accum_offset 40
		.amdhsa_reserve_vcc 1
		.amdhsa_float_round_mode_32 0
		.amdhsa_float_round_mode_16_64 0
		.amdhsa_float_denorm_mode_32 3
		.amdhsa_float_denorm_mode_16_64 3
		.amdhsa_dx10_clamp 1
		.amdhsa_ieee_mode 1
		.amdhsa_fp16_overflow 0
		.amdhsa_tg_split 0
		.amdhsa_exception_fp_ieee_invalid_op 0
		.amdhsa_exception_fp_denorm_src 0
		.amdhsa_exception_fp_ieee_div_zero 0
		.amdhsa_exception_fp_ieee_overflow 0
		.amdhsa_exception_fp_ieee_underflow 0
		.amdhsa_exception_fp_ieee_inexact 0
		.amdhsa_exception_int_div_zero 0
	.end_amdhsa_kernel
	.section	.text._Z11wvSplitKrc_I6__halfLi64ELi16ELi4ELi8ELi1ELi32ELi2ELi2ELi1EEviiiiiiPKT_S3_S3_PfPiPS1_i,"axG",@progbits,_Z11wvSplitKrc_I6__halfLi64ELi16ELi4ELi8ELi1ELi32ELi2ELi2ELi1EEviiiiiiPKT_S3_S3_PfPiPS1_i,comdat
.Lfunc_end312:
	.size	_Z11wvSplitKrc_I6__halfLi64ELi16ELi4ELi8ELi1ELi32ELi2ELi2ELi1EEviiiiiiPKT_S3_S3_PfPiPS1_i, .Lfunc_end312-_Z11wvSplitKrc_I6__halfLi64ELi16ELi4ELi8ELi1ELi32ELi2ELi2ELi1EEviiiiiiPKT_S3_S3_PfPiPS1_i
                                        ; -- End function
	.section	.AMDGPU.csdata,"",@progbits
; Kernel info:
; codeLenInByte = 68
; NumSgprs: 40
; NumVgprs: 40
; NumAgprs: 0
; TotalNumVgprs: 40
; ScratchSize: 64
; MemoryBound: 0
; FloatMode: 240
; IeeeMode: 1
; LDSByteSize: 0 bytes/workgroup (compile time only)
; SGPRBlocks: 4
; VGPRBlocks: 4
; NumSGPRsForWavesPerEU: 40
; NumVGPRsForWavesPerEU: 40
; AccumOffset: 40
; Occupancy: 8
; WaveLimiterHint : 1
; COMPUTE_PGM_RSRC2:SCRATCH_EN: 1
; COMPUTE_PGM_RSRC2:USER_SGPR: 2
; COMPUTE_PGM_RSRC2:TRAP_HANDLER: 0
; COMPUTE_PGM_RSRC2:TGID_X_EN: 1
; COMPUTE_PGM_RSRC2:TGID_Y_EN: 0
; COMPUTE_PGM_RSRC2:TGID_Z_EN: 0
; COMPUTE_PGM_RSRC2:TIDIG_COMP_CNT: 0
; COMPUTE_PGM_RSRC3_GFX90A:ACCUM_OFFSET: 9
; COMPUTE_PGM_RSRC3_GFX90A:TG_SPLIT: 0
	.section	.text._Z11wvSplitKrc_I6__halfLi64ELi16ELi4ELi8ELi1ELi32ELi2ELi2ELi0EEviiiiiiPKT_S3_S3_PfPiPS1_i,"axG",@progbits,_Z11wvSplitKrc_I6__halfLi64ELi16ELi4ELi8ELi1ELi32ELi2ELi2ELi0EEviiiiiiPKT_S3_S3_PfPiPS1_i,comdat
	.protected	_Z11wvSplitKrc_I6__halfLi64ELi16ELi4ELi8ELi1ELi32ELi2ELi2ELi0EEviiiiiiPKT_S3_S3_PfPiPS1_i ; -- Begin function _Z11wvSplitKrc_I6__halfLi64ELi16ELi4ELi8ELi1ELi32ELi2ELi2ELi0EEviiiiiiPKT_S3_S3_PfPiPS1_i
	.globl	_Z11wvSplitKrc_I6__halfLi64ELi16ELi4ELi8ELi1ELi32ELi2ELi2ELi0EEviiiiiiPKT_S3_S3_PfPiPS1_i
	.p2align	8
	.type	_Z11wvSplitKrc_I6__halfLi64ELi16ELi4ELi8ELi1ELi32ELi2ELi2ELi0EEviiiiiiPKT_S3_S3_PfPiPS1_i,@function
_Z11wvSplitKrc_I6__halfLi64ELi16ELi4ELi8ELi1ELi32ELi2ELi2ELi0EEviiiiiiPKT_S3_S3_PfPiPS1_i: ; @_Z11wvSplitKrc_I6__halfLi64ELi16ELi4ELi8ELi1ELi32ELi2ELi2ELi0EEviiiiiiPKT_S3_S3_PfPiPS1_i
; %bb.0:
	s_add_u32 s8, s0, 0x50
	s_addc_u32 s9, s1, 0
	s_getpc_b64 s[0:1]
	s_add_u32 s0, s0, __PRETTY_FUNCTION__._Z11wvSplitKrc_I6__halfLi64ELi16ELi4ELi8ELi1ELi32ELi2ELi2ELi0EEviiiiiiPKT_S3_S3_PfPiPS1_i@rel32@lo+4
	s_addc_u32 s1, s1, __PRETTY_FUNCTION__._Z11wvSplitKrc_I6__halfLi64ELi16ELi4ELi8ELi1ELi32ELi2ELi2ELi0EEviiiiiiPKT_S3_S3_PfPiPS1_i@rel32@hi+12
	v_mov_b32_e32 v0, s0
	v_mov_b32_e32 v1, s1
	s_mov_b32 s32, 0
	s_getpc_b64 s[2:3]
	s_add_u32 s2, s2, __assert_fail@rel32@lo+4
	s_addc_u32 s3, s3, __assert_fail@rel32@hi+12
	s_swappc_b64 s[30:31], s[2:3]
	.section	.rodata,"a",@progbits
	.p2align	6, 0x0
	.amdhsa_kernel _Z11wvSplitKrc_I6__halfLi64ELi16ELi4ELi8ELi1ELi32ELi2ELi2ELi0EEviiiiiiPKT_S3_S3_PfPiPS1_i
		.amdhsa_group_segment_fixed_size 0
		.amdhsa_private_segment_fixed_size 64
		.amdhsa_kernarg_size 336
		.amdhsa_user_sgpr_count 2
		.amdhsa_user_sgpr_dispatch_ptr 0
		.amdhsa_user_sgpr_queue_ptr 0
		.amdhsa_user_sgpr_kernarg_segment_ptr 1
		.amdhsa_user_sgpr_dispatch_id 0
		.amdhsa_user_sgpr_kernarg_preload_length 0
		.amdhsa_user_sgpr_kernarg_preload_offset 0
		.amdhsa_user_sgpr_private_segment_size 0
		.amdhsa_uses_dynamic_stack 0
		.amdhsa_enable_private_segment 1
		.amdhsa_system_sgpr_workgroup_id_x 1
		.amdhsa_system_sgpr_workgroup_id_y 0
		.amdhsa_system_sgpr_workgroup_id_z 0
		.amdhsa_system_sgpr_workgroup_info 0
		.amdhsa_system_vgpr_workitem_id 0
		.amdhsa_next_free_vgpr 40
		.amdhsa_next_free_sgpr 34
		.amdhsa_accum_offset 40
		.amdhsa_reserve_vcc 1
		.amdhsa_float_round_mode_32 0
		.amdhsa_float_round_mode_16_64 0
		.amdhsa_float_denorm_mode_32 3
		.amdhsa_float_denorm_mode_16_64 3
		.amdhsa_dx10_clamp 1
		.amdhsa_ieee_mode 1
		.amdhsa_fp16_overflow 0
		.amdhsa_tg_split 0
		.amdhsa_exception_fp_ieee_invalid_op 0
		.amdhsa_exception_fp_denorm_src 0
		.amdhsa_exception_fp_ieee_div_zero 0
		.amdhsa_exception_fp_ieee_overflow 0
		.amdhsa_exception_fp_ieee_underflow 0
		.amdhsa_exception_fp_ieee_inexact 0
		.amdhsa_exception_int_div_zero 0
	.end_amdhsa_kernel
	.section	.text._Z11wvSplitKrc_I6__halfLi64ELi16ELi4ELi8ELi1ELi32ELi2ELi2ELi0EEviiiiiiPKT_S3_S3_PfPiPS1_i,"axG",@progbits,_Z11wvSplitKrc_I6__halfLi64ELi16ELi4ELi8ELi1ELi32ELi2ELi2ELi0EEviiiiiiPKT_S3_S3_PfPiPS1_i,comdat
.Lfunc_end313:
	.size	_Z11wvSplitKrc_I6__halfLi64ELi16ELi4ELi8ELi1ELi32ELi2ELi2ELi0EEviiiiiiPKT_S3_S3_PfPiPS1_i, .Lfunc_end313-_Z11wvSplitKrc_I6__halfLi64ELi16ELi4ELi8ELi1ELi32ELi2ELi2ELi0EEviiiiiiPKT_S3_S3_PfPiPS1_i
                                        ; -- End function
	.section	.AMDGPU.csdata,"",@progbits
; Kernel info:
; codeLenInByte = 68
; NumSgprs: 40
; NumVgprs: 40
; NumAgprs: 0
; TotalNumVgprs: 40
; ScratchSize: 64
; MemoryBound: 0
; FloatMode: 240
; IeeeMode: 1
; LDSByteSize: 0 bytes/workgroup (compile time only)
; SGPRBlocks: 4
; VGPRBlocks: 4
; NumSGPRsForWavesPerEU: 40
; NumVGPRsForWavesPerEU: 40
; AccumOffset: 40
; Occupancy: 8
; WaveLimiterHint : 1
; COMPUTE_PGM_RSRC2:SCRATCH_EN: 1
; COMPUTE_PGM_RSRC2:USER_SGPR: 2
; COMPUTE_PGM_RSRC2:TRAP_HANDLER: 0
; COMPUTE_PGM_RSRC2:TGID_X_EN: 1
; COMPUTE_PGM_RSRC2:TGID_Y_EN: 0
; COMPUTE_PGM_RSRC2:TGID_Z_EN: 0
; COMPUTE_PGM_RSRC2:TIDIG_COMP_CNT: 0
; COMPUTE_PGM_RSRC3_GFX90A:ACCUM_OFFSET: 9
; COMPUTE_PGM_RSRC3_GFX90A:TG_SPLIT: 0
	.section	.text._Z11wvSplitKrc_I6__halfLi64ELi16ELi4ELi8ELi1ELi32ELi2ELi1ELi1EEviiiiiiPKT_S3_S3_PfPiPS1_i,"axG",@progbits,_Z11wvSplitKrc_I6__halfLi64ELi16ELi4ELi8ELi1ELi32ELi2ELi1ELi1EEviiiiiiPKT_S3_S3_PfPiPS1_i,comdat
	.protected	_Z11wvSplitKrc_I6__halfLi64ELi16ELi4ELi8ELi1ELi32ELi2ELi1ELi1EEviiiiiiPKT_S3_S3_PfPiPS1_i ; -- Begin function _Z11wvSplitKrc_I6__halfLi64ELi16ELi4ELi8ELi1ELi32ELi2ELi1ELi1EEviiiiiiPKT_S3_S3_PfPiPS1_i
	.globl	_Z11wvSplitKrc_I6__halfLi64ELi16ELi4ELi8ELi1ELi32ELi2ELi1ELi1EEviiiiiiPKT_S3_S3_PfPiPS1_i
	.p2align	8
	.type	_Z11wvSplitKrc_I6__halfLi64ELi16ELi4ELi8ELi1ELi32ELi2ELi1ELi1EEviiiiiiPKT_S3_S3_PfPiPS1_i,@function
_Z11wvSplitKrc_I6__halfLi64ELi16ELi4ELi8ELi1ELi32ELi2ELi1ELi1EEviiiiiiPKT_S3_S3_PfPiPS1_i: ; @_Z11wvSplitKrc_I6__halfLi64ELi16ELi4ELi8ELi1ELi32ELi2ELi1ELi1EEviiiiiiPKT_S3_S3_PfPiPS1_i
; %bb.0:
	s_add_u32 s8, s0, 0x50
	s_addc_u32 s9, s1, 0
	s_getpc_b64 s[0:1]
	s_add_u32 s0, s0, __PRETTY_FUNCTION__._Z11wvSplitKrc_I6__halfLi64ELi16ELi4ELi8ELi1ELi32ELi2ELi1ELi1EEviiiiiiPKT_S3_S3_PfPiPS1_i@rel32@lo+4
	s_addc_u32 s1, s1, __PRETTY_FUNCTION__._Z11wvSplitKrc_I6__halfLi64ELi16ELi4ELi8ELi1ELi32ELi2ELi1ELi1EEviiiiiiPKT_S3_S3_PfPiPS1_i@rel32@hi+12
	v_mov_b32_e32 v0, s0
	v_mov_b32_e32 v1, s1
	s_mov_b32 s32, 0
	s_getpc_b64 s[2:3]
	s_add_u32 s2, s2, __assert_fail@rel32@lo+4
	s_addc_u32 s3, s3, __assert_fail@rel32@hi+12
	s_swappc_b64 s[30:31], s[2:3]
	.section	.rodata,"a",@progbits
	.p2align	6, 0x0
	.amdhsa_kernel _Z11wvSplitKrc_I6__halfLi64ELi16ELi4ELi8ELi1ELi32ELi2ELi1ELi1EEviiiiiiPKT_S3_S3_PfPiPS1_i
		.amdhsa_group_segment_fixed_size 0
		.amdhsa_private_segment_fixed_size 64
		.amdhsa_kernarg_size 336
		.amdhsa_user_sgpr_count 2
		.amdhsa_user_sgpr_dispatch_ptr 0
		.amdhsa_user_sgpr_queue_ptr 0
		.amdhsa_user_sgpr_kernarg_segment_ptr 1
		.amdhsa_user_sgpr_dispatch_id 0
		.amdhsa_user_sgpr_kernarg_preload_length 0
		.amdhsa_user_sgpr_kernarg_preload_offset 0
		.amdhsa_user_sgpr_private_segment_size 0
		.amdhsa_uses_dynamic_stack 0
		.amdhsa_enable_private_segment 1
		.amdhsa_system_sgpr_workgroup_id_x 1
		.amdhsa_system_sgpr_workgroup_id_y 0
		.amdhsa_system_sgpr_workgroup_id_z 0
		.amdhsa_system_sgpr_workgroup_info 0
		.amdhsa_system_vgpr_workitem_id 0
		.amdhsa_next_free_vgpr 40
		.amdhsa_next_free_sgpr 34
		.amdhsa_accum_offset 40
		.amdhsa_reserve_vcc 1
		.amdhsa_float_round_mode_32 0
		.amdhsa_float_round_mode_16_64 0
		.amdhsa_float_denorm_mode_32 3
		.amdhsa_float_denorm_mode_16_64 3
		.amdhsa_dx10_clamp 1
		.amdhsa_ieee_mode 1
		.amdhsa_fp16_overflow 0
		.amdhsa_tg_split 0
		.amdhsa_exception_fp_ieee_invalid_op 0
		.amdhsa_exception_fp_denorm_src 0
		.amdhsa_exception_fp_ieee_div_zero 0
		.amdhsa_exception_fp_ieee_overflow 0
		.amdhsa_exception_fp_ieee_underflow 0
		.amdhsa_exception_fp_ieee_inexact 0
		.amdhsa_exception_int_div_zero 0
	.end_amdhsa_kernel
	.section	.text._Z11wvSplitKrc_I6__halfLi64ELi16ELi4ELi8ELi1ELi32ELi2ELi1ELi1EEviiiiiiPKT_S3_S3_PfPiPS1_i,"axG",@progbits,_Z11wvSplitKrc_I6__halfLi64ELi16ELi4ELi8ELi1ELi32ELi2ELi1ELi1EEviiiiiiPKT_S3_S3_PfPiPS1_i,comdat
.Lfunc_end314:
	.size	_Z11wvSplitKrc_I6__halfLi64ELi16ELi4ELi8ELi1ELi32ELi2ELi1ELi1EEviiiiiiPKT_S3_S3_PfPiPS1_i, .Lfunc_end314-_Z11wvSplitKrc_I6__halfLi64ELi16ELi4ELi8ELi1ELi32ELi2ELi1ELi1EEviiiiiiPKT_S3_S3_PfPiPS1_i
                                        ; -- End function
	.section	.AMDGPU.csdata,"",@progbits
; Kernel info:
; codeLenInByte = 68
; NumSgprs: 40
; NumVgprs: 40
; NumAgprs: 0
; TotalNumVgprs: 40
; ScratchSize: 64
; MemoryBound: 0
; FloatMode: 240
; IeeeMode: 1
; LDSByteSize: 0 bytes/workgroup (compile time only)
; SGPRBlocks: 4
; VGPRBlocks: 4
; NumSGPRsForWavesPerEU: 40
; NumVGPRsForWavesPerEU: 40
; AccumOffset: 40
; Occupancy: 8
; WaveLimiterHint : 1
; COMPUTE_PGM_RSRC2:SCRATCH_EN: 1
; COMPUTE_PGM_RSRC2:USER_SGPR: 2
; COMPUTE_PGM_RSRC2:TRAP_HANDLER: 0
; COMPUTE_PGM_RSRC2:TGID_X_EN: 1
; COMPUTE_PGM_RSRC2:TGID_Y_EN: 0
; COMPUTE_PGM_RSRC2:TGID_Z_EN: 0
; COMPUTE_PGM_RSRC2:TIDIG_COMP_CNT: 0
; COMPUTE_PGM_RSRC3_GFX90A:ACCUM_OFFSET: 9
; COMPUTE_PGM_RSRC3_GFX90A:TG_SPLIT: 0
	.section	.text._Z11wvSplitKrc_I6__halfLi64ELi16ELi4ELi8ELi1ELi32ELi2ELi1ELi0EEviiiiiiPKT_S3_S3_PfPiPS1_i,"axG",@progbits,_Z11wvSplitKrc_I6__halfLi64ELi16ELi4ELi8ELi1ELi32ELi2ELi1ELi0EEviiiiiiPKT_S3_S3_PfPiPS1_i,comdat
	.protected	_Z11wvSplitKrc_I6__halfLi64ELi16ELi4ELi8ELi1ELi32ELi2ELi1ELi0EEviiiiiiPKT_S3_S3_PfPiPS1_i ; -- Begin function _Z11wvSplitKrc_I6__halfLi64ELi16ELi4ELi8ELi1ELi32ELi2ELi1ELi0EEviiiiiiPKT_S3_S3_PfPiPS1_i
	.globl	_Z11wvSplitKrc_I6__halfLi64ELi16ELi4ELi8ELi1ELi32ELi2ELi1ELi0EEviiiiiiPKT_S3_S3_PfPiPS1_i
	.p2align	8
	.type	_Z11wvSplitKrc_I6__halfLi64ELi16ELi4ELi8ELi1ELi32ELi2ELi1ELi0EEviiiiiiPKT_S3_S3_PfPiPS1_i,@function
_Z11wvSplitKrc_I6__halfLi64ELi16ELi4ELi8ELi1ELi32ELi2ELi1ELi0EEviiiiiiPKT_S3_S3_PfPiPS1_i: ; @_Z11wvSplitKrc_I6__halfLi64ELi16ELi4ELi8ELi1ELi32ELi2ELi1ELi0EEviiiiiiPKT_S3_S3_PfPiPS1_i
; %bb.0:
	s_add_u32 s8, s0, 0x50
	s_addc_u32 s9, s1, 0
	s_getpc_b64 s[0:1]
	s_add_u32 s0, s0, __PRETTY_FUNCTION__._Z11wvSplitKrc_I6__halfLi64ELi16ELi4ELi8ELi1ELi32ELi2ELi1ELi0EEviiiiiiPKT_S3_S3_PfPiPS1_i@rel32@lo+4
	s_addc_u32 s1, s1, __PRETTY_FUNCTION__._Z11wvSplitKrc_I6__halfLi64ELi16ELi4ELi8ELi1ELi32ELi2ELi1ELi0EEviiiiiiPKT_S3_S3_PfPiPS1_i@rel32@hi+12
	v_mov_b32_e32 v0, s0
	v_mov_b32_e32 v1, s1
	s_mov_b32 s32, 0
	s_getpc_b64 s[2:3]
	s_add_u32 s2, s2, __assert_fail@rel32@lo+4
	s_addc_u32 s3, s3, __assert_fail@rel32@hi+12
	s_swappc_b64 s[30:31], s[2:3]
	.section	.rodata,"a",@progbits
	.p2align	6, 0x0
	.amdhsa_kernel _Z11wvSplitKrc_I6__halfLi64ELi16ELi4ELi8ELi1ELi32ELi2ELi1ELi0EEviiiiiiPKT_S3_S3_PfPiPS1_i
		.amdhsa_group_segment_fixed_size 0
		.amdhsa_private_segment_fixed_size 64
		.amdhsa_kernarg_size 336
		.amdhsa_user_sgpr_count 2
		.amdhsa_user_sgpr_dispatch_ptr 0
		.amdhsa_user_sgpr_queue_ptr 0
		.amdhsa_user_sgpr_kernarg_segment_ptr 1
		.amdhsa_user_sgpr_dispatch_id 0
		.amdhsa_user_sgpr_kernarg_preload_length 0
		.amdhsa_user_sgpr_kernarg_preload_offset 0
		.amdhsa_user_sgpr_private_segment_size 0
		.amdhsa_uses_dynamic_stack 0
		.amdhsa_enable_private_segment 1
		.amdhsa_system_sgpr_workgroup_id_x 1
		.amdhsa_system_sgpr_workgroup_id_y 0
		.amdhsa_system_sgpr_workgroup_id_z 0
		.amdhsa_system_sgpr_workgroup_info 0
		.amdhsa_system_vgpr_workitem_id 0
		.amdhsa_next_free_vgpr 40
		.amdhsa_next_free_sgpr 34
		.amdhsa_accum_offset 40
		.amdhsa_reserve_vcc 1
		.amdhsa_float_round_mode_32 0
		.amdhsa_float_round_mode_16_64 0
		.amdhsa_float_denorm_mode_32 3
		.amdhsa_float_denorm_mode_16_64 3
		.amdhsa_dx10_clamp 1
		.amdhsa_ieee_mode 1
		.amdhsa_fp16_overflow 0
		.amdhsa_tg_split 0
		.amdhsa_exception_fp_ieee_invalid_op 0
		.amdhsa_exception_fp_denorm_src 0
		.amdhsa_exception_fp_ieee_div_zero 0
		.amdhsa_exception_fp_ieee_overflow 0
		.amdhsa_exception_fp_ieee_underflow 0
		.amdhsa_exception_fp_ieee_inexact 0
		.amdhsa_exception_int_div_zero 0
	.end_amdhsa_kernel
	.section	.text._Z11wvSplitKrc_I6__halfLi64ELi16ELi4ELi8ELi1ELi32ELi2ELi1ELi0EEviiiiiiPKT_S3_S3_PfPiPS1_i,"axG",@progbits,_Z11wvSplitKrc_I6__halfLi64ELi16ELi4ELi8ELi1ELi32ELi2ELi1ELi0EEviiiiiiPKT_S3_S3_PfPiPS1_i,comdat
.Lfunc_end315:
	.size	_Z11wvSplitKrc_I6__halfLi64ELi16ELi4ELi8ELi1ELi32ELi2ELi1ELi0EEviiiiiiPKT_S3_S3_PfPiPS1_i, .Lfunc_end315-_Z11wvSplitKrc_I6__halfLi64ELi16ELi4ELi8ELi1ELi32ELi2ELi1ELi0EEviiiiiiPKT_S3_S3_PfPiPS1_i
                                        ; -- End function
	.section	.AMDGPU.csdata,"",@progbits
; Kernel info:
; codeLenInByte = 68
; NumSgprs: 40
; NumVgprs: 40
; NumAgprs: 0
; TotalNumVgprs: 40
; ScratchSize: 64
; MemoryBound: 0
; FloatMode: 240
; IeeeMode: 1
; LDSByteSize: 0 bytes/workgroup (compile time only)
; SGPRBlocks: 4
; VGPRBlocks: 4
; NumSGPRsForWavesPerEU: 40
; NumVGPRsForWavesPerEU: 40
; AccumOffset: 40
; Occupancy: 8
; WaveLimiterHint : 1
; COMPUTE_PGM_RSRC2:SCRATCH_EN: 1
; COMPUTE_PGM_RSRC2:USER_SGPR: 2
; COMPUTE_PGM_RSRC2:TRAP_HANDLER: 0
; COMPUTE_PGM_RSRC2:TGID_X_EN: 1
; COMPUTE_PGM_RSRC2:TGID_Y_EN: 0
; COMPUTE_PGM_RSRC2:TGID_Z_EN: 0
; COMPUTE_PGM_RSRC2:TIDIG_COMP_CNT: 0
; COMPUTE_PGM_RSRC3_GFX90A:ACCUM_OFFSET: 9
; COMPUTE_PGM_RSRC3_GFX90A:TG_SPLIT: 0
	.section	.text._Z11wvSplitKrc_I6__halfLi64ELi16ELi4ELi8ELi1ELi64ELi4ELi2ELi1EEviiiiiiPKT_S3_S3_PfPiPS1_i,"axG",@progbits,_Z11wvSplitKrc_I6__halfLi64ELi16ELi4ELi8ELi1ELi64ELi4ELi2ELi1EEviiiiiiPKT_S3_S3_PfPiPS1_i,comdat
	.protected	_Z11wvSplitKrc_I6__halfLi64ELi16ELi4ELi8ELi1ELi64ELi4ELi2ELi1EEviiiiiiPKT_S3_S3_PfPiPS1_i ; -- Begin function _Z11wvSplitKrc_I6__halfLi64ELi16ELi4ELi8ELi1ELi64ELi4ELi2ELi1EEviiiiiiPKT_S3_S3_PfPiPS1_i
	.globl	_Z11wvSplitKrc_I6__halfLi64ELi16ELi4ELi8ELi1ELi64ELi4ELi2ELi1EEviiiiiiPKT_S3_S3_PfPiPS1_i
	.p2align	8
	.type	_Z11wvSplitKrc_I6__halfLi64ELi16ELi4ELi8ELi1ELi64ELi4ELi2ELi1EEviiiiiiPKT_S3_S3_PfPiPS1_i,@function
_Z11wvSplitKrc_I6__halfLi64ELi16ELi4ELi8ELi1ELi64ELi4ELi2ELi1EEviiiiiiPKT_S3_S3_PfPiPS1_i: ; @_Z11wvSplitKrc_I6__halfLi64ELi16ELi4ELi8ELi1ELi64ELi4ELi2ELi1EEviiiiiiPKT_S3_S3_PfPiPS1_i
; %bb.0:
	s_add_u32 s8, s0, 0x50
	s_addc_u32 s9, s1, 0
	s_getpc_b64 s[0:1]
	s_add_u32 s0, s0, __PRETTY_FUNCTION__._Z11wvSplitKrc_I6__halfLi64ELi16ELi4ELi8ELi1ELi64ELi4ELi2ELi1EEviiiiiiPKT_S3_S3_PfPiPS1_i@rel32@lo+4
	s_addc_u32 s1, s1, __PRETTY_FUNCTION__._Z11wvSplitKrc_I6__halfLi64ELi16ELi4ELi8ELi1ELi64ELi4ELi2ELi1EEviiiiiiPKT_S3_S3_PfPiPS1_i@rel32@hi+12
	v_mov_b32_e32 v0, s0
	v_mov_b32_e32 v1, s1
	s_mov_b32 s32, 0
	s_getpc_b64 s[2:3]
	s_add_u32 s2, s2, __assert_fail@rel32@lo+4
	s_addc_u32 s3, s3, __assert_fail@rel32@hi+12
	s_swappc_b64 s[30:31], s[2:3]
	.section	.rodata,"a",@progbits
	.p2align	6, 0x0
	.amdhsa_kernel _Z11wvSplitKrc_I6__halfLi64ELi16ELi4ELi8ELi1ELi64ELi4ELi2ELi1EEviiiiiiPKT_S3_S3_PfPiPS1_i
		.amdhsa_group_segment_fixed_size 0
		.amdhsa_private_segment_fixed_size 64
		.amdhsa_kernarg_size 336
		.amdhsa_user_sgpr_count 2
		.amdhsa_user_sgpr_dispatch_ptr 0
		.amdhsa_user_sgpr_queue_ptr 0
		.amdhsa_user_sgpr_kernarg_segment_ptr 1
		.amdhsa_user_sgpr_dispatch_id 0
		.amdhsa_user_sgpr_kernarg_preload_length 0
		.amdhsa_user_sgpr_kernarg_preload_offset 0
		.amdhsa_user_sgpr_private_segment_size 0
		.amdhsa_uses_dynamic_stack 0
		.amdhsa_enable_private_segment 1
		.amdhsa_system_sgpr_workgroup_id_x 1
		.amdhsa_system_sgpr_workgroup_id_y 0
		.amdhsa_system_sgpr_workgroup_id_z 0
		.amdhsa_system_sgpr_workgroup_info 0
		.amdhsa_system_vgpr_workitem_id 0
		.amdhsa_next_free_vgpr 40
		.amdhsa_next_free_sgpr 34
		.amdhsa_accum_offset 40
		.amdhsa_reserve_vcc 1
		.amdhsa_float_round_mode_32 0
		.amdhsa_float_round_mode_16_64 0
		.amdhsa_float_denorm_mode_32 3
		.amdhsa_float_denorm_mode_16_64 3
		.amdhsa_dx10_clamp 1
		.amdhsa_ieee_mode 1
		.amdhsa_fp16_overflow 0
		.amdhsa_tg_split 0
		.amdhsa_exception_fp_ieee_invalid_op 0
		.amdhsa_exception_fp_denorm_src 0
		.amdhsa_exception_fp_ieee_div_zero 0
		.amdhsa_exception_fp_ieee_overflow 0
		.amdhsa_exception_fp_ieee_underflow 0
		.amdhsa_exception_fp_ieee_inexact 0
		.amdhsa_exception_int_div_zero 0
	.end_amdhsa_kernel
	.section	.text._Z11wvSplitKrc_I6__halfLi64ELi16ELi4ELi8ELi1ELi64ELi4ELi2ELi1EEviiiiiiPKT_S3_S3_PfPiPS1_i,"axG",@progbits,_Z11wvSplitKrc_I6__halfLi64ELi16ELi4ELi8ELi1ELi64ELi4ELi2ELi1EEviiiiiiPKT_S3_S3_PfPiPS1_i,comdat
.Lfunc_end316:
	.size	_Z11wvSplitKrc_I6__halfLi64ELi16ELi4ELi8ELi1ELi64ELi4ELi2ELi1EEviiiiiiPKT_S3_S3_PfPiPS1_i, .Lfunc_end316-_Z11wvSplitKrc_I6__halfLi64ELi16ELi4ELi8ELi1ELi64ELi4ELi2ELi1EEviiiiiiPKT_S3_S3_PfPiPS1_i
                                        ; -- End function
	.section	.AMDGPU.csdata,"",@progbits
; Kernel info:
; codeLenInByte = 68
; NumSgprs: 40
; NumVgprs: 40
; NumAgprs: 0
; TotalNumVgprs: 40
; ScratchSize: 64
; MemoryBound: 0
; FloatMode: 240
; IeeeMode: 1
; LDSByteSize: 0 bytes/workgroup (compile time only)
; SGPRBlocks: 4
; VGPRBlocks: 4
; NumSGPRsForWavesPerEU: 40
; NumVGPRsForWavesPerEU: 40
; AccumOffset: 40
; Occupancy: 8
; WaveLimiterHint : 1
; COMPUTE_PGM_RSRC2:SCRATCH_EN: 1
; COMPUTE_PGM_RSRC2:USER_SGPR: 2
; COMPUTE_PGM_RSRC2:TRAP_HANDLER: 0
; COMPUTE_PGM_RSRC2:TGID_X_EN: 1
; COMPUTE_PGM_RSRC2:TGID_Y_EN: 0
; COMPUTE_PGM_RSRC2:TGID_Z_EN: 0
; COMPUTE_PGM_RSRC2:TIDIG_COMP_CNT: 0
; COMPUTE_PGM_RSRC3_GFX90A:ACCUM_OFFSET: 9
; COMPUTE_PGM_RSRC3_GFX90A:TG_SPLIT: 0
	.section	.text._Z11wvSplitKrc_I6__halfLi64ELi16ELi4ELi8ELi1ELi64ELi4ELi2ELi0EEviiiiiiPKT_S3_S3_PfPiPS1_i,"axG",@progbits,_Z11wvSplitKrc_I6__halfLi64ELi16ELi4ELi8ELi1ELi64ELi4ELi2ELi0EEviiiiiiPKT_S3_S3_PfPiPS1_i,comdat
	.protected	_Z11wvSplitKrc_I6__halfLi64ELi16ELi4ELi8ELi1ELi64ELi4ELi2ELi0EEviiiiiiPKT_S3_S3_PfPiPS1_i ; -- Begin function _Z11wvSplitKrc_I6__halfLi64ELi16ELi4ELi8ELi1ELi64ELi4ELi2ELi0EEviiiiiiPKT_S3_S3_PfPiPS1_i
	.globl	_Z11wvSplitKrc_I6__halfLi64ELi16ELi4ELi8ELi1ELi64ELi4ELi2ELi0EEviiiiiiPKT_S3_S3_PfPiPS1_i
	.p2align	8
	.type	_Z11wvSplitKrc_I6__halfLi64ELi16ELi4ELi8ELi1ELi64ELi4ELi2ELi0EEviiiiiiPKT_S3_S3_PfPiPS1_i,@function
_Z11wvSplitKrc_I6__halfLi64ELi16ELi4ELi8ELi1ELi64ELi4ELi2ELi0EEviiiiiiPKT_S3_S3_PfPiPS1_i: ; @_Z11wvSplitKrc_I6__halfLi64ELi16ELi4ELi8ELi1ELi64ELi4ELi2ELi0EEviiiiiiPKT_S3_S3_PfPiPS1_i
; %bb.0:
	s_add_u32 s8, s0, 0x50
	s_addc_u32 s9, s1, 0
	s_getpc_b64 s[0:1]
	s_add_u32 s0, s0, __PRETTY_FUNCTION__._Z11wvSplitKrc_I6__halfLi64ELi16ELi4ELi8ELi1ELi64ELi4ELi2ELi0EEviiiiiiPKT_S3_S3_PfPiPS1_i@rel32@lo+4
	s_addc_u32 s1, s1, __PRETTY_FUNCTION__._Z11wvSplitKrc_I6__halfLi64ELi16ELi4ELi8ELi1ELi64ELi4ELi2ELi0EEviiiiiiPKT_S3_S3_PfPiPS1_i@rel32@hi+12
	v_mov_b32_e32 v0, s0
	v_mov_b32_e32 v1, s1
	s_mov_b32 s32, 0
	s_getpc_b64 s[2:3]
	s_add_u32 s2, s2, __assert_fail@rel32@lo+4
	s_addc_u32 s3, s3, __assert_fail@rel32@hi+12
	s_swappc_b64 s[30:31], s[2:3]
	.section	.rodata,"a",@progbits
	.p2align	6, 0x0
	.amdhsa_kernel _Z11wvSplitKrc_I6__halfLi64ELi16ELi4ELi8ELi1ELi64ELi4ELi2ELi0EEviiiiiiPKT_S3_S3_PfPiPS1_i
		.amdhsa_group_segment_fixed_size 0
		.amdhsa_private_segment_fixed_size 64
		.amdhsa_kernarg_size 336
		.amdhsa_user_sgpr_count 2
		.amdhsa_user_sgpr_dispatch_ptr 0
		.amdhsa_user_sgpr_queue_ptr 0
		.amdhsa_user_sgpr_kernarg_segment_ptr 1
		.amdhsa_user_sgpr_dispatch_id 0
		.amdhsa_user_sgpr_kernarg_preload_length 0
		.amdhsa_user_sgpr_kernarg_preload_offset 0
		.amdhsa_user_sgpr_private_segment_size 0
		.amdhsa_uses_dynamic_stack 0
		.amdhsa_enable_private_segment 1
		.amdhsa_system_sgpr_workgroup_id_x 1
		.amdhsa_system_sgpr_workgroup_id_y 0
		.amdhsa_system_sgpr_workgroup_id_z 0
		.amdhsa_system_sgpr_workgroup_info 0
		.amdhsa_system_vgpr_workitem_id 0
		.amdhsa_next_free_vgpr 40
		.amdhsa_next_free_sgpr 34
		.amdhsa_accum_offset 40
		.amdhsa_reserve_vcc 1
		.amdhsa_float_round_mode_32 0
		.amdhsa_float_round_mode_16_64 0
		.amdhsa_float_denorm_mode_32 3
		.amdhsa_float_denorm_mode_16_64 3
		.amdhsa_dx10_clamp 1
		.amdhsa_ieee_mode 1
		.amdhsa_fp16_overflow 0
		.amdhsa_tg_split 0
		.amdhsa_exception_fp_ieee_invalid_op 0
		.amdhsa_exception_fp_denorm_src 0
		.amdhsa_exception_fp_ieee_div_zero 0
		.amdhsa_exception_fp_ieee_overflow 0
		.amdhsa_exception_fp_ieee_underflow 0
		.amdhsa_exception_fp_ieee_inexact 0
		.amdhsa_exception_int_div_zero 0
	.end_amdhsa_kernel
	.section	.text._Z11wvSplitKrc_I6__halfLi64ELi16ELi4ELi8ELi1ELi64ELi4ELi2ELi0EEviiiiiiPKT_S3_S3_PfPiPS1_i,"axG",@progbits,_Z11wvSplitKrc_I6__halfLi64ELi16ELi4ELi8ELi1ELi64ELi4ELi2ELi0EEviiiiiiPKT_S3_S3_PfPiPS1_i,comdat
.Lfunc_end317:
	.size	_Z11wvSplitKrc_I6__halfLi64ELi16ELi4ELi8ELi1ELi64ELi4ELi2ELi0EEviiiiiiPKT_S3_S3_PfPiPS1_i, .Lfunc_end317-_Z11wvSplitKrc_I6__halfLi64ELi16ELi4ELi8ELi1ELi64ELi4ELi2ELi0EEviiiiiiPKT_S3_S3_PfPiPS1_i
                                        ; -- End function
	.section	.AMDGPU.csdata,"",@progbits
; Kernel info:
; codeLenInByte = 68
; NumSgprs: 40
; NumVgprs: 40
; NumAgprs: 0
; TotalNumVgprs: 40
; ScratchSize: 64
; MemoryBound: 0
; FloatMode: 240
; IeeeMode: 1
; LDSByteSize: 0 bytes/workgroup (compile time only)
; SGPRBlocks: 4
; VGPRBlocks: 4
; NumSGPRsForWavesPerEU: 40
; NumVGPRsForWavesPerEU: 40
; AccumOffset: 40
; Occupancy: 8
; WaveLimiterHint : 1
; COMPUTE_PGM_RSRC2:SCRATCH_EN: 1
; COMPUTE_PGM_RSRC2:USER_SGPR: 2
; COMPUTE_PGM_RSRC2:TRAP_HANDLER: 0
; COMPUTE_PGM_RSRC2:TGID_X_EN: 1
; COMPUTE_PGM_RSRC2:TGID_Y_EN: 0
; COMPUTE_PGM_RSRC2:TGID_Z_EN: 0
; COMPUTE_PGM_RSRC2:TIDIG_COMP_CNT: 0
; COMPUTE_PGM_RSRC3_GFX90A:ACCUM_OFFSET: 9
; COMPUTE_PGM_RSRC3_GFX90A:TG_SPLIT: 0
	.section	.text._Z11wvSplitKrc_I6__halfLi64ELi16ELi4ELi8ELi1ELi64ELi4ELi1ELi1EEviiiiiiPKT_S3_S3_PfPiPS1_i,"axG",@progbits,_Z11wvSplitKrc_I6__halfLi64ELi16ELi4ELi8ELi1ELi64ELi4ELi1ELi1EEviiiiiiPKT_S3_S3_PfPiPS1_i,comdat
	.protected	_Z11wvSplitKrc_I6__halfLi64ELi16ELi4ELi8ELi1ELi64ELi4ELi1ELi1EEviiiiiiPKT_S3_S3_PfPiPS1_i ; -- Begin function _Z11wvSplitKrc_I6__halfLi64ELi16ELi4ELi8ELi1ELi64ELi4ELi1ELi1EEviiiiiiPKT_S3_S3_PfPiPS1_i
	.globl	_Z11wvSplitKrc_I6__halfLi64ELi16ELi4ELi8ELi1ELi64ELi4ELi1ELi1EEviiiiiiPKT_S3_S3_PfPiPS1_i
	.p2align	8
	.type	_Z11wvSplitKrc_I6__halfLi64ELi16ELi4ELi8ELi1ELi64ELi4ELi1ELi1EEviiiiiiPKT_S3_S3_PfPiPS1_i,@function
_Z11wvSplitKrc_I6__halfLi64ELi16ELi4ELi8ELi1ELi64ELi4ELi1ELi1EEviiiiiiPKT_S3_S3_PfPiPS1_i: ; @_Z11wvSplitKrc_I6__halfLi64ELi16ELi4ELi8ELi1ELi64ELi4ELi1ELi1EEviiiiiiPKT_S3_S3_PfPiPS1_i
; %bb.0:
	s_add_u32 s8, s0, 0x50
	s_addc_u32 s9, s1, 0
	s_getpc_b64 s[0:1]
	s_add_u32 s0, s0, __PRETTY_FUNCTION__._Z11wvSplitKrc_I6__halfLi64ELi16ELi4ELi8ELi1ELi64ELi4ELi1ELi1EEviiiiiiPKT_S3_S3_PfPiPS1_i@rel32@lo+4
	s_addc_u32 s1, s1, __PRETTY_FUNCTION__._Z11wvSplitKrc_I6__halfLi64ELi16ELi4ELi8ELi1ELi64ELi4ELi1ELi1EEviiiiiiPKT_S3_S3_PfPiPS1_i@rel32@hi+12
	v_mov_b32_e32 v0, s0
	v_mov_b32_e32 v1, s1
	s_mov_b32 s32, 0
	s_getpc_b64 s[2:3]
	s_add_u32 s2, s2, __assert_fail@rel32@lo+4
	s_addc_u32 s3, s3, __assert_fail@rel32@hi+12
	s_swappc_b64 s[30:31], s[2:3]
	.section	.rodata,"a",@progbits
	.p2align	6, 0x0
	.amdhsa_kernel _Z11wvSplitKrc_I6__halfLi64ELi16ELi4ELi8ELi1ELi64ELi4ELi1ELi1EEviiiiiiPKT_S3_S3_PfPiPS1_i
		.amdhsa_group_segment_fixed_size 0
		.amdhsa_private_segment_fixed_size 64
		.amdhsa_kernarg_size 336
		.amdhsa_user_sgpr_count 2
		.amdhsa_user_sgpr_dispatch_ptr 0
		.amdhsa_user_sgpr_queue_ptr 0
		.amdhsa_user_sgpr_kernarg_segment_ptr 1
		.amdhsa_user_sgpr_dispatch_id 0
		.amdhsa_user_sgpr_kernarg_preload_length 0
		.amdhsa_user_sgpr_kernarg_preload_offset 0
		.amdhsa_user_sgpr_private_segment_size 0
		.amdhsa_uses_dynamic_stack 0
		.amdhsa_enable_private_segment 1
		.amdhsa_system_sgpr_workgroup_id_x 1
		.amdhsa_system_sgpr_workgroup_id_y 0
		.amdhsa_system_sgpr_workgroup_id_z 0
		.amdhsa_system_sgpr_workgroup_info 0
		.amdhsa_system_vgpr_workitem_id 0
		.amdhsa_next_free_vgpr 40
		.amdhsa_next_free_sgpr 34
		.amdhsa_accum_offset 40
		.amdhsa_reserve_vcc 1
		.amdhsa_float_round_mode_32 0
		.amdhsa_float_round_mode_16_64 0
		.amdhsa_float_denorm_mode_32 3
		.amdhsa_float_denorm_mode_16_64 3
		.amdhsa_dx10_clamp 1
		.amdhsa_ieee_mode 1
		.amdhsa_fp16_overflow 0
		.amdhsa_tg_split 0
		.amdhsa_exception_fp_ieee_invalid_op 0
		.amdhsa_exception_fp_denorm_src 0
		.amdhsa_exception_fp_ieee_div_zero 0
		.amdhsa_exception_fp_ieee_overflow 0
		.amdhsa_exception_fp_ieee_underflow 0
		.amdhsa_exception_fp_ieee_inexact 0
		.amdhsa_exception_int_div_zero 0
	.end_amdhsa_kernel
	.section	.text._Z11wvSplitKrc_I6__halfLi64ELi16ELi4ELi8ELi1ELi64ELi4ELi1ELi1EEviiiiiiPKT_S3_S3_PfPiPS1_i,"axG",@progbits,_Z11wvSplitKrc_I6__halfLi64ELi16ELi4ELi8ELi1ELi64ELi4ELi1ELi1EEviiiiiiPKT_S3_S3_PfPiPS1_i,comdat
.Lfunc_end318:
	.size	_Z11wvSplitKrc_I6__halfLi64ELi16ELi4ELi8ELi1ELi64ELi4ELi1ELi1EEviiiiiiPKT_S3_S3_PfPiPS1_i, .Lfunc_end318-_Z11wvSplitKrc_I6__halfLi64ELi16ELi4ELi8ELi1ELi64ELi4ELi1ELi1EEviiiiiiPKT_S3_S3_PfPiPS1_i
                                        ; -- End function
	.section	.AMDGPU.csdata,"",@progbits
; Kernel info:
; codeLenInByte = 68
; NumSgprs: 40
; NumVgprs: 40
; NumAgprs: 0
; TotalNumVgprs: 40
; ScratchSize: 64
; MemoryBound: 0
; FloatMode: 240
; IeeeMode: 1
; LDSByteSize: 0 bytes/workgroup (compile time only)
; SGPRBlocks: 4
; VGPRBlocks: 4
; NumSGPRsForWavesPerEU: 40
; NumVGPRsForWavesPerEU: 40
; AccumOffset: 40
; Occupancy: 8
; WaveLimiterHint : 1
; COMPUTE_PGM_RSRC2:SCRATCH_EN: 1
; COMPUTE_PGM_RSRC2:USER_SGPR: 2
; COMPUTE_PGM_RSRC2:TRAP_HANDLER: 0
; COMPUTE_PGM_RSRC2:TGID_X_EN: 1
; COMPUTE_PGM_RSRC2:TGID_Y_EN: 0
; COMPUTE_PGM_RSRC2:TGID_Z_EN: 0
; COMPUTE_PGM_RSRC2:TIDIG_COMP_CNT: 0
; COMPUTE_PGM_RSRC3_GFX90A:ACCUM_OFFSET: 9
; COMPUTE_PGM_RSRC3_GFX90A:TG_SPLIT: 0
	.section	.text._Z11wvSplitKrc_I6__halfLi64ELi16ELi4ELi8ELi1ELi64ELi4ELi1ELi0EEviiiiiiPKT_S3_S3_PfPiPS1_i,"axG",@progbits,_Z11wvSplitKrc_I6__halfLi64ELi16ELi4ELi8ELi1ELi64ELi4ELi1ELi0EEviiiiiiPKT_S3_S3_PfPiPS1_i,comdat
	.protected	_Z11wvSplitKrc_I6__halfLi64ELi16ELi4ELi8ELi1ELi64ELi4ELi1ELi0EEviiiiiiPKT_S3_S3_PfPiPS1_i ; -- Begin function _Z11wvSplitKrc_I6__halfLi64ELi16ELi4ELi8ELi1ELi64ELi4ELi1ELi0EEviiiiiiPKT_S3_S3_PfPiPS1_i
	.globl	_Z11wvSplitKrc_I6__halfLi64ELi16ELi4ELi8ELi1ELi64ELi4ELi1ELi0EEviiiiiiPKT_S3_S3_PfPiPS1_i
	.p2align	8
	.type	_Z11wvSplitKrc_I6__halfLi64ELi16ELi4ELi8ELi1ELi64ELi4ELi1ELi0EEviiiiiiPKT_S3_S3_PfPiPS1_i,@function
_Z11wvSplitKrc_I6__halfLi64ELi16ELi4ELi8ELi1ELi64ELi4ELi1ELi0EEviiiiiiPKT_S3_S3_PfPiPS1_i: ; @_Z11wvSplitKrc_I6__halfLi64ELi16ELi4ELi8ELi1ELi64ELi4ELi1ELi0EEviiiiiiPKT_S3_S3_PfPiPS1_i
; %bb.0:
	s_add_u32 s8, s0, 0x50
	s_addc_u32 s9, s1, 0
	s_getpc_b64 s[0:1]
	s_add_u32 s0, s0, __PRETTY_FUNCTION__._Z11wvSplitKrc_I6__halfLi64ELi16ELi4ELi8ELi1ELi64ELi4ELi1ELi0EEviiiiiiPKT_S3_S3_PfPiPS1_i@rel32@lo+4
	s_addc_u32 s1, s1, __PRETTY_FUNCTION__._Z11wvSplitKrc_I6__halfLi64ELi16ELi4ELi8ELi1ELi64ELi4ELi1ELi0EEviiiiiiPKT_S3_S3_PfPiPS1_i@rel32@hi+12
	v_mov_b32_e32 v0, s0
	v_mov_b32_e32 v1, s1
	s_mov_b32 s32, 0
	s_getpc_b64 s[2:3]
	s_add_u32 s2, s2, __assert_fail@rel32@lo+4
	s_addc_u32 s3, s3, __assert_fail@rel32@hi+12
	s_swappc_b64 s[30:31], s[2:3]
	.section	.rodata,"a",@progbits
	.p2align	6, 0x0
	.amdhsa_kernel _Z11wvSplitKrc_I6__halfLi64ELi16ELi4ELi8ELi1ELi64ELi4ELi1ELi0EEviiiiiiPKT_S3_S3_PfPiPS1_i
		.amdhsa_group_segment_fixed_size 0
		.amdhsa_private_segment_fixed_size 64
		.amdhsa_kernarg_size 336
		.amdhsa_user_sgpr_count 2
		.amdhsa_user_sgpr_dispatch_ptr 0
		.amdhsa_user_sgpr_queue_ptr 0
		.amdhsa_user_sgpr_kernarg_segment_ptr 1
		.amdhsa_user_sgpr_dispatch_id 0
		.amdhsa_user_sgpr_kernarg_preload_length 0
		.amdhsa_user_sgpr_kernarg_preload_offset 0
		.amdhsa_user_sgpr_private_segment_size 0
		.amdhsa_uses_dynamic_stack 0
		.amdhsa_enable_private_segment 1
		.amdhsa_system_sgpr_workgroup_id_x 1
		.amdhsa_system_sgpr_workgroup_id_y 0
		.amdhsa_system_sgpr_workgroup_id_z 0
		.amdhsa_system_sgpr_workgroup_info 0
		.amdhsa_system_vgpr_workitem_id 0
		.amdhsa_next_free_vgpr 40
		.amdhsa_next_free_sgpr 34
		.amdhsa_accum_offset 40
		.amdhsa_reserve_vcc 1
		.amdhsa_float_round_mode_32 0
		.amdhsa_float_round_mode_16_64 0
		.amdhsa_float_denorm_mode_32 3
		.amdhsa_float_denorm_mode_16_64 3
		.amdhsa_dx10_clamp 1
		.amdhsa_ieee_mode 1
		.amdhsa_fp16_overflow 0
		.amdhsa_tg_split 0
		.amdhsa_exception_fp_ieee_invalid_op 0
		.amdhsa_exception_fp_denorm_src 0
		.amdhsa_exception_fp_ieee_div_zero 0
		.amdhsa_exception_fp_ieee_overflow 0
		.amdhsa_exception_fp_ieee_underflow 0
		.amdhsa_exception_fp_ieee_inexact 0
		.amdhsa_exception_int_div_zero 0
	.end_amdhsa_kernel
	.section	.text._Z11wvSplitKrc_I6__halfLi64ELi16ELi4ELi8ELi1ELi64ELi4ELi1ELi0EEviiiiiiPKT_S3_S3_PfPiPS1_i,"axG",@progbits,_Z11wvSplitKrc_I6__halfLi64ELi16ELi4ELi8ELi1ELi64ELi4ELi1ELi0EEviiiiiiPKT_S3_S3_PfPiPS1_i,comdat
.Lfunc_end319:
	.size	_Z11wvSplitKrc_I6__halfLi64ELi16ELi4ELi8ELi1ELi64ELi4ELi1ELi0EEviiiiiiPKT_S3_S3_PfPiPS1_i, .Lfunc_end319-_Z11wvSplitKrc_I6__halfLi64ELi16ELi4ELi8ELi1ELi64ELi4ELi1ELi0EEviiiiiiPKT_S3_S3_PfPiPS1_i
                                        ; -- End function
	.section	.AMDGPU.csdata,"",@progbits
; Kernel info:
; codeLenInByte = 68
; NumSgprs: 40
; NumVgprs: 40
; NumAgprs: 0
; TotalNumVgprs: 40
; ScratchSize: 64
; MemoryBound: 0
; FloatMode: 240
; IeeeMode: 1
; LDSByteSize: 0 bytes/workgroup (compile time only)
; SGPRBlocks: 4
; VGPRBlocks: 4
; NumSGPRsForWavesPerEU: 40
; NumVGPRsForWavesPerEU: 40
; AccumOffset: 40
; Occupancy: 8
; WaveLimiterHint : 1
; COMPUTE_PGM_RSRC2:SCRATCH_EN: 1
; COMPUTE_PGM_RSRC2:USER_SGPR: 2
; COMPUTE_PGM_RSRC2:TRAP_HANDLER: 0
; COMPUTE_PGM_RSRC2:TGID_X_EN: 1
; COMPUTE_PGM_RSRC2:TGID_Y_EN: 0
; COMPUTE_PGM_RSRC2:TGID_Z_EN: 0
; COMPUTE_PGM_RSRC2:TIDIG_COMP_CNT: 0
; COMPUTE_PGM_RSRC3_GFX90A:ACCUM_OFFSET: 9
; COMPUTE_PGM_RSRC3_GFX90A:TG_SPLIT: 0
	.section	.text._Z11wvSplitKrc_I6__halfLi64ELi16ELi4ELi8ELi1ELi128ELi4ELi2ELi1EEviiiiiiPKT_S3_S3_PfPiPS1_i,"axG",@progbits,_Z11wvSplitKrc_I6__halfLi64ELi16ELi4ELi8ELi1ELi128ELi4ELi2ELi1EEviiiiiiPKT_S3_S3_PfPiPS1_i,comdat
	.protected	_Z11wvSplitKrc_I6__halfLi64ELi16ELi4ELi8ELi1ELi128ELi4ELi2ELi1EEviiiiiiPKT_S3_S3_PfPiPS1_i ; -- Begin function _Z11wvSplitKrc_I6__halfLi64ELi16ELi4ELi8ELi1ELi128ELi4ELi2ELi1EEviiiiiiPKT_S3_S3_PfPiPS1_i
	.globl	_Z11wvSplitKrc_I6__halfLi64ELi16ELi4ELi8ELi1ELi128ELi4ELi2ELi1EEviiiiiiPKT_S3_S3_PfPiPS1_i
	.p2align	8
	.type	_Z11wvSplitKrc_I6__halfLi64ELi16ELi4ELi8ELi1ELi128ELi4ELi2ELi1EEviiiiiiPKT_S3_S3_PfPiPS1_i,@function
_Z11wvSplitKrc_I6__halfLi64ELi16ELi4ELi8ELi1ELi128ELi4ELi2ELi1EEviiiiiiPKT_S3_S3_PfPiPS1_i: ; @_Z11wvSplitKrc_I6__halfLi64ELi16ELi4ELi8ELi1ELi128ELi4ELi2ELi1EEviiiiiiPKT_S3_S3_PfPiPS1_i
; %bb.0:
	s_add_u32 s8, s0, 0x50
	s_addc_u32 s9, s1, 0
	s_getpc_b64 s[0:1]
	s_add_u32 s0, s0, __PRETTY_FUNCTION__._Z11wvSplitKrc_I6__halfLi64ELi16ELi4ELi8ELi1ELi128ELi4ELi2ELi1EEviiiiiiPKT_S3_S3_PfPiPS1_i@rel32@lo+4
	s_addc_u32 s1, s1, __PRETTY_FUNCTION__._Z11wvSplitKrc_I6__halfLi64ELi16ELi4ELi8ELi1ELi128ELi4ELi2ELi1EEviiiiiiPKT_S3_S3_PfPiPS1_i@rel32@hi+12
	v_mov_b32_e32 v0, s0
	v_mov_b32_e32 v1, s1
	s_mov_b32 s32, 0
	s_getpc_b64 s[2:3]
	s_add_u32 s2, s2, __assert_fail@rel32@lo+4
	s_addc_u32 s3, s3, __assert_fail@rel32@hi+12
	s_swappc_b64 s[30:31], s[2:3]
	.section	.rodata,"a",@progbits
	.p2align	6, 0x0
	.amdhsa_kernel _Z11wvSplitKrc_I6__halfLi64ELi16ELi4ELi8ELi1ELi128ELi4ELi2ELi1EEviiiiiiPKT_S3_S3_PfPiPS1_i
		.amdhsa_group_segment_fixed_size 0
		.amdhsa_private_segment_fixed_size 64
		.amdhsa_kernarg_size 336
		.amdhsa_user_sgpr_count 2
		.amdhsa_user_sgpr_dispatch_ptr 0
		.amdhsa_user_sgpr_queue_ptr 0
		.amdhsa_user_sgpr_kernarg_segment_ptr 1
		.amdhsa_user_sgpr_dispatch_id 0
		.amdhsa_user_sgpr_kernarg_preload_length 0
		.amdhsa_user_sgpr_kernarg_preload_offset 0
		.amdhsa_user_sgpr_private_segment_size 0
		.amdhsa_uses_dynamic_stack 0
		.amdhsa_enable_private_segment 1
		.amdhsa_system_sgpr_workgroup_id_x 1
		.amdhsa_system_sgpr_workgroup_id_y 0
		.amdhsa_system_sgpr_workgroup_id_z 0
		.amdhsa_system_sgpr_workgroup_info 0
		.amdhsa_system_vgpr_workitem_id 0
		.amdhsa_next_free_vgpr 40
		.amdhsa_next_free_sgpr 34
		.amdhsa_accum_offset 40
		.amdhsa_reserve_vcc 1
		.amdhsa_float_round_mode_32 0
		.amdhsa_float_round_mode_16_64 0
		.amdhsa_float_denorm_mode_32 3
		.amdhsa_float_denorm_mode_16_64 3
		.amdhsa_dx10_clamp 1
		.amdhsa_ieee_mode 1
		.amdhsa_fp16_overflow 0
		.amdhsa_tg_split 0
		.amdhsa_exception_fp_ieee_invalid_op 0
		.amdhsa_exception_fp_denorm_src 0
		.amdhsa_exception_fp_ieee_div_zero 0
		.amdhsa_exception_fp_ieee_overflow 0
		.amdhsa_exception_fp_ieee_underflow 0
		.amdhsa_exception_fp_ieee_inexact 0
		.amdhsa_exception_int_div_zero 0
	.end_amdhsa_kernel
	.section	.text._Z11wvSplitKrc_I6__halfLi64ELi16ELi4ELi8ELi1ELi128ELi4ELi2ELi1EEviiiiiiPKT_S3_S3_PfPiPS1_i,"axG",@progbits,_Z11wvSplitKrc_I6__halfLi64ELi16ELi4ELi8ELi1ELi128ELi4ELi2ELi1EEviiiiiiPKT_S3_S3_PfPiPS1_i,comdat
.Lfunc_end320:
	.size	_Z11wvSplitKrc_I6__halfLi64ELi16ELi4ELi8ELi1ELi128ELi4ELi2ELi1EEviiiiiiPKT_S3_S3_PfPiPS1_i, .Lfunc_end320-_Z11wvSplitKrc_I6__halfLi64ELi16ELi4ELi8ELi1ELi128ELi4ELi2ELi1EEviiiiiiPKT_S3_S3_PfPiPS1_i
                                        ; -- End function
	.section	.AMDGPU.csdata,"",@progbits
; Kernel info:
; codeLenInByte = 68
; NumSgprs: 40
; NumVgprs: 40
; NumAgprs: 0
; TotalNumVgprs: 40
; ScratchSize: 64
; MemoryBound: 0
; FloatMode: 240
; IeeeMode: 1
; LDSByteSize: 0 bytes/workgroup (compile time only)
; SGPRBlocks: 4
; VGPRBlocks: 4
; NumSGPRsForWavesPerEU: 40
; NumVGPRsForWavesPerEU: 40
; AccumOffset: 40
; Occupancy: 8
; WaveLimiterHint : 1
; COMPUTE_PGM_RSRC2:SCRATCH_EN: 1
; COMPUTE_PGM_RSRC2:USER_SGPR: 2
; COMPUTE_PGM_RSRC2:TRAP_HANDLER: 0
; COMPUTE_PGM_RSRC2:TGID_X_EN: 1
; COMPUTE_PGM_RSRC2:TGID_Y_EN: 0
; COMPUTE_PGM_RSRC2:TGID_Z_EN: 0
; COMPUTE_PGM_RSRC2:TIDIG_COMP_CNT: 0
; COMPUTE_PGM_RSRC3_GFX90A:ACCUM_OFFSET: 9
; COMPUTE_PGM_RSRC3_GFX90A:TG_SPLIT: 0
	.section	.text._Z11wvSplitKrc_I6__halfLi64ELi16ELi4ELi8ELi1ELi128ELi4ELi2ELi0EEviiiiiiPKT_S3_S3_PfPiPS1_i,"axG",@progbits,_Z11wvSplitKrc_I6__halfLi64ELi16ELi4ELi8ELi1ELi128ELi4ELi2ELi0EEviiiiiiPKT_S3_S3_PfPiPS1_i,comdat
	.protected	_Z11wvSplitKrc_I6__halfLi64ELi16ELi4ELi8ELi1ELi128ELi4ELi2ELi0EEviiiiiiPKT_S3_S3_PfPiPS1_i ; -- Begin function _Z11wvSplitKrc_I6__halfLi64ELi16ELi4ELi8ELi1ELi128ELi4ELi2ELi0EEviiiiiiPKT_S3_S3_PfPiPS1_i
	.globl	_Z11wvSplitKrc_I6__halfLi64ELi16ELi4ELi8ELi1ELi128ELi4ELi2ELi0EEviiiiiiPKT_S3_S3_PfPiPS1_i
	.p2align	8
	.type	_Z11wvSplitKrc_I6__halfLi64ELi16ELi4ELi8ELi1ELi128ELi4ELi2ELi0EEviiiiiiPKT_S3_S3_PfPiPS1_i,@function
_Z11wvSplitKrc_I6__halfLi64ELi16ELi4ELi8ELi1ELi128ELi4ELi2ELi0EEviiiiiiPKT_S3_S3_PfPiPS1_i: ; @_Z11wvSplitKrc_I6__halfLi64ELi16ELi4ELi8ELi1ELi128ELi4ELi2ELi0EEviiiiiiPKT_S3_S3_PfPiPS1_i
; %bb.0:
	s_add_u32 s8, s0, 0x50
	s_addc_u32 s9, s1, 0
	s_getpc_b64 s[0:1]
	s_add_u32 s0, s0, __PRETTY_FUNCTION__._Z11wvSplitKrc_I6__halfLi64ELi16ELi4ELi8ELi1ELi128ELi4ELi2ELi0EEviiiiiiPKT_S3_S3_PfPiPS1_i@rel32@lo+4
	s_addc_u32 s1, s1, __PRETTY_FUNCTION__._Z11wvSplitKrc_I6__halfLi64ELi16ELi4ELi8ELi1ELi128ELi4ELi2ELi0EEviiiiiiPKT_S3_S3_PfPiPS1_i@rel32@hi+12
	v_mov_b32_e32 v0, s0
	v_mov_b32_e32 v1, s1
	s_mov_b32 s32, 0
	s_getpc_b64 s[2:3]
	s_add_u32 s2, s2, __assert_fail@rel32@lo+4
	s_addc_u32 s3, s3, __assert_fail@rel32@hi+12
	s_swappc_b64 s[30:31], s[2:3]
	.section	.rodata,"a",@progbits
	.p2align	6, 0x0
	.amdhsa_kernel _Z11wvSplitKrc_I6__halfLi64ELi16ELi4ELi8ELi1ELi128ELi4ELi2ELi0EEviiiiiiPKT_S3_S3_PfPiPS1_i
		.amdhsa_group_segment_fixed_size 0
		.amdhsa_private_segment_fixed_size 64
		.amdhsa_kernarg_size 336
		.amdhsa_user_sgpr_count 2
		.amdhsa_user_sgpr_dispatch_ptr 0
		.amdhsa_user_sgpr_queue_ptr 0
		.amdhsa_user_sgpr_kernarg_segment_ptr 1
		.amdhsa_user_sgpr_dispatch_id 0
		.amdhsa_user_sgpr_kernarg_preload_length 0
		.amdhsa_user_sgpr_kernarg_preload_offset 0
		.amdhsa_user_sgpr_private_segment_size 0
		.amdhsa_uses_dynamic_stack 0
		.amdhsa_enable_private_segment 1
		.amdhsa_system_sgpr_workgroup_id_x 1
		.amdhsa_system_sgpr_workgroup_id_y 0
		.amdhsa_system_sgpr_workgroup_id_z 0
		.amdhsa_system_sgpr_workgroup_info 0
		.amdhsa_system_vgpr_workitem_id 0
		.amdhsa_next_free_vgpr 40
		.amdhsa_next_free_sgpr 34
		.amdhsa_accum_offset 40
		.amdhsa_reserve_vcc 1
		.amdhsa_float_round_mode_32 0
		.amdhsa_float_round_mode_16_64 0
		.amdhsa_float_denorm_mode_32 3
		.amdhsa_float_denorm_mode_16_64 3
		.amdhsa_dx10_clamp 1
		.amdhsa_ieee_mode 1
		.amdhsa_fp16_overflow 0
		.amdhsa_tg_split 0
		.amdhsa_exception_fp_ieee_invalid_op 0
		.amdhsa_exception_fp_denorm_src 0
		.amdhsa_exception_fp_ieee_div_zero 0
		.amdhsa_exception_fp_ieee_overflow 0
		.amdhsa_exception_fp_ieee_underflow 0
		.amdhsa_exception_fp_ieee_inexact 0
		.amdhsa_exception_int_div_zero 0
	.end_amdhsa_kernel
	.section	.text._Z11wvSplitKrc_I6__halfLi64ELi16ELi4ELi8ELi1ELi128ELi4ELi2ELi0EEviiiiiiPKT_S3_S3_PfPiPS1_i,"axG",@progbits,_Z11wvSplitKrc_I6__halfLi64ELi16ELi4ELi8ELi1ELi128ELi4ELi2ELi0EEviiiiiiPKT_S3_S3_PfPiPS1_i,comdat
.Lfunc_end321:
	.size	_Z11wvSplitKrc_I6__halfLi64ELi16ELi4ELi8ELi1ELi128ELi4ELi2ELi0EEviiiiiiPKT_S3_S3_PfPiPS1_i, .Lfunc_end321-_Z11wvSplitKrc_I6__halfLi64ELi16ELi4ELi8ELi1ELi128ELi4ELi2ELi0EEviiiiiiPKT_S3_S3_PfPiPS1_i
                                        ; -- End function
	.section	.AMDGPU.csdata,"",@progbits
; Kernel info:
; codeLenInByte = 68
; NumSgprs: 40
; NumVgprs: 40
; NumAgprs: 0
; TotalNumVgprs: 40
; ScratchSize: 64
; MemoryBound: 0
; FloatMode: 240
; IeeeMode: 1
; LDSByteSize: 0 bytes/workgroup (compile time only)
; SGPRBlocks: 4
; VGPRBlocks: 4
; NumSGPRsForWavesPerEU: 40
; NumVGPRsForWavesPerEU: 40
; AccumOffset: 40
; Occupancy: 8
; WaveLimiterHint : 1
; COMPUTE_PGM_RSRC2:SCRATCH_EN: 1
; COMPUTE_PGM_RSRC2:USER_SGPR: 2
; COMPUTE_PGM_RSRC2:TRAP_HANDLER: 0
; COMPUTE_PGM_RSRC2:TGID_X_EN: 1
; COMPUTE_PGM_RSRC2:TGID_Y_EN: 0
; COMPUTE_PGM_RSRC2:TGID_Z_EN: 0
; COMPUTE_PGM_RSRC2:TIDIG_COMP_CNT: 0
; COMPUTE_PGM_RSRC3_GFX90A:ACCUM_OFFSET: 9
; COMPUTE_PGM_RSRC3_GFX90A:TG_SPLIT: 0
	.section	.text._Z11wvSplitKrc_I6__halfLi64ELi16ELi4ELi8ELi1ELi128ELi4ELi1ELi1EEviiiiiiPKT_S3_S3_PfPiPS1_i,"axG",@progbits,_Z11wvSplitKrc_I6__halfLi64ELi16ELi4ELi8ELi1ELi128ELi4ELi1ELi1EEviiiiiiPKT_S3_S3_PfPiPS1_i,comdat
	.protected	_Z11wvSplitKrc_I6__halfLi64ELi16ELi4ELi8ELi1ELi128ELi4ELi1ELi1EEviiiiiiPKT_S3_S3_PfPiPS1_i ; -- Begin function _Z11wvSplitKrc_I6__halfLi64ELi16ELi4ELi8ELi1ELi128ELi4ELi1ELi1EEviiiiiiPKT_S3_S3_PfPiPS1_i
	.globl	_Z11wvSplitKrc_I6__halfLi64ELi16ELi4ELi8ELi1ELi128ELi4ELi1ELi1EEviiiiiiPKT_S3_S3_PfPiPS1_i
	.p2align	8
	.type	_Z11wvSplitKrc_I6__halfLi64ELi16ELi4ELi8ELi1ELi128ELi4ELi1ELi1EEviiiiiiPKT_S3_S3_PfPiPS1_i,@function
_Z11wvSplitKrc_I6__halfLi64ELi16ELi4ELi8ELi1ELi128ELi4ELi1ELi1EEviiiiiiPKT_S3_S3_PfPiPS1_i: ; @_Z11wvSplitKrc_I6__halfLi64ELi16ELi4ELi8ELi1ELi128ELi4ELi1ELi1EEviiiiiiPKT_S3_S3_PfPiPS1_i
; %bb.0:
	s_add_u32 s8, s0, 0x50
	s_addc_u32 s9, s1, 0
	s_getpc_b64 s[0:1]
	s_add_u32 s0, s0, __PRETTY_FUNCTION__._Z11wvSplitKrc_I6__halfLi64ELi16ELi4ELi8ELi1ELi128ELi4ELi1ELi1EEviiiiiiPKT_S3_S3_PfPiPS1_i@rel32@lo+4
	s_addc_u32 s1, s1, __PRETTY_FUNCTION__._Z11wvSplitKrc_I6__halfLi64ELi16ELi4ELi8ELi1ELi128ELi4ELi1ELi1EEviiiiiiPKT_S3_S3_PfPiPS1_i@rel32@hi+12
	v_mov_b32_e32 v0, s0
	v_mov_b32_e32 v1, s1
	s_mov_b32 s32, 0
	s_getpc_b64 s[2:3]
	s_add_u32 s2, s2, __assert_fail@rel32@lo+4
	s_addc_u32 s3, s3, __assert_fail@rel32@hi+12
	s_swappc_b64 s[30:31], s[2:3]
	.section	.rodata,"a",@progbits
	.p2align	6, 0x0
	.amdhsa_kernel _Z11wvSplitKrc_I6__halfLi64ELi16ELi4ELi8ELi1ELi128ELi4ELi1ELi1EEviiiiiiPKT_S3_S3_PfPiPS1_i
		.amdhsa_group_segment_fixed_size 0
		.amdhsa_private_segment_fixed_size 64
		.amdhsa_kernarg_size 336
		.amdhsa_user_sgpr_count 2
		.amdhsa_user_sgpr_dispatch_ptr 0
		.amdhsa_user_sgpr_queue_ptr 0
		.amdhsa_user_sgpr_kernarg_segment_ptr 1
		.amdhsa_user_sgpr_dispatch_id 0
		.amdhsa_user_sgpr_kernarg_preload_length 0
		.amdhsa_user_sgpr_kernarg_preload_offset 0
		.amdhsa_user_sgpr_private_segment_size 0
		.amdhsa_uses_dynamic_stack 0
		.amdhsa_enable_private_segment 1
		.amdhsa_system_sgpr_workgroup_id_x 1
		.amdhsa_system_sgpr_workgroup_id_y 0
		.amdhsa_system_sgpr_workgroup_id_z 0
		.amdhsa_system_sgpr_workgroup_info 0
		.amdhsa_system_vgpr_workitem_id 0
		.amdhsa_next_free_vgpr 40
		.amdhsa_next_free_sgpr 34
		.amdhsa_accum_offset 40
		.amdhsa_reserve_vcc 1
		.amdhsa_float_round_mode_32 0
		.amdhsa_float_round_mode_16_64 0
		.amdhsa_float_denorm_mode_32 3
		.amdhsa_float_denorm_mode_16_64 3
		.amdhsa_dx10_clamp 1
		.amdhsa_ieee_mode 1
		.amdhsa_fp16_overflow 0
		.amdhsa_tg_split 0
		.amdhsa_exception_fp_ieee_invalid_op 0
		.amdhsa_exception_fp_denorm_src 0
		.amdhsa_exception_fp_ieee_div_zero 0
		.amdhsa_exception_fp_ieee_overflow 0
		.amdhsa_exception_fp_ieee_underflow 0
		.amdhsa_exception_fp_ieee_inexact 0
		.amdhsa_exception_int_div_zero 0
	.end_amdhsa_kernel
	.section	.text._Z11wvSplitKrc_I6__halfLi64ELi16ELi4ELi8ELi1ELi128ELi4ELi1ELi1EEviiiiiiPKT_S3_S3_PfPiPS1_i,"axG",@progbits,_Z11wvSplitKrc_I6__halfLi64ELi16ELi4ELi8ELi1ELi128ELi4ELi1ELi1EEviiiiiiPKT_S3_S3_PfPiPS1_i,comdat
.Lfunc_end322:
	.size	_Z11wvSplitKrc_I6__halfLi64ELi16ELi4ELi8ELi1ELi128ELi4ELi1ELi1EEviiiiiiPKT_S3_S3_PfPiPS1_i, .Lfunc_end322-_Z11wvSplitKrc_I6__halfLi64ELi16ELi4ELi8ELi1ELi128ELi4ELi1ELi1EEviiiiiiPKT_S3_S3_PfPiPS1_i
                                        ; -- End function
	.section	.AMDGPU.csdata,"",@progbits
; Kernel info:
; codeLenInByte = 68
; NumSgprs: 40
; NumVgprs: 40
; NumAgprs: 0
; TotalNumVgprs: 40
; ScratchSize: 64
; MemoryBound: 0
; FloatMode: 240
; IeeeMode: 1
; LDSByteSize: 0 bytes/workgroup (compile time only)
; SGPRBlocks: 4
; VGPRBlocks: 4
; NumSGPRsForWavesPerEU: 40
; NumVGPRsForWavesPerEU: 40
; AccumOffset: 40
; Occupancy: 8
; WaveLimiterHint : 1
; COMPUTE_PGM_RSRC2:SCRATCH_EN: 1
; COMPUTE_PGM_RSRC2:USER_SGPR: 2
; COMPUTE_PGM_RSRC2:TRAP_HANDLER: 0
; COMPUTE_PGM_RSRC2:TGID_X_EN: 1
; COMPUTE_PGM_RSRC2:TGID_Y_EN: 0
; COMPUTE_PGM_RSRC2:TGID_Z_EN: 0
; COMPUTE_PGM_RSRC2:TIDIG_COMP_CNT: 0
; COMPUTE_PGM_RSRC3_GFX90A:ACCUM_OFFSET: 9
; COMPUTE_PGM_RSRC3_GFX90A:TG_SPLIT: 0
	.section	.text._Z11wvSplitKrc_I6__halfLi64ELi16ELi4ELi8ELi1ELi128ELi4ELi1ELi0EEviiiiiiPKT_S3_S3_PfPiPS1_i,"axG",@progbits,_Z11wvSplitKrc_I6__halfLi64ELi16ELi4ELi8ELi1ELi128ELi4ELi1ELi0EEviiiiiiPKT_S3_S3_PfPiPS1_i,comdat
	.protected	_Z11wvSplitKrc_I6__halfLi64ELi16ELi4ELi8ELi1ELi128ELi4ELi1ELi0EEviiiiiiPKT_S3_S3_PfPiPS1_i ; -- Begin function _Z11wvSplitKrc_I6__halfLi64ELi16ELi4ELi8ELi1ELi128ELi4ELi1ELi0EEviiiiiiPKT_S3_S3_PfPiPS1_i
	.globl	_Z11wvSplitKrc_I6__halfLi64ELi16ELi4ELi8ELi1ELi128ELi4ELi1ELi0EEviiiiiiPKT_S3_S3_PfPiPS1_i
	.p2align	8
	.type	_Z11wvSplitKrc_I6__halfLi64ELi16ELi4ELi8ELi1ELi128ELi4ELi1ELi0EEviiiiiiPKT_S3_S3_PfPiPS1_i,@function
_Z11wvSplitKrc_I6__halfLi64ELi16ELi4ELi8ELi1ELi128ELi4ELi1ELi0EEviiiiiiPKT_S3_S3_PfPiPS1_i: ; @_Z11wvSplitKrc_I6__halfLi64ELi16ELi4ELi8ELi1ELi128ELi4ELi1ELi0EEviiiiiiPKT_S3_S3_PfPiPS1_i
; %bb.0:
	s_add_u32 s8, s0, 0x50
	s_addc_u32 s9, s1, 0
	s_getpc_b64 s[0:1]
	s_add_u32 s0, s0, __PRETTY_FUNCTION__._Z11wvSplitKrc_I6__halfLi64ELi16ELi4ELi8ELi1ELi128ELi4ELi1ELi0EEviiiiiiPKT_S3_S3_PfPiPS1_i@rel32@lo+4
	s_addc_u32 s1, s1, __PRETTY_FUNCTION__._Z11wvSplitKrc_I6__halfLi64ELi16ELi4ELi8ELi1ELi128ELi4ELi1ELi0EEviiiiiiPKT_S3_S3_PfPiPS1_i@rel32@hi+12
	v_mov_b32_e32 v0, s0
	v_mov_b32_e32 v1, s1
	s_mov_b32 s32, 0
	s_getpc_b64 s[2:3]
	s_add_u32 s2, s2, __assert_fail@rel32@lo+4
	s_addc_u32 s3, s3, __assert_fail@rel32@hi+12
	s_swappc_b64 s[30:31], s[2:3]
	.section	.rodata,"a",@progbits
	.p2align	6, 0x0
	.amdhsa_kernel _Z11wvSplitKrc_I6__halfLi64ELi16ELi4ELi8ELi1ELi128ELi4ELi1ELi0EEviiiiiiPKT_S3_S3_PfPiPS1_i
		.amdhsa_group_segment_fixed_size 0
		.amdhsa_private_segment_fixed_size 64
		.amdhsa_kernarg_size 336
		.amdhsa_user_sgpr_count 2
		.amdhsa_user_sgpr_dispatch_ptr 0
		.amdhsa_user_sgpr_queue_ptr 0
		.amdhsa_user_sgpr_kernarg_segment_ptr 1
		.amdhsa_user_sgpr_dispatch_id 0
		.amdhsa_user_sgpr_kernarg_preload_length 0
		.amdhsa_user_sgpr_kernarg_preload_offset 0
		.amdhsa_user_sgpr_private_segment_size 0
		.amdhsa_uses_dynamic_stack 0
		.amdhsa_enable_private_segment 1
		.amdhsa_system_sgpr_workgroup_id_x 1
		.amdhsa_system_sgpr_workgroup_id_y 0
		.amdhsa_system_sgpr_workgroup_id_z 0
		.amdhsa_system_sgpr_workgroup_info 0
		.amdhsa_system_vgpr_workitem_id 0
		.amdhsa_next_free_vgpr 40
		.amdhsa_next_free_sgpr 34
		.amdhsa_accum_offset 40
		.amdhsa_reserve_vcc 1
		.amdhsa_float_round_mode_32 0
		.amdhsa_float_round_mode_16_64 0
		.amdhsa_float_denorm_mode_32 3
		.amdhsa_float_denorm_mode_16_64 3
		.amdhsa_dx10_clamp 1
		.amdhsa_ieee_mode 1
		.amdhsa_fp16_overflow 0
		.amdhsa_tg_split 0
		.amdhsa_exception_fp_ieee_invalid_op 0
		.amdhsa_exception_fp_denorm_src 0
		.amdhsa_exception_fp_ieee_div_zero 0
		.amdhsa_exception_fp_ieee_overflow 0
		.amdhsa_exception_fp_ieee_underflow 0
		.amdhsa_exception_fp_ieee_inexact 0
		.amdhsa_exception_int_div_zero 0
	.end_amdhsa_kernel
	.section	.text._Z11wvSplitKrc_I6__halfLi64ELi16ELi4ELi8ELi1ELi128ELi4ELi1ELi0EEviiiiiiPKT_S3_S3_PfPiPS1_i,"axG",@progbits,_Z11wvSplitKrc_I6__halfLi64ELi16ELi4ELi8ELi1ELi128ELi4ELi1ELi0EEviiiiiiPKT_S3_S3_PfPiPS1_i,comdat
.Lfunc_end323:
	.size	_Z11wvSplitKrc_I6__halfLi64ELi16ELi4ELi8ELi1ELi128ELi4ELi1ELi0EEviiiiiiPKT_S3_S3_PfPiPS1_i, .Lfunc_end323-_Z11wvSplitKrc_I6__halfLi64ELi16ELi4ELi8ELi1ELi128ELi4ELi1ELi0EEviiiiiiPKT_S3_S3_PfPiPS1_i
                                        ; -- End function
	.section	.AMDGPU.csdata,"",@progbits
; Kernel info:
; codeLenInByte = 68
; NumSgprs: 40
; NumVgprs: 40
; NumAgprs: 0
; TotalNumVgprs: 40
; ScratchSize: 64
; MemoryBound: 0
; FloatMode: 240
; IeeeMode: 1
; LDSByteSize: 0 bytes/workgroup (compile time only)
; SGPRBlocks: 4
; VGPRBlocks: 4
; NumSGPRsForWavesPerEU: 40
; NumVGPRsForWavesPerEU: 40
; AccumOffset: 40
; Occupancy: 8
; WaveLimiterHint : 1
; COMPUTE_PGM_RSRC2:SCRATCH_EN: 1
; COMPUTE_PGM_RSRC2:USER_SGPR: 2
; COMPUTE_PGM_RSRC2:TRAP_HANDLER: 0
; COMPUTE_PGM_RSRC2:TGID_X_EN: 1
; COMPUTE_PGM_RSRC2:TGID_Y_EN: 0
; COMPUTE_PGM_RSRC2:TGID_Z_EN: 0
; COMPUTE_PGM_RSRC2:TIDIG_COMP_CNT: 0
; COMPUTE_PGM_RSRC3_GFX90A:ACCUM_OFFSET: 9
; COMPUTE_PGM_RSRC3_GFX90A:TG_SPLIT: 0
	.section	.text._Z11wvSplitKrc_I14__hip_bfloat16Li64ELi16ELi4ELi8ELi1ELi16ELi1ELi1ELi1EEviiiiiiPKT_S3_S3_PfPiPS1_i,"axG",@progbits,_Z11wvSplitKrc_I14__hip_bfloat16Li64ELi16ELi4ELi8ELi1ELi16ELi1ELi1ELi1EEviiiiiiPKT_S3_S3_PfPiPS1_i,comdat
	.protected	_Z11wvSplitKrc_I14__hip_bfloat16Li64ELi16ELi4ELi8ELi1ELi16ELi1ELi1ELi1EEviiiiiiPKT_S3_S3_PfPiPS1_i ; -- Begin function _Z11wvSplitKrc_I14__hip_bfloat16Li64ELi16ELi4ELi8ELi1ELi16ELi1ELi1ELi1EEviiiiiiPKT_S3_S3_PfPiPS1_i
	.globl	_Z11wvSplitKrc_I14__hip_bfloat16Li64ELi16ELi4ELi8ELi1ELi16ELi1ELi1ELi1EEviiiiiiPKT_S3_S3_PfPiPS1_i
	.p2align	8
	.type	_Z11wvSplitKrc_I14__hip_bfloat16Li64ELi16ELi4ELi8ELi1ELi16ELi1ELi1ELi1EEviiiiiiPKT_S3_S3_PfPiPS1_i,@function
_Z11wvSplitKrc_I14__hip_bfloat16Li64ELi16ELi4ELi8ELi1ELi16ELi1ELi1ELi1EEviiiiiiPKT_S3_S3_PfPiPS1_i: ; @_Z11wvSplitKrc_I14__hip_bfloat16Li64ELi16ELi4ELi8ELi1ELi16ELi1ELi1ELi1EEviiiiiiPKT_S3_S3_PfPiPS1_i
; %bb.0:
	s_add_u32 s8, s0, 0x50
	s_addc_u32 s9, s1, 0
	s_getpc_b64 s[0:1]
	s_add_u32 s0, s0, __PRETTY_FUNCTION__._Z11wvSplitKrc_I14__hip_bfloat16Li64ELi16ELi4ELi8ELi1ELi16ELi1ELi1ELi1EEviiiiiiPKT_S3_S3_PfPiPS1_i@rel32@lo+4
	s_addc_u32 s1, s1, __PRETTY_FUNCTION__._Z11wvSplitKrc_I14__hip_bfloat16Li64ELi16ELi4ELi8ELi1ELi16ELi1ELi1ELi1EEviiiiiiPKT_S3_S3_PfPiPS1_i@rel32@hi+12
	v_mov_b32_e32 v0, s0
	v_mov_b32_e32 v1, s1
	s_mov_b32 s32, 0
	s_getpc_b64 s[2:3]
	s_add_u32 s2, s2, __assert_fail@rel32@lo+4
	s_addc_u32 s3, s3, __assert_fail@rel32@hi+12
	s_swappc_b64 s[30:31], s[2:3]
	.section	.rodata,"a",@progbits
	.p2align	6, 0x0
	.amdhsa_kernel _Z11wvSplitKrc_I14__hip_bfloat16Li64ELi16ELi4ELi8ELi1ELi16ELi1ELi1ELi1EEviiiiiiPKT_S3_S3_PfPiPS1_i
		.amdhsa_group_segment_fixed_size 0
		.amdhsa_private_segment_fixed_size 64
		.amdhsa_kernarg_size 336
		.amdhsa_user_sgpr_count 2
		.amdhsa_user_sgpr_dispatch_ptr 0
		.amdhsa_user_sgpr_queue_ptr 0
		.amdhsa_user_sgpr_kernarg_segment_ptr 1
		.amdhsa_user_sgpr_dispatch_id 0
		.amdhsa_user_sgpr_kernarg_preload_length 0
		.amdhsa_user_sgpr_kernarg_preload_offset 0
		.amdhsa_user_sgpr_private_segment_size 0
		.amdhsa_uses_dynamic_stack 0
		.amdhsa_enable_private_segment 1
		.amdhsa_system_sgpr_workgroup_id_x 1
		.amdhsa_system_sgpr_workgroup_id_y 0
		.amdhsa_system_sgpr_workgroup_id_z 0
		.amdhsa_system_sgpr_workgroup_info 0
		.amdhsa_system_vgpr_workitem_id 0
		.amdhsa_next_free_vgpr 40
		.amdhsa_next_free_sgpr 34
		.amdhsa_accum_offset 40
		.amdhsa_reserve_vcc 1
		.amdhsa_float_round_mode_32 0
		.amdhsa_float_round_mode_16_64 0
		.amdhsa_float_denorm_mode_32 3
		.amdhsa_float_denorm_mode_16_64 3
		.amdhsa_dx10_clamp 1
		.amdhsa_ieee_mode 1
		.amdhsa_fp16_overflow 0
		.amdhsa_tg_split 0
		.amdhsa_exception_fp_ieee_invalid_op 0
		.amdhsa_exception_fp_denorm_src 0
		.amdhsa_exception_fp_ieee_div_zero 0
		.amdhsa_exception_fp_ieee_overflow 0
		.amdhsa_exception_fp_ieee_underflow 0
		.amdhsa_exception_fp_ieee_inexact 0
		.amdhsa_exception_int_div_zero 0
	.end_amdhsa_kernel
	.section	.text._Z11wvSplitKrc_I14__hip_bfloat16Li64ELi16ELi4ELi8ELi1ELi16ELi1ELi1ELi1EEviiiiiiPKT_S3_S3_PfPiPS1_i,"axG",@progbits,_Z11wvSplitKrc_I14__hip_bfloat16Li64ELi16ELi4ELi8ELi1ELi16ELi1ELi1ELi1EEviiiiiiPKT_S3_S3_PfPiPS1_i,comdat
.Lfunc_end324:
	.size	_Z11wvSplitKrc_I14__hip_bfloat16Li64ELi16ELi4ELi8ELi1ELi16ELi1ELi1ELi1EEviiiiiiPKT_S3_S3_PfPiPS1_i, .Lfunc_end324-_Z11wvSplitKrc_I14__hip_bfloat16Li64ELi16ELi4ELi8ELi1ELi16ELi1ELi1ELi1EEviiiiiiPKT_S3_S3_PfPiPS1_i
                                        ; -- End function
	.section	.AMDGPU.csdata,"",@progbits
; Kernel info:
; codeLenInByte = 68
; NumSgprs: 40
; NumVgprs: 40
; NumAgprs: 0
; TotalNumVgprs: 40
; ScratchSize: 64
; MemoryBound: 0
; FloatMode: 240
; IeeeMode: 1
; LDSByteSize: 0 bytes/workgroup (compile time only)
; SGPRBlocks: 4
; VGPRBlocks: 4
; NumSGPRsForWavesPerEU: 40
; NumVGPRsForWavesPerEU: 40
; AccumOffset: 40
; Occupancy: 8
; WaveLimiterHint : 1
; COMPUTE_PGM_RSRC2:SCRATCH_EN: 1
; COMPUTE_PGM_RSRC2:USER_SGPR: 2
; COMPUTE_PGM_RSRC2:TRAP_HANDLER: 0
; COMPUTE_PGM_RSRC2:TGID_X_EN: 1
; COMPUTE_PGM_RSRC2:TGID_Y_EN: 0
; COMPUTE_PGM_RSRC2:TGID_Z_EN: 0
; COMPUTE_PGM_RSRC2:TIDIG_COMP_CNT: 0
; COMPUTE_PGM_RSRC3_GFX90A:ACCUM_OFFSET: 9
; COMPUTE_PGM_RSRC3_GFX90A:TG_SPLIT: 0
	.section	.text._Z11wvSplitKrc_I14__hip_bfloat16Li64ELi16ELi4ELi8ELi1ELi16ELi1ELi1ELi0EEviiiiiiPKT_S3_S3_PfPiPS1_i,"axG",@progbits,_Z11wvSplitKrc_I14__hip_bfloat16Li64ELi16ELi4ELi8ELi1ELi16ELi1ELi1ELi0EEviiiiiiPKT_S3_S3_PfPiPS1_i,comdat
	.protected	_Z11wvSplitKrc_I14__hip_bfloat16Li64ELi16ELi4ELi8ELi1ELi16ELi1ELi1ELi0EEviiiiiiPKT_S3_S3_PfPiPS1_i ; -- Begin function _Z11wvSplitKrc_I14__hip_bfloat16Li64ELi16ELi4ELi8ELi1ELi16ELi1ELi1ELi0EEviiiiiiPKT_S3_S3_PfPiPS1_i
	.globl	_Z11wvSplitKrc_I14__hip_bfloat16Li64ELi16ELi4ELi8ELi1ELi16ELi1ELi1ELi0EEviiiiiiPKT_S3_S3_PfPiPS1_i
	.p2align	8
	.type	_Z11wvSplitKrc_I14__hip_bfloat16Li64ELi16ELi4ELi8ELi1ELi16ELi1ELi1ELi0EEviiiiiiPKT_S3_S3_PfPiPS1_i,@function
_Z11wvSplitKrc_I14__hip_bfloat16Li64ELi16ELi4ELi8ELi1ELi16ELi1ELi1ELi0EEviiiiiiPKT_S3_S3_PfPiPS1_i: ; @_Z11wvSplitKrc_I14__hip_bfloat16Li64ELi16ELi4ELi8ELi1ELi16ELi1ELi1ELi0EEviiiiiiPKT_S3_S3_PfPiPS1_i
; %bb.0:
	s_add_u32 s8, s0, 0x50
	s_addc_u32 s9, s1, 0
	s_getpc_b64 s[0:1]
	s_add_u32 s0, s0, __PRETTY_FUNCTION__._Z11wvSplitKrc_I14__hip_bfloat16Li64ELi16ELi4ELi8ELi1ELi16ELi1ELi1ELi0EEviiiiiiPKT_S3_S3_PfPiPS1_i@rel32@lo+4
	s_addc_u32 s1, s1, __PRETTY_FUNCTION__._Z11wvSplitKrc_I14__hip_bfloat16Li64ELi16ELi4ELi8ELi1ELi16ELi1ELi1ELi0EEviiiiiiPKT_S3_S3_PfPiPS1_i@rel32@hi+12
	v_mov_b32_e32 v0, s0
	v_mov_b32_e32 v1, s1
	s_mov_b32 s32, 0
	s_getpc_b64 s[2:3]
	s_add_u32 s2, s2, __assert_fail@rel32@lo+4
	s_addc_u32 s3, s3, __assert_fail@rel32@hi+12
	s_swappc_b64 s[30:31], s[2:3]
	.section	.rodata,"a",@progbits
	.p2align	6, 0x0
	.amdhsa_kernel _Z11wvSplitKrc_I14__hip_bfloat16Li64ELi16ELi4ELi8ELi1ELi16ELi1ELi1ELi0EEviiiiiiPKT_S3_S3_PfPiPS1_i
		.amdhsa_group_segment_fixed_size 0
		.amdhsa_private_segment_fixed_size 64
		.amdhsa_kernarg_size 336
		.amdhsa_user_sgpr_count 2
		.amdhsa_user_sgpr_dispatch_ptr 0
		.amdhsa_user_sgpr_queue_ptr 0
		.amdhsa_user_sgpr_kernarg_segment_ptr 1
		.amdhsa_user_sgpr_dispatch_id 0
		.amdhsa_user_sgpr_kernarg_preload_length 0
		.amdhsa_user_sgpr_kernarg_preload_offset 0
		.amdhsa_user_sgpr_private_segment_size 0
		.amdhsa_uses_dynamic_stack 0
		.amdhsa_enable_private_segment 1
		.amdhsa_system_sgpr_workgroup_id_x 1
		.amdhsa_system_sgpr_workgroup_id_y 0
		.amdhsa_system_sgpr_workgroup_id_z 0
		.amdhsa_system_sgpr_workgroup_info 0
		.amdhsa_system_vgpr_workitem_id 0
		.amdhsa_next_free_vgpr 40
		.amdhsa_next_free_sgpr 34
		.amdhsa_accum_offset 40
		.amdhsa_reserve_vcc 1
		.amdhsa_float_round_mode_32 0
		.amdhsa_float_round_mode_16_64 0
		.amdhsa_float_denorm_mode_32 3
		.amdhsa_float_denorm_mode_16_64 3
		.amdhsa_dx10_clamp 1
		.amdhsa_ieee_mode 1
		.amdhsa_fp16_overflow 0
		.amdhsa_tg_split 0
		.amdhsa_exception_fp_ieee_invalid_op 0
		.amdhsa_exception_fp_denorm_src 0
		.amdhsa_exception_fp_ieee_div_zero 0
		.amdhsa_exception_fp_ieee_overflow 0
		.amdhsa_exception_fp_ieee_underflow 0
		.amdhsa_exception_fp_ieee_inexact 0
		.amdhsa_exception_int_div_zero 0
	.end_amdhsa_kernel
	.section	.text._Z11wvSplitKrc_I14__hip_bfloat16Li64ELi16ELi4ELi8ELi1ELi16ELi1ELi1ELi0EEviiiiiiPKT_S3_S3_PfPiPS1_i,"axG",@progbits,_Z11wvSplitKrc_I14__hip_bfloat16Li64ELi16ELi4ELi8ELi1ELi16ELi1ELi1ELi0EEviiiiiiPKT_S3_S3_PfPiPS1_i,comdat
.Lfunc_end325:
	.size	_Z11wvSplitKrc_I14__hip_bfloat16Li64ELi16ELi4ELi8ELi1ELi16ELi1ELi1ELi0EEviiiiiiPKT_S3_S3_PfPiPS1_i, .Lfunc_end325-_Z11wvSplitKrc_I14__hip_bfloat16Li64ELi16ELi4ELi8ELi1ELi16ELi1ELi1ELi0EEviiiiiiPKT_S3_S3_PfPiPS1_i
                                        ; -- End function
	.section	.AMDGPU.csdata,"",@progbits
; Kernel info:
; codeLenInByte = 68
; NumSgprs: 40
; NumVgprs: 40
; NumAgprs: 0
; TotalNumVgprs: 40
; ScratchSize: 64
; MemoryBound: 0
; FloatMode: 240
; IeeeMode: 1
; LDSByteSize: 0 bytes/workgroup (compile time only)
; SGPRBlocks: 4
; VGPRBlocks: 4
; NumSGPRsForWavesPerEU: 40
; NumVGPRsForWavesPerEU: 40
; AccumOffset: 40
; Occupancy: 8
; WaveLimiterHint : 1
; COMPUTE_PGM_RSRC2:SCRATCH_EN: 1
; COMPUTE_PGM_RSRC2:USER_SGPR: 2
; COMPUTE_PGM_RSRC2:TRAP_HANDLER: 0
; COMPUTE_PGM_RSRC2:TGID_X_EN: 1
; COMPUTE_PGM_RSRC2:TGID_Y_EN: 0
; COMPUTE_PGM_RSRC2:TGID_Z_EN: 0
; COMPUTE_PGM_RSRC2:TIDIG_COMP_CNT: 0
; COMPUTE_PGM_RSRC3_GFX90A:ACCUM_OFFSET: 9
; COMPUTE_PGM_RSRC3_GFX90A:TG_SPLIT: 0
	.section	.text._Z11wvSplitKrc_I14__hip_bfloat16Li64ELi16ELi4ELi8ELi1ELi32ELi2ELi2ELi1EEviiiiiiPKT_S3_S3_PfPiPS1_i,"axG",@progbits,_Z11wvSplitKrc_I14__hip_bfloat16Li64ELi16ELi4ELi8ELi1ELi32ELi2ELi2ELi1EEviiiiiiPKT_S3_S3_PfPiPS1_i,comdat
	.protected	_Z11wvSplitKrc_I14__hip_bfloat16Li64ELi16ELi4ELi8ELi1ELi32ELi2ELi2ELi1EEviiiiiiPKT_S3_S3_PfPiPS1_i ; -- Begin function _Z11wvSplitKrc_I14__hip_bfloat16Li64ELi16ELi4ELi8ELi1ELi32ELi2ELi2ELi1EEviiiiiiPKT_S3_S3_PfPiPS1_i
	.globl	_Z11wvSplitKrc_I14__hip_bfloat16Li64ELi16ELi4ELi8ELi1ELi32ELi2ELi2ELi1EEviiiiiiPKT_S3_S3_PfPiPS1_i
	.p2align	8
	.type	_Z11wvSplitKrc_I14__hip_bfloat16Li64ELi16ELi4ELi8ELi1ELi32ELi2ELi2ELi1EEviiiiiiPKT_S3_S3_PfPiPS1_i,@function
_Z11wvSplitKrc_I14__hip_bfloat16Li64ELi16ELi4ELi8ELi1ELi32ELi2ELi2ELi1EEviiiiiiPKT_S3_S3_PfPiPS1_i: ; @_Z11wvSplitKrc_I14__hip_bfloat16Li64ELi16ELi4ELi8ELi1ELi32ELi2ELi2ELi1EEviiiiiiPKT_S3_S3_PfPiPS1_i
; %bb.0:
	s_add_u32 s8, s0, 0x50
	s_addc_u32 s9, s1, 0
	s_getpc_b64 s[0:1]
	s_add_u32 s0, s0, __PRETTY_FUNCTION__._Z11wvSplitKrc_I14__hip_bfloat16Li64ELi16ELi4ELi8ELi1ELi32ELi2ELi2ELi1EEviiiiiiPKT_S3_S3_PfPiPS1_i@rel32@lo+4
	s_addc_u32 s1, s1, __PRETTY_FUNCTION__._Z11wvSplitKrc_I14__hip_bfloat16Li64ELi16ELi4ELi8ELi1ELi32ELi2ELi2ELi1EEviiiiiiPKT_S3_S3_PfPiPS1_i@rel32@hi+12
	v_mov_b32_e32 v0, s0
	v_mov_b32_e32 v1, s1
	s_mov_b32 s32, 0
	s_getpc_b64 s[2:3]
	s_add_u32 s2, s2, __assert_fail@rel32@lo+4
	s_addc_u32 s3, s3, __assert_fail@rel32@hi+12
	s_swappc_b64 s[30:31], s[2:3]
	.section	.rodata,"a",@progbits
	.p2align	6, 0x0
	.amdhsa_kernel _Z11wvSplitKrc_I14__hip_bfloat16Li64ELi16ELi4ELi8ELi1ELi32ELi2ELi2ELi1EEviiiiiiPKT_S3_S3_PfPiPS1_i
		.amdhsa_group_segment_fixed_size 0
		.amdhsa_private_segment_fixed_size 64
		.amdhsa_kernarg_size 336
		.amdhsa_user_sgpr_count 2
		.amdhsa_user_sgpr_dispatch_ptr 0
		.amdhsa_user_sgpr_queue_ptr 0
		.amdhsa_user_sgpr_kernarg_segment_ptr 1
		.amdhsa_user_sgpr_dispatch_id 0
		.amdhsa_user_sgpr_kernarg_preload_length 0
		.amdhsa_user_sgpr_kernarg_preload_offset 0
		.amdhsa_user_sgpr_private_segment_size 0
		.amdhsa_uses_dynamic_stack 0
		.amdhsa_enable_private_segment 1
		.amdhsa_system_sgpr_workgroup_id_x 1
		.amdhsa_system_sgpr_workgroup_id_y 0
		.amdhsa_system_sgpr_workgroup_id_z 0
		.amdhsa_system_sgpr_workgroup_info 0
		.amdhsa_system_vgpr_workitem_id 0
		.amdhsa_next_free_vgpr 40
		.amdhsa_next_free_sgpr 34
		.amdhsa_accum_offset 40
		.amdhsa_reserve_vcc 1
		.amdhsa_float_round_mode_32 0
		.amdhsa_float_round_mode_16_64 0
		.amdhsa_float_denorm_mode_32 3
		.amdhsa_float_denorm_mode_16_64 3
		.amdhsa_dx10_clamp 1
		.amdhsa_ieee_mode 1
		.amdhsa_fp16_overflow 0
		.amdhsa_tg_split 0
		.amdhsa_exception_fp_ieee_invalid_op 0
		.amdhsa_exception_fp_denorm_src 0
		.amdhsa_exception_fp_ieee_div_zero 0
		.amdhsa_exception_fp_ieee_overflow 0
		.amdhsa_exception_fp_ieee_underflow 0
		.amdhsa_exception_fp_ieee_inexact 0
		.amdhsa_exception_int_div_zero 0
	.end_amdhsa_kernel
	.section	.text._Z11wvSplitKrc_I14__hip_bfloat16Li64ELi16ELi4ELi8ELi1ELi32ELi2ELi2ELi1EEviiiiiiPKT_S3_S3_PfPiPS1_i,"axG",@progbits,_Z11wvSplitKrc_I14__hip_bfloat16Li64ELi16ELi4ELi8ELi1ELi32ELi2ELi2ELi1EEviiiiiiPKT_S3_S3_PfPiPS1_i,comdat
.Lfunc_end326:
	.size	_Z11wvSplitKrc_I14__hip_bfloat16Li64ELi16ELi4ELi8ELi1ELi32ELi2ELi2ELi1EEviiiiiiPKT_S3_S3_PfPiPS1_i, .Lfunc_end326-_Z11wvSplitKrc_I14__hip_bfloat16Li64ELi16ELi4ELi8ELi1ELi32ELi2ELi2ELi1EEviiiiiiPKT_S3_S3_PfPiPS1_i
                                        ; -- End function
	.section	.AMDGPU.csdata,"",@progbits
; Kernel info:
; codeLenInByte = 68
; NumSgprs: 40
; NumVgprs: 40
; NumAgprs: 0
; TotalNumVgprs: 40
; ScratchSize: 64
; MemoryBound: 0
; FloatMode: 240
; IeeeMode: 1
; LDSByteSize: 0 bytes/workgroup (compile time only)
; SGPRBlocks: 4
; VGPRBlocks: 4
; NumSGPRsForWavesPerEU: 40
; NumVGPRsForWavesPerEU: 40
; AccumOffset: 40
; Occupancy: 8
; WaveLimiterHint : 1
; COMPUTE_PGM_RSRC2:SCRATCH_EN: 1
; COMPUTE_PGM_RSRC2:USER_SGPR: 2
; COMPUTE_PGM_RSRC2:TRAP_HANDLER: 0
; COMPUTE_PGM_RSRC2:TGID_X_EN: 1
; COMPUTE_PGM_RSRC2:TGID_Y_EN: 0
; COMPUTE_PGM_RSRC2:TGID_Z_EN: 0
; COMPUTE_PGM_RSRC2:TIDIG_COMP_CNT: 0
; COMPUTE_PGM_RSRC3_GFX90A:ACCUM_OFFSET: 9
; COMPUTE_PGM_RSRC3_GFX90A:TG_SPLIT: 0
	.section	.text._Z11wvSplitKrc_I14__hip_bfloat16Li64ELi16ELi4ELi8ELi1ELi32ELi2ELi2ELi0EEviiiiiiPKT_S3_S3_PfPiPS1_i,"axG",@progbits,_Z11wvSplitKrc_I14__hip_bfloat16Li64ELi16ELi4ELi8ELi1ELi32ELi2ELi2ELi0EEviiiiiiPKT_S3_S3_PfPiPS1_i,comdat
	.protected	_Z11wvSplitKrc_I14__hip_bfloat16Li64ELi16ELi4ELi8ELi1ELi32ELi2ELi2ELi0EEviiiiiiPKT_S3_S3_PfPiPS1_i ; -- Begin function _Z11wvSplitKrc_I14__hip_bfloat16Li64ELi16ELi4ELi8ELi1ELi32ELi2ELi2ELi0EEviiiiiiPKT_S3_S3_PfPiPS1_i
	.globl	_Z11wvSplitKrc_I14__hip_bfloat16Li64ELi16ELi4ELi8ELi1ELi32ELi2ELi2ELi0EEviiiiiiPKT_S3_S3_PfPiPS1_i
	.p2align	8
	.type	_Z11wvSplitKrc_I14__hip_bfloat16Li64ELi16ELi4ELi8ELi1ELi32ELi2ELi2ELi0EEviiiiiiPKT_S3_S3_PfPiPS1_i,@function
_Z11wvSplitKrc_I14__hip_bfloat16Li64ELi16ELi4ELi8ELi1ELi32ELi2ELi2ELi0EEviiiiiiPKT_S3_S3_PfPiPS1_i: ; @_Z11wvSplitKrc_I14__hip_bfloat16Li64ELi16ELi4ELi8ELi1ELi32ELi2ELi2ELi0EEviiiiiiPKT_S3_S3_PfPiPS1_i
; %bb.0:
	s_add_u32 s8, s0, 0x50
	s_addc_u32 s9, s1, 0
	s_getpc_b64 s[0:1]
	s_add_u32 s0, s0, __PRETTY_FUNCTION__._Z11wvSplitKrc_I14__hip_bfloat16Li64ELi16ELi4ELi8ELi1ELi32ELi2ELi2ELi0EEviiiiiiPKT_S3_S3_PfPiPS1_i@rel32@lo+4
	s_addc_u32 s1, s1, __PRETTY_FUNCTION__._Z11wvSplitKrc_I14__hip_bfloat16Li64ELi16ELi4ELi8ELi1ELi32ELi2ELi2ELi0EEviiiiiiPKT_S3_S3_PfPiPS1_i@rel32@hi+12
	v_mov_b32_e32 v0, s0
	v_mov_b32_e32 v1, s1
	s_mov_b32 s32, 0
	s_getpc_b64 s[2:3]
	s_add_u32 s2, s2, __assert_fail@rel32@lo+4
	s_addc_u32 s3, s3, __assert_fail@rel32@hi+12
	s_swappc_b64 s[30:31], s[2:3]
	.section	.rodata,"a",@progbits
	.p2align	6, 0x0
	.amdhsa_kernel _Z11wvSplitKrc_I14__hip_bfloat16Li64ELi16ELi4ELi8ELi1ELi32ELi2ELi2ELi0EEviiiiiiPKT_S3_S3_PfPiPS1_i
		.amdhsa_group_segment_fixed_size 0
		.amdhsa_private_segment_fixed_size 64
		.amdhsa_kernarg_size 336
		.amdhsa_user_sgpr_count 2
		.amdhsa_user_sgpr_dispatch_ptr 0
		.amdhsa_user_sgpr_queue_ptr 0
		.amdhsa_user_sgpr_kernarg_segment_ptr 1
		.amdhsa_user_sgpr_dispatch_id 0
		.amdhsa_user_sgpr_kernarg_preload_length 0
		.amdhsa_user_sgpr_kernarg_preload_offset 0
		.amdhsa_user_sgpr_private_segment_size 0
		.amdhsa_uses_dynamic_stack 0
		.amdhsa_enable_private_segment 1
		.amdhsa_system_sgpr_workgroup_id_x 1
		.amdhsa_system_sgpr_workgroup_id_y 0
		.amdhsa_system_sgpr_workgroup_id_z 0
		.amdhsa_system_sgpr_workgroup_info 0
		.amdhsa_system_vgpr_workitem_id 0
		.amdhsa_next_free_vgpr 40
		.amdhsa_next_free_sgpr 34
		.amdhsa_accum_offset 40
		.amdhsa_reserve_vcc 1
		.amdhsa_float_round_mode_32 0
		.amdhsa_float_round_mode_16_64 0
		.amdhsa_float_denorm_mode_32 3
		.amdhsa_float_denorm_mode_16_64 3
		.amdhsa_dx10_clamp 1
		.amdhsa_ieee_mode 1
		.amdhsa_fp16_overflow 0
		.amdhsa_tg_split 0
		.amdhsa_exception_fp_ieee_invalid_op 0
		.amdhsa_exception_fp_denorm_src 0
		.amdhsa_exception_fp_ieee_div_zero 0
		.amdhsa_exception_fp_ieee_overflow 0
		.amdhsa_exception_fp_ieee_underflow 0
		.amdhsa_exception_fp_ieee_inexact 0
		.amdhsa_exception_int_div_zero 0
	.end_amdhsa_kernel
	.section	.text._Z11wvSplitKrc_I14__hip_bfloat16Li64ELi16ELi4ELi8ELi1ELi32ELi2ELi2ELi0EEviiiiiiPKT_S3_S3_PfPiPS1_i,"axG",@progbits,_Z11wvSplitKrc_I14__hip_bfloat16Li64ELi16ELi4ELi8ELi1ELi32ELi2ELi2ELi0EEviiiiiiPKT_S3_S3_PfPiPS1_i,comdat
.Lfunc_end327:
	.size	_Z11wvSplitKrc_I14__hip_bfloat16Li64ELi16ELi4ELi8ELi1ELi32ELi2ELi2ELi0EEviiiiiiPKT_S3_S3_PfPiPS1_i, .Lfunc_end327-_Z11wvSplitKrc_I14__hip_bfloat16Li64ELi16ELi4ELi8ELi1ELi32ELi2ELi2ELi0EEviiiiiiPKT_S3_S3_PfPiPS1_i
                                        ; -- End function
	.section	.AMDGPU.csdata,"",@progbits
; Kernel info:
; codeLenInByte = 68
; NumSgprs: 40
; NumVgprs: 40
; NumAgprs: 0
; TotalNumVgprs: 40
; ScratchSize: 64
; MemoryBound: 0
; FloatMode: 240
; IeeeMode: 1
; LDSByteSize: 0 bytes/workgroup (compile time only)
; SGPRBlocks: 4
; VGPRBlocks: 4
; NumSGPRsForWavesPerEU: 40
; NumVGPRsForWavesPerEU: 40
; AccumOffset: 40
; Occupancy: 8
; WaveLimiterHint : 1
; COMPUTE_PGM_RSRC2:SCRATCH_EN: 1
; COMPUTE_PGM_RSRC2:USER_SGPR: 2
; COMPUTE_PGM_RSRC2:TRAP_HANDLER: 0
; COMPUTE_PGM_RSRC2:TGID_X_EN: 1
; COMPUTE_PGM_RSRC2:TGID_Y_EN: 0
; COMPUTE_PGM_RSRC2:TGID_Z_EN: 0
; COMPUTE_PGM_RSRC2:TIDIG_COMP_CNT: 0
; COMPUTE_PGM_RSRC3_GFX90A:ACCUM_OFFSET: 9
; COMPUTE_PGM_RSRC3_GFX90A:TG_SPLIT: 0
	.section	.text._Z11wvSplitKrc_I14__hip_bfloat16Li64ELi16ELi4ELi8ELi1ELi32ELi2ELi1ELi1EEviiiiiiPKT_S3_S3_PfPiPS1_i,"axG",@progbits,_Z11wvSplitKrc_I14__hip_bfloat16Li64ELi16ELi4ELi8ELi1ELi32ELi2ELi1ELi1EEviiiiiiPKT_S3_S3_PfPiPS1_i,comdat
	.protected	_Z11wvSplitKrc_I14__hip_bfloat16Li64ELi16ELi4ELi8ELi1ELi32ELi2ELi1ELi1EEviiiiiiPKT_S3_S3_PfPiPS1_i ; -- Begin function _Z11wvSplitKrc_I14__hip_bfloat16Li64ELi16ELi4ELi8ELi1ELi32ELi2ELi1ELi1EEviiiiiiPKT_S3_S3_PfPiPS1_i
	.globl	_Z11wvSplitKrc_I14__hip_bfloat16Li64ELi16ELi4ELi8ELi1ELi32ELi2ELi1ELi1EEviiiiiiPKT_S3_S3_PfPiPS1_i
	.p2align	8
	.type	_Z11wvSplitKrc_I14__hip_bfloat16Li64ELi16ELi4ELi8ELi1ELi32ELi2ELi1ELi1EEviiiiiiPKT_S3_S3_PfPiPS1_i,@function
_Z11wvSplitKrc_I14__hip_bfloat16Li64ELi16ELi4ELi8ELi1ELi32ELi2ELi1ELi1EEviiiiiiPKT_S3_S3_PfPiPS1_i: ; @_Z11wvSplitKrc_I14__hip_bfloat16Li64ELi16ELi4ELi8ELi1ELi32ELi2ELi1ELi1EEviiiiiiPKT_S3_S3_PfPiPS1_i
; %bb.0:
	s_add_u32 s8, s0, 0x50
	s_addc_u32 s9, s1, 0
	s_getpc_b64 s[0:1]
	s_add_u32 s0, s0, __PRETTY_FUNCTION__._Z11wvSplitKrc_I14__hip_bfloat16Li64ELi16ELi4ELi8ELi1ELi32ELi2ELi1ELi1EEviiiiiiPKT_S3_S3_PfPiPS1_i@rel32@lo+4
	s_addc_u32 s1, s1, __PRETTY_FUNCTION__._Z11wvSplitKrc_I14__hip_bfloat16Li64ELi16ELi4ELi8ELi1ELi32ELi2ELi1ELi1EEviiiiiiPKT_S3_S3_PfPiPS1_i@rel32@hi+12
	v_mov_b32_e32 v0, s0
	v_mov_b32_e32 v1, s1
	s_mov_b32 s32, 0
	s_getpc_b64 s[2:3]
	s_add_u32 s2, s2, __assert_fail@rel32@lo+4
	s_addc_u32 s3, s3, __assert_fail@rel32@hi+12
	s_swappc_b64 s[30:31], s[2:3]
	.section	.rodata,"a",@progbits
	.p2align	6, 0x0
	.amdhsa_kernel _Z11wvSplitKrc_I14__hip_bfloat16Li64ELi16ELi4ELi8ELi1ELi32ELi2ELi1ELi1EEviiiiiiPKT_S3_S3_PfPiPS1_i
		.amdhsa_group_segment_fixed_size 0
		.amdhsa_private_segment_fixed_size 64
		.amdhsa_kernarg_size 336
		.amdhsa_user_sgpr_count 2
		.amdhsa_user_sgpr_dispatch_ptr 0
		.amdhsa_user_sgpr_queue_ptr 0
		.amdhsa_user_sgpr_kernarg_segment_ptr 1
		.amdhsa_user_sgpr_dispatch_id 0
		.amdhsa_user_sgpr_kernarg_preload_length 0
		.amdhsa_user_sgpr_kernarg_preload_offset 0
		.amdhsa_user_sgpr_private_segment_size 0
		.amdhsa_uses_dynamic_stack 0
		.amdhsa_enable_private_segment 1
		.amdhsa_system_sgpr_workgroup_id_x 1
		.amdhsa_system_sgpr_workgroup_id_y 0
		.amdhsa_system_sgpr_workgroup_id_z 0
		.amdhsa_system_sgpr_workgroup_info 0
		.amdhsa_system_vgpr_workitem_id 0
		.amdhsa_next_free_vgpr 40
		.amdhsa_next_free_sgpr 34
		.amdhsa_accum_offset 40
		.amdhsa_reserve_vcc 1
		.amdhsa_float_round_mode_32 0
		.amdhsa_float_round_mode_16_64 0
		.amdhsa_float_denorm_mode_32 3
		.amdhsa_float_denorm_mode_16_64 3
		.amdhsa_dx10_clamp 1
		.amdhsa_ieee_mode 1
		.amdhsa_fp16_overflow 0
		.amdhsa_tg_split 0
		.amdhsa_exception_fp_ieee_invalid_op 0
		.amdhsa_exception_fp_denorm_src 0
		.amdhsa_exception_fp_ieee_div_zero 0
		.amdhsa_exception_fp_ieee_overflow 0
		.amdhsa_exception_fp_ieee_underflow 0
		.amdhsa_exception_fp_ieee_inexact 0
		.amdhsa_exception_int_div_zero 0
	.end_amdhsa_kernel
	.section	.text._Z11wvSplitKrc_I14__hip_bfloat16Li64ELi16ELi4ELi8ELi1ELi32ELi2ELi1ELi1EEviiiiiiPKT_S3_S3_PfPiPS1_i,"axG",@progbits,_Z11wvSplitKrc_I14__hip_bfloat16Li64ELi16ELi4ELi8ELi1ELi32ELi2ELi1ELi1EEviiiiiiPKT_S3_S3_PfPiPS1_i,comdat
.Lfunc_end328:
	.size	_Z11wvSplitKrc_I14__hip_bfloat16Li64ELi16ELi4ELi8ELi1ELi32ELi2ELi1ELi1EEviiiiiiPKT_S3_S3_PfPiPS1_i, .Lfunc_end328-_Z11wvSplitKrc_I14__hip_bfloat16Li64ELi16ELi4ELi8ELi1ELi32ELi2ELi1ELi1EEviiiiiiPKT_S3_S3_PfPiPS1_i
                                        ; -- End function
	.section	.AMDGPU.csdata,"",@progbits
; Kernel info:
; codeLenInByte = 68
; NumSgprs: 40
; NumVgprs: 40
; NumAgprs: 0
; TotalNumVgprs: 40
; ScratchSize: 64
; MemoryBound: 0
; FloatMode: 240
; IeeeMode: 1
; LDSByteSize: 0 bytes/workgroup (compile time only)
; SGPRBlocks: 4
; VGPRBlocks: 4
; NumSGPRsForWavesPerEU: 40
; NumVGPRsForWavesPerEU: 40
; AccumOffset: 40
; Occupancy: 8
; WaveLimiterHint : 1
; COMPUTE_PGM_RSRC2:SCRATCH_EN: 1
; COMPUTE_PGM_RSRC2:USER_SGPR: 2
; COMPUTE_PGM_RSRC2:TRAP_HANDLER: 0
; COMPUTE_PGM_RSRC2:TGID_X_EN: 1
; COMPUTE_PGM_RSRC2:TGID_Y_EN: 0
; COMPUTE_PGM_RSRC2:TGID_Z_EN: 0
; COMPUTE_PGM_RSRC2:TIDIG_COMP_CNT: 0
; COMPUTE_PGM_RSRC3_GFX90A:ACCUM_OFFSET: 9
; COMPUTE_PGM_RSRC3_GFX90A:TG_SPLIT: 0
	.section	.text._Z11wvSplitKrc_I14__hip_bfloat16Li64ELi16ELi4ELi8ELi1ELi32ELi2ELi1ELi0EEviiiiiiPKT_S3_S3_PfPiPS1_i,"axG",@progbits,_Z11wvSplitKrc_I14__hip_bfloat16Li64ELi16ELi4ELi8ELi1ELi32ELi2ELi1ELi0EEviiiiiiPKT_S3_S3_PfPiPS1_i,comdat
	.protected	_Z11wvSplitKrc_I14__hip_bfloat16Li64ELi16ELi4ELi8ELi1ELi32ELi2ELi1ELi0EEviiiiiiPKT_S3_S3_PfPiPS1_i ; -- Begin function _Z11wvSplitKrc_I14__hip_bfloat16Li64ELi16ELi4ELi8ELi1ELi32ELi2ELi1ELi0EEviiiiiiPKT_S3_S3_PfPiPS1_i
	.globl	_Z11wvSplitKrc_I14__hip_bfloat16Li64ELi16ELi4ELi8ELi1ELi32ELi2ELi1ELi0EEviiiiiiPKT_S3_S3_PfPiPS1_i
	.p2align	8
	.type	_Z11wvSplitKrc_I14__hip_bfloat16Li64ELi16ELi4ELi8ELi1ELi32ELi2ELi1ELi0EEviiiiiiPKT_S3_S3_PfPiPS1_i,@function
_Z11wvSplitKrc_I14__hip_bfloat16Li64ELi16ELi4ELi8ELi1ELi32ELi2ELi1ELi0EEviiiiiiPKT_S3_S3_PfPiPS1_i: ; @_Z11wvSplitKrc_I14__hip_bfloat16Li64ELi16ELi4ELi8ELi1ELi32ELi2ELi1ELi0EEviiiiiiPKT_S3_S3_PfPiPS1_i
; %bb.0:
	s_add_u32 s8, s0, 0x50
	s_addc_u32 s9, s1, 0
	s_getpc_b64 s[0:1]
	s_add_u32 s0, s0, __PRETTY_FUNCTION__._Z11wvSplitKrc_I14__hip_bfloat16Li64ELi16ELi4ELi8ELi1ELi32ELi2ELi1ELi0EEviiiiiiPKT_S3_S3_PfPiPS1_i@rel32@lo+4
	s_addc_u32 s1, s1, __PRETTY_FUNCTION__._Z11wvSplitKrc_I14__hip_bfloat16Li64ELi16ELi4ELi8ELi1ELi32ELi2ELi1ELi0EEviiiiiiPKT_S3_S3_PfPiPS1_i@rel32@hi+12
	v_mov_b32_e32 v0, s0
	v_mov_b32_e32 v1, s1
	s_mov_b32 s32, 0
	s_getpc_b64 s[2:3]
	s_add_u32 s2, s2, __assert_fail@rel32@lo+4
	s_addc_u32 s3, s3, __assert_fail@rel32@hi+12
	s_swappc_b64 s[30:31], s[2:3]
	.section	.rodata,"a",@progbits
	.p2align	6, 0x0
	.amdhsa_kernel _Z11wvSplitKrc_I14__hip_bfloat16Li64ELi16ELi4ELi8ELi1ELi32ELi2ELi1ELi0EEviiiiiiPKT_S3_S3_PfPiPS1_i
		.amdhsa_group_segment_fixed_size 0
		.amdhsa_private_segment_fixed_size 64
		.amdhsa_kernarg_size 336
		.amdhsa_user_sgpr_count 2
		.amdhsa_user_sgpr_dispatch_ptr 0
		.amdhsa_user_sgpr_queue_ptr 0
		.amdhsa_user_sgpr_kernarg_segment_ptr 1
		.amdhsa_user_sgpr_dispatch_id 0
		.amdhsa_user_sgpr_kernarg_preload_length 0
		.amdhsa_user_sgpr_kernarg_preload_offset 0
		.amdhsa_user_sgpr_private_segment_size 0
		.amdhsa_uses_dynamic_stack 0
		.amdhsa_enable_private_segment 1
		.amdhsa_system_sgpr_workgroup_id_x 1
		.amdhsa_system_sgpr_workgroup_id_y 0
		.amdhsa_system_sgpr_workgroup_id_z 0
		.amdhsa_system_sgpr_workgroup_info 0
		.amdhsa_system_vgpr_workitem_id 0
		.amdhsa_next_free_vgpr 40
		.amdhsa_next_free_sgpr 34
		.amdhsa_accum_offset 40
		.amdhsa_reserve_vcc 1
		.amdhsa_float_round_mode_32 0
		.amdhsa_float_round_mode_16_64 0
		.amdhsa_float_denorm_mode_32 3
		.amdhsa_float_denorm_mode_16_64 3
		.amdhsa_dx10_clamp 1
		.amdhsa_ieee_mode 1
		.amdhsa_fp16_overflow 0
		.amdhsa_tg_split 0
		.amdhsa_exception_fp_ieee_invalid_op 0
		.amdhsa_exception_fp_denorm_src 0
		.amdhsa_exception_fp_ieee_div_zero 0
		.amdhsa_exception_fp_ieee_overflow 0
		.amdhsa_exception_fp_ieee_underflow 0
		.amdhsa_exception_fp_ieee_inexact 0
		.amdhsa_exception_int_div_zero 0
	.end_amdhsa_kernel
	.section	.text._Z11wvSplitKrc_I14__hip_bfloat16Li64ELi16ELi4ELi8ELi1ELi32ELi2ELi1ELi0EEviiiiiiPKT_S3_S3_PfPiPS1_i,"axG",@progbits,_Z11wvSplitKrc_I14__hip_bfloat16Li64ELi16ELi4ELi8ELi1ELi32ELi2ELi1ELi0EEviiiiiiPKT_S3_S3_PfPiPS1_i,comdat
.Lfunc_end329:
	.size	_Z11wvSplitKrc_I14__hip_bfloat16Li64ELi16ELi4ELi8ELi1ELi32ELi2ELi1ELi0EEviiiiiiPKT_S3_S3_PfPiPS1_i, .Lfunc_end329-_Z11wvSplitKrc_I14__hip_bfloat16Li64ELi16ELi4ELi8ELi1ELi32ELi2ELi1ELi0EEviiiiiiPKT_S3_S3_PfPiPS1_i
                                        ; -- End function
	.section	.AMDGPU.csdata,"",@progbits
; Kernel info:
; codeLenInByte = 68
; NumSgprs: 40
; NumVgprs: 40
; NumAgprs: 0
; TotalNumVgprs: 40
; ScratchSize: 64
; MemoryBound: 0
; FloatMode: 240
; IeeeMode: 1
; LDSByteSize: 0 bytes/workgroup (compile time only)
; SGPRBlocks: 4
; VGPRBlocks: 4
; NumSGPRsForWavesPerEU: 40
; NumVGPRsForWavesPerEU: 40
; AccumOffset: 40
; Occupancy: 8
; WaveLimiterHint : 1
; COMPUTE_PGM_RSRC2:SCRATCH_EN: 1
; COMPUTE_PGM_RSRC2:USER_SGPR: 2
; COMPUTE_PGM_RSRC2:TRAP_HANDLER: 0
; COMPUTE_PGM_RSRC2:TGID_X_EN: 1
; COMPUTE_PGM_RSRC2:TGID_Y_EN: 0
; COMPUTE_PGM_RSRC2:TGID_Z_EN: 0
; COMPUTE_PGM_RSRC2:TIDIG_COMP_CNT: 0
; COMPUTE_PGM_RSRC3_GFX90A:ACCUM_OFFSET: 9
; COMPUTE_PGM_RSRC3_GFX90A:TG_SPLIT: 0
	.section	.text._Z11wvSplitKrc_I14__hip_bfloat16Li64ELi16ELi4ELi8ELi1ELi64ELi4ELi2ELi1EEviiiiiiPKT_S3_S3_PfPiPS1_i,"axG",@progbits,_Z11wvSplitKrc_I14__hip_bfloat16Li64ELi16ELi4ELi8ELi1ELi64ELi4ELi2ELi1EEviiiiiiPKT_S3_S3_PfPiPS1_i,comdat
	.protected	_Z11wvSplitKrc_I14__hip_bfloat16Li64ELi16ELi4ELi8ELi1ELi64ELi4ELi2ELi1EEviiiiiiPKT_S3_S3_PfPiPS1_i ; -- Begin function _Z11wvSplitKrc_I14__hip_bfloat16Li64ELi16ELi4ELi8ELi1ELi64ELi4ELi2ELi1EEviiiiiiPKT_S3_S3_PfPiPS1_i
	.globl	_Z11wvSplitKrc_I14__hip_bfloat16Li64ELi16ELi4ELi8ELi1ELi64ELi4ELi2ELi1EEviiiiiiPKT_S3_S3_PfPiPS1_i
	.p2align	8
	.type	_Z11wvSplitKrc_I14__hip_bfloat16Li64ELi16ELi4ELi8ELi1ELi64ELi4ELi2ELi1EEviiiiiiPKT_S3_S3_PfPiPS1_i,@function
_Z11wvSplitKrc_I14__hip_bfloat16Li64ELi16ELi4ELi8ELi1ELi64ELi4ELi2ELi1EEviiiiiiPKT_S3_S3_PfPiPS1_i: ; @_Z11wvSplitKrc_I14__hip_bfloat16Li64ELi16ELi4ELi8ELi1ELi64ELi4ELi2ELi1EEviiiiiiPKT_S3_S3_PfPiPS1_i
; %bb.0:
	s_add_u32 s8, s0, 0x50
	s_addc_u32 s9, s1, 0
	s_getpc_b64 s[0:1]
	s_add_u32 s0, s0, __PRETTY_FUNCTION__._Z11wvSplitKrc_I14__hip_bfloat16Li64ELi16ELi4ELi8ELi1ELi64ELi4ELi2ELi1EEviiiiiiPKT_S3_S3_PfPiPS1_i@rel32@lo+4
	s_addc_u32 s1, s1, __PRETTY_FUNCTION__._Z11wvSplitKrc_I14__hip_bfloat16Li64ELi16ELi4ELi8ELi1ELi64ELi4ELi2ELi1EEviiiiiiPKT_S3_S3_PfPiPS1_i@rel32@hi+12
	v_mov_b32_e32 v0, s0
	v_mov_b32_e32 v1, s1
	s_mov_b32 s32, 0
	s_getpc_b64 s[2:3]
	s_add_u32 s2, s2, __assert_fail@rel32@lo+4
	s_addc_u32 s3, s3, __assert_fail@rel32@hi+12
	s_swappc_b64 s[30:31], s[2:3]
	.section	.rodata,"a",@progbits
	.p2align	6, 0x0
	.amdhsa_kernel _Z11wvSplitKrc_I14__hip_bfloat16Li64ELi16ELi4ELi8ELi1ELi64ELi4ELi2ELi1EEviiiiiiPKT_S3_S3_PfPiPS1_i
		.amdhsa_group_segment_fixed_size 0
		.amdhsa_private_segment_fixed_size 64
		.amdhsa_kernarg_size 336
		.amdhsa_user_sgpr_count 2
		.amdhsa_user_sgpr_dispatch_ptr 0
		.amdhsa_user_sgpr_queue_ptr 0
		.amdhsa_user_sgpr_kernarg_segment_ptr 1
		.amdhsa_user_sgpr_dispatch_id 0
		.amdhsa_user_sgpr_kernarg_preload_length 0
		.amdhsa_user_sgpr_kernarg_preload_offset 0
		.amdhsa_user_sgpr_private_segment_size 0
		.amdhsa_uses_dynamic_stack 0
		.amdhsa_enable_private_segment 1
		.amdhsa_system_sgpr_workgroup_id_x 1
		.amdhsa_system_sgpr_workgroup_id_y 0
		.amdhsa_system_sgpr_workgroup_id_z 0
		.amdhsa_system_sgpr_workgroup_info 0
		.amdhsa_system_vgpr_workitem_id 0
		.amdhsa_next_free_vgpr 40
		.amdhsa_next_free_sgpr 34
		.amdhsa_accum_offset 40
		.amdhsa_reserve_vcc 1
		.amdhsa_float_round_mode_32 0
		.amdhsa_float_round_mode_16_64 0
		.amdhsa_float_denorm_mode_32 3
		.amdhsa_float_denorm_mode_16_64 3
		.amdhsa_dx10_clamp 1
		.amdhsa_ieee_mode 1
		.amdhsa_fp16_overflow 0
		.amdhsa_tg_split 0
		.amdhsa_exception_fp_ieee_invalid_op 0
		.amdhsa_exception_fp_denorm_src 0
		.amdhsa_exception_fp_ieee_div_zero 0
		.amdhsa_exception_fp_ieee_overflow 0
		.amdhsa_exception_fp_ieee_underflow 0
		.amdhsa_exception_fp_ieee_inexact 0
		.amdhsa_exception_int_div_zero 0
	.end_amdhsa_kernel
	.section	.text._Z11wvSplitKrc_I14__hip_bfloat16Li64ELi16ELi4ELi8ELi1ELi64ELi4ELi2ELi1EEviiiiiiPKT_S3_S3_PfPiPS1_i,"axG",@progbits,_Z11wvSplitKrc_I14__hip_bfloat16Li64ELi16ELi4ELi8ELi1ELi64ELi4ELi2ELi1EEviiiiiiPKT_S3_S3_PfPiPS1_i,comdat
.Lfunc_end330:
	.size	_Z11wvSplitKrc_I14__hip_bfloat16Li64ELi16ELi4ELi8ELi1ELi64ELi4ELi2ELi1EEviiiiiiPKT_S3_S3_PfPiPS1_i, .Lfunc_end330-_Z11wvSplitKrc_I14__hip_bfloat16Li64ELi16ELi4ELi8ELi1ELi64ELi4ELi2ELi1EEviiiiiiPKT_S3_S3_PfPiPS1_i
                                        ; -- End function
	.section	.AMDGPU.csdata,"",@progbits
; Kernel info:
; codeLenInByte = 68
; NumSgprs: 40
; NumVgprs: 40
; NumAgprs: 0
; TotalNumVgprs: 40
; ScratchSize: 64
; MemoryBound: 0
; FloatMode: 240
; IeeeMode: 1
; LDSByteSize: 0 bytes/workgroup (compile time only)
; SGPRBlocks: 4
; VGPRBlocks: 4
; NumSGPRsForWavesPerEU: 40
; NumVGPRsForWavesPerEU: 40
; AccumOffset: 40
; Occupancy: 8
; WaveLimiterHint : 1
; COMPUTE_PGM_RSRC2:SCRATCH_EN: 1
; COMPUTE_PGM_RSRC2:USER_SGPR: 2
; COMPUTE_PGM_RSRC2:TRAP_HANDLER: 0
; COMPUTE_PGM_RSRC2:TGID_X_EN: 1
; COMPUTE_PGM_RSRC2:TGID_Y_EN: 0
; COMPUTE_PGM_RSRC2:TGID_Z_EN: 0
; COMPUTE_PGM_RSRC2:TIDIG_COMP_CNT: 0
; COMPUTE_PGM_RSRC3_GFX90A:ACCUM_OFFSET: 9
; COMPUTE_PGM_RSRC3_GFX90A:TG_SPLIT: 0
	.section	.text._Z11wvSplitKrc_I14__hip_bfloat16Li64ELi16ELi4ELi8ELi1ELi64ELi4ELi2ELi0EEviiiiiiPKT_S3_S3_PfPiPS1_i,"axG",@progbits,_Z11wvSplitKrc_I14__hip_bfloat16Li64ELi16ELi4ELi8ELi1ELi64ELi4ELi2ELi0EEviiiiiiPKT_S3_S3_PfPiPS1_i,comdat
	.protected	_Z11wvSplitKrc_I14__hip_bfloat16Li64ELi16ELi4ELi8ELi1ELi64ELi4ELi2ELi0EEviiiiiiPKT_S3_S3_PfPiPS1_i ; -- Begin function _Z11wvSplitKrc_I14__hip_bfloat16Li64ELi16ELi4ELi8ELi1ELi64ELi4ELi2ELi0EEviiiiiiPKT_S3_S3_PfPiPS1_i
	.globl	_Z11wvSplitKrc_I14__hip_bfloat16Li64ELi16ELi4ELi8ELi1ELi64ELi4ELi2ELi0EEviiiiiiPKT_S3_S3_PfPiPS1_i
	.p2align	8
	.type	_Z11wvSplitKrc_I14__hip_bfloat16Li64ELi16ELi4ELi8ELi1ELi64ELi4ELi2ELi0EEviiiiiiPKT_S3_S3_PfPiPS1_i,@function
_Z11wvSplitKrc_I14__hip_bfloat16Li64ELi16ELi4ELi8ELi1ELi64ELi4ELi2ELi0EEviiiiiiPKT_S3_S3_PfPiPS1_i: ; @_Z11wvSplitKrc_I14__hip_bfloat16Li64ELi16ELi4ELi8ELi1ELi64ELi4ELi2ELi0EEviiiiiiPKT_S3_S3_PfPiPS1_i
; %bb.0:
	s_add_u32 s8, s0, 0x50
	s_addc_u32 s9, s1, 0
	s_getpc_b64 s[0:1]
	s_add_u32 s0, s0, __PRETTY_FUNCTION__._Z11wvSplitKrc_I14__hip_bfloat16Li64ELi16ELi4ELi8ELi1ELi64ELi4ELi2ELi0EEviiiiiiPKT_S3_S3_PfPiPS1_i@rel32@lo+4
	s_addc_u32 s1, s1, __PRETTY_FUNCTION__._Z11wvSplitKrc_I14__hip_bfloat16Li64ELi16ELi4ELi8ELi1ELi64ELi4ELi2ELi0EEviiiiiiPKT_S3_S3_PfPiPS1_i@rel32@hi+12
	v_mov_b32_e32 v0, s0
	v_mov_b32_e32 v1, s1
	s_mov_b32 s32, 0
	s_getpc_b64 s[2:3]
	s_add_u32 s2, s2, __assert_fail@rel32@lo+4
	s_addc_u32 s3, s3, __assert_fail@rel32@hi+12
	s_swappc_b64 s[30:31], s[2:3]
	.section	.rodata,"a",@progbits
	.p2align	6, 0x0
	.amdhsa_kernel _Z11wvSplitKrc_I14__hip_bfloat16Li64ELi16ELi4ELi8ELi1ELi64ELi4ELi2ELi0EEviiiiiiPKT_S3_S3_PfPiPS1_i
		.amdhsa_group_segment_fixed_size 0
		.amdhsa_private_segment_fixed_size 64
		.amdhsa_kernarg_size 336
		.amdhsa_user_sgpr_count 2
		.amdhsa_user_sgpr_dispatch_ptr 0
		.amdhsa_user_sgpr_queue_ptr 0
		.amdhsa_user_sgpr_kernarg_segment_ptr 1
		.amdhsa_user_sgpr_dispatch_id 0
		.amdhsa_user_sgpr_kernarg_preload_length 0
		.amdhsa_user_sgpr_kernarg_preload_offset 0
		.amdhsa_user_sgpr_private_segment_size 0
		.amdhsa_uses_dynamic_stack 0
		.amdhsa_enable_private_segment 1
		.amdhsa_system_sgpr_workgroup_id_x 1
		.amdhsa_system_sgpr_workgroup_id_y 0
		.amdhsa_system_sgpr_workgroup_id_z 0
		.amdhsa_system_sgpr_workgroup_info 0
		.amdhsa_system_vgpr_workitem_id 0
		.amdhsa_next_free_vgpr 40
		.amdhsa_next_free_sgpr 34
		.amdhsa_accum_offset 40
		.amdhsa_reserve_vcc 1
		.amdhsa_float_round_mode_32 0
		.amdhsa_float_round_mode_16_64 0
		.amdhsa_float_denorm_mode_32 3
		.amdhsa_float_denorm_mode_16_64 3
		.amdhsa_dx10_clamp 1
		.amdhsa_ieee_mode 1
		.amdhsa_fp16_overflow 0
		.amdhsa_tg_split 0
		.amdhsa_exception_fp_ieee_invalid_op 0
		.amdhsa_exception_fp_denorm_src 0
		.amdhsa_exception_fp_ieee_div_zero 0
		.amdhsa_exception_fp_ieee_overflow 0
		.amdhsa_exception_fp_ieee_underflow 0
		.amdhsa_exception_fp_ieee_inexact 0
		.amdhsa_exception_int_div_zero 0
	.end_amdhsa_kernel
	.section	.text._Z11wvSplitKrc_I14__hip_bfloat16Li64ELi16ELi4ELi8ELi1ELi64ELi4ELi2ELi0EEviiiiiiPKT_S3_S3_PfPiPS1_i,"axG",@progbits,_Z11wvSplitKrc_I14__hip_bfloat16Li64ELi16ELi4ELi8ELi1ELi64ELi4ELi2ELi0EEviiiiiiPKT_S3_S3_PfPiPS1_i,comdat
.Lfunc_end331:
	.size	_Z11wvSplitKrc_I14__hip_bfloat16Li64ELi16ELi4ELi8ELi1ELi64ELi4ELi2ELi0EEviiiiiiPKT_S3_S3_PfPiPS1_i, .Lfunc_end331-_Z11wvSplitKrc_I14__hip_bfloat16Li64ELi16ELi4ELi8ELi1ELi64ELi4ELi2ELi0EEviiiiiiPKT_S3_S3_PfPiPS1_i
                                        ; -- End function
	.section	.AMDGPU.csdata,"",@progbits
; Kernel info:
; codeLenInByte = 68
; NumSgprs: 40
; NumVgprs: 40
; NumAgprs: 0
; TotalNumVgprs: 40
; ScratchSize: 64
; MemoryBound: 0
; FloatMode: 240
; IeeeMode: 1
; LDSByteSize: 0 bytes/workgroup (compile time only)
; SGPRBlocks: 4
; VGPRBlocks: 4
; NumSGPRsForWavesPerEU: 40
; NumVGPRsForWavesPerEU: 40
; AccumOffset: 40
; Occupancy: 8
; WaveLimiterHint : 1
; COMPUTE_PGM_RSRC2:SCRATCH_EN: 1
; COMPUTE_PGM_RSRC2:USER_SGPR: 2
; COMPUTE_PGM_RSRC2:TRAP_HANDLER: 0
; COMPUTE_PGM_RSRC2:TGID_X_EN: 1
; COMPUTE_PGM_RSRC2:TGID_Y_EN: 0
; COMPUTE_PGM_RSRC2:TGID_Z_EN: 0
; COMPUTE_PGM_RSRC2:TIDIG_COMP_CNT: 0
; COMPUTE_PGM_RSRC3_GFX90A:ACCUM_OFFSET: 9
; COMPUTE_PGM_RSRC3_GFX90A:TG_SPLIT: 0
	.section	.text._Z11wvSplitKrc_I14__hip_bfloat16Li64ELi16ELi4ELi8ELi1ELi64ELi4ELi1ELi1EEviiiiiiPKT_S3_S3_PfPiPS1_i,"axG",@progbits,_Z11wvSplitKrc_I14__hip_bfloat16Li64ELi16ELi4ELi8ELi1ELi64ELi4ELi1ELi1EEviiiiiiPKT_S3_S3_PfPiPS1_i,comdat
	.protected	_Z11wvSplitKrc_I14__hip_bfloat16Li64ELi16ELi4ELi8ELi1ELi64ELi4ELi1ELi1EEviiiiiiPKT_S3_S3_PfPiPS1_i ; -- Begin function _Z11wvSplitKrc_I14__hip_bfloat16Li64ELi16ELi4ELi8ELi1ELi64ELi4ELi1ELi1EEviiiiiiPKT_S3_S3_PfPiPS1_i
	.globl	_Z11wvSplitKrc_I14__hip_bfloat16Li64ELi16ELi4ELi8ELi1ELi64ELi4ELi1ELi1EEviiiiiiPKT_S3_S3_PfPiPS1_i
	.p2align	8
	.type	_Z11wvSplitKrc_I14__hip_bfloat16Li64ELi16ELi4ELi8ELi1ELi64ELi4ELi1ELi1EEviiiiiiPKT_S3_S3_PfPiPS1_i,@function
_Z11wvSplitKrc_I14__hip_bfloat16Li64ELi16ELi4ELi8ELi1ELi64ELi4ELi1ELi1EEviiiiiiPKT_S3_S3_PfPiPS1_i: ; @_Z11wvSplitKrc_I14__hip_bfloat16Li64ELi16ELi4ELi8ELi1ELi64ELi4ELi1ELi1EEviiiiiiPKT_S3_S3_PfPiPS1_i
; %bb.0:
	s_add_u32 s8, s0, 0x50
	s_addc_u32 s9, s1, 0
	s_getpc_b64 s[0:1]
	s_add_u32 s0, s0, __PRETTY_FUNCTION__._Z11wvSplitKrc_I14__hip_bfloat16Li64ELi16ELi4ELi8ELi1ELi64ELi4ELi1ELi1EEviiiiiiPKT_S3_S3_PfPiPS1_i@rel32@lo+4
	s_addc_u32 s1, s1, __PRETTY_FUNCTION__._Z11wvSplitKrc_I14__hip_bfloat16Li64ELi16ELi4ELi8ELi1ELi64ELi4ELi1ELi1EEviiiiiiPKT_S3_S3_PfPiPS1_i@rel32@hi+12
	v_mov_b32_e32 v0, s0
	v_mov_b32_e32 v1, s1
	s_mov_b32 s32, 0
	s_getpc_b64 s[2:3]
	s_add_u32 s2, s2, __assert_fail@rel32@lo+4
	s_addc_u32 s3, s3, __assert_fail@rel32@hi+12
	s_swappc_b64 s[30:31], s[2:3]
	.section	.rodata,"a",@progbits
	.p2align	6, 0x0
	.amdhsa_kernel _Z11wvSplitKrc_I14__hip_bfloat16Li64ELi16ELi4ELi8ELi1ELi64ELi4ELi1ELi1EEviiiiiiPKT_S3_S3_PfPiPS1_i
		.amdhsa_group_segment_fixed_size 0
		.amdhsa_private_segment_fixed_size 64
		.amdhsa_kernarg_size 336
		.amdhsa_user_sgpr_count 2
		.amdhsa_user_sgpr_dispatch_ptr 0
		.amdhsa_user_sgpr_queue_ptr 0
		.amdhsa_user_sgpr_kernarg_segment_ptr 1
		.amdhsa_user_sgpr_dispatch_id 0
		.amdhsa_user_sgpr_kernarg_preload_length 0
		.amdhsa_user_sgpr_kernarg_preload_offset 0
		.amdhsa_user_sgpr_private_segment_size 0
		.amdhsa_uses_dynamic_stack 0
		.amdhsa_enable_private_segment 1
		.amdhsa_system_sgpr_workgroup_id_x 1
		.amdhsa_system_sgpr_workgroup_id_y 0
		.amdhsa_system_sgpr_workgroup_id_z 0
		.amdhsa_system_sgpr_workgroup_info 0
		.amdhsa_system_vgpr_workitem_id 0
		.amdhsa_next_free_vgpr 40
		.amdhsa_next_free_sgpr 34
		.amdhsa_accum_offset 40
		.amdhsa_reserve_vcc 1
		.amdhsa_float_round_mode_32 0
		.amdhsa_float_round_mode_16_64 0
		.amdhsa_float_denorm_mode_32 3
		.amdhsa_float_denorm_mode_16_64 3
		.amdhsa_dx10_clamp 1
		.amdhsa_ieee_mode 1
		.amdhsa_fp16_overflow 0
		.amdhsa_tg_split 0
		.amdhsa_exception_fp_ieee_invalid_op 0
		.amdhsa_exception_fp_denorm_src 0
		.amdhsa_exception_fp_ieee_div_zero 0
		.amdhsa_exception_fp_ieee_overflow 0
		.amdhsa_exception_fp_ieee_underflow 0
		.amdhsa_exception_fp_ieee_inexact 0
		.amdhsa_exception_int_div_zero 0
	.end_amdhsa_kernel
	.section	.text._Z11wvSplitKrc_I14__hip_bfloat16Li64ELi16ELi4ELi8ELi1ELi64ELi4ELi1ELi1EEviiiiiiPKT_S3_S3_PfPiPS1_i,"axG",@progbits,_Z11wvSplitKrc_I14__hip_bfloat16Li64ELi16ELi4ELi8ELi1ELi64ELi4ELi1ELi1EEviiiiiiPKT_S3_S3_PfPiPS1_i,comdat
.Lfunc_end332:
	.size	_Z11wvSplitKrc_I14__hip_bfloat16Li64ELi16ELi4ELi8ELi1ELi64ELi4ELi1ELi1EEviiiiiiPKT_S3_S3_PfPiPS1_i, .Lfunc_end332-_Z11wvSplitKrc_I14__hip_bfloat16Li64ELi16ELi4ELi8ELi1ELi64ELi4ELi1ELi1EEviiiiiiPKT_S3_S3_PfPiPS1_i
                                        ; -- End function
	.section	.AMDGPU.csdata,"",@progbits
; Kernel info:
; codeLenInByte = 68
; NumSgprs: 40
; NumVgprs: 40
; NumAgprs: 0
; TotalNumVgprs: 40
; ScratchSize: 64
; MemoryBound: 0
; FloatMode: 240
; IeeeMode: 1
; LDSByteSize: 0 bytes/workgroup (compile time only)
; SGPRBlocks: 4
; VGPRBlocks: 4
; NumSGPRsForWavesPerEU: 40
; NumVGPRsForWavesPerEU: 40
; AccumOffset: 40
; Occupancy: 8
; WaveLimiterHint : 1
; COMPUTE_PGM_RSRC2:SCRATCH_EN: 1
; COMPUTE_PGM_RSRC2:USER_SGPR: 2
; COMPUTE_PGM_RSRC2:TRAP_HANDLER: 0
; COMPUTE_PGM_RSRC2:TGID_X_EN: 1
; COMPUTE_PGM_RSRC2:TGID_Y_EN: 0
; COMPUTE_PGM_RSRC2:TGID_Z_EN: 0
; COMPUTE_PGM_RSRC2:TIDIG_COMP_CNT: 0
; COMPUTE_PGM_RSRC3_GFX90A:ACCUM_OFFSET: 9
; COMPUTE_PGM_RSRC3_GFX90A:TG_SPLIT: 0
	.section	.text._Z11wvSplitKrc_I14__hip_bfloat16Li64ELi16ELi4ELi8ELi1ELi64ELi4ELi1ELi0EEviiiiiiPKT_S3_S3_PfPiPS1_i,"axG",@progbits,_Z11wvSplitKrc_I14__hip_bfloat16Li64ELi16ELi4ELi8ELi1ELi64ELi4ELi1ELi0EEviiiiiiPKT_S3_S3_PfPiPS1_i,comdat
	.protected	_Z11wvSplitKrc_I14__hip_bfloat16Li64ELi16ELi4ELi8ELi1ELi64ELi4ELi1ELi0EEviiiiiiPKT_S3_S3_PfPiPS1_i ; -- Begin function _Z11wvSplitKrc_I14__hip_bfloat16Li64ELi16ELi4ELi8ELi1ELi64ELi4ELi1ELi0EEviiiiiiPKT_S3_S3_PfPiPS1_i
	.globl	_Z11wvSplitKrc_I14__hip_bfloat16Li64ELi16ELi4ELi8ELi1ELi64ELi4ELi1ELi0EEviiiiiiPKT_S3_S3_PfPiPS1_i
	.p2align	8
	.type	_Z11wvSplitKrc_I14__hip_bfloat16Li64ELi16ELi4ELi8ELi1ELi64ELi4ELi1ELi0EEviiiiiiPKT_S3_S3_PfPiPS1_i,@function
_Z11wvSplitKrc_I14__hip_bfloat16Li64ELi16ELi4ELi8ELi1ELi64ELi4ELi1ELi0EEviiiiiiPKT_S3_S3_PfPiPS1_i: ; @_Z11wvSplitKrc_I14__hip_bfloat16Li64ELi16ELi4ELi8ELi1ELi64ELi4ELi1ELi0EEviiiiiiPKT_S3_S3_PfPiPS1_i
; %bb.0:
	s_add_u32 s8, s0, 0x50
	s_addc_u32 s9, s1, 0
	s_getpc_b64 s[0:1]
	s_add_u32 s0, s0, __PRETTY_FUNCTION__._Z11wvSplitKrc_I14__hip_bfloat16Li64ELi16ELi4ELi8ELi1ELi64ELi4ELi1ELi0EEviiiiiiPKT_S3_S3_PfPiPS1_i@rel32@lo+4
	s_addc_u32 s1, s1, __PRETTY_FUNCTION__._Z11wvSplitKrc_I14__hip_bfloat16Li64ELi16ELi4ELi8ELi1ELi64ELi4ELi1ELi0EEviiiiiiPKT_S3_S3_PfPiPS1_i@rel32@hi+12
	v_mov_b32_e32 v0, s0
	v_mov_b32_e32 v1, s1
	s_mov_b32 s32, 0
	s_getpc_b64 s[2:3]
	s_add_u32 s2, s2, __assert_fail@rel32@lo+4
	s_addc_u32 s3, s3, __assert_fail@rel32@hi+12
	s_swappc_b64 s[30:31], s[2:3]
	.section	.rodata,"a",@progbits
	.p2align	6, 0x0
	.amdhsa_kernel _Z11wvSplitKrc_I14__hip_bfloat16Li64ELi16ELi4ELi8ELi1ELi64ELi4ELi1ELi0EEviiiiiiPKT_S3_S3_PfPiPS1_i
		.amdhsa_group_segment_fixed_size 0
		.amdhsa_private_segment_fixed_size 64
		.amdhsa_kernarg_size 336
		.amdhsa_user_sgpr_count 2
		.amdhsa_user_sgpr_dispatch_ptr 0
		.amdhsa_user_sgpr_queue_ptr 0
		.amdhsa_user_sgpr_kernarg_segment_ptr 1
		.amdhsa_user_sgpr_dispatch_id 0
		.amdhsa_user_sgpr_kernarg_preload_length 0
		.amdhsa_user_sgpr_kernarg_preload_offset 0
		.amdhsa_user_sgpr_private_segment_size 0
		.amdhsa_uses_dynamic_stack 0
		.amdhsa_enable_private_segment 1
		.amdhsa_system_sgpr_workgroup_id_x 1
		.amdhsa_system_sgpr_workgroup_id_y 0
		.amdhsa_system_sgpr_workgroup_id_z 0
		.amdhsa_system_sgpr_workgroup_info 0
		.amdhsa_system_vgpr_workitem_id 0
		.amdhsa_next_free_vgpr 40
		.amdhsa_next_free_sgpr 34
		.amdhsa_accum_offset 40
		.amdhsa_reserve_vcc 1
		.amdhsa_float_round_mode_32 0
		.amdhsa_float_round_mode_16_64 0
		.amdhsa_float_denorm_mode_32 3
		.amdhsa_float_denorm_mode_16_64 3
		.amdhsa_dx10_clamp 1
		.amdhsa_ieee_mode 1
		.amdhsa_fp16_overflow 0
		.amdhsa_tg_split 0
		.amdhsa_exception_fp_ieee_invalid_op 0
		.amdhsa_exception_fp_denorm_src 0
		.amdhsa_exception_fp_ieee_div_zero 0
		.amdhsa_exception_fp_ieee_overflow 0
		.amdhsa_exception_fp_ieee_underflow 0
		.amdhsa_exception_fp_ieee_inexact 0
		.amdhsa_exception_int_div_zero 0
	.end_amdhsa_kernel
	.section	.text._Z11wvSplitKrc_I14__hip_bfloat16Li64ELi16ELi4ELi8ELi1ELi64ELi4ELi1ELi0EEviiiiiiPKT_S3_S3_PfPiPS1_i,"axG",@progbits,_Z11wvSplitKrc_I14__hip_bfloat16Li64ELi16ELi4ELi8ELi1ELi64ELi4ELi1ELi0EEviiiiiiPKT_S3_S3_PfPiPS1_i,comdat
.Lfunc_end333:
	.size	_Z11wvSplitKrc_I14__hip_bfloat16Li64ELi16ELi4ELi8ELi1ELi64ELi4ELi1ELi0EEviiiiiiPKT_S3_S3_PfPiPS1_i, .Lfunc_end333-_Z11wvSplitKrc_I14__hip_bfloat16Li64ELi16ELi4ELi8ELi1ELi64ELi4ELi1ELi0EEviiiiiiPKT_S3_S3_PfPiPS1_i
                                        ; -- End function
	.section	.AMDGPU.csdata,"",@progbits
; Kernel info:
; codeLenInByte = 68
; NumSgprs: 40
; NumVgprs: 40
; NumAgprs: 0
; TotalNumVgprs: 40
; ScratchSize: 64
; MemoryBound: 0
; FloatMode: 240
; IeeeMode: 1
; LDSByteSize: 0 bytes/workgroup (compile time only)
; SGPRBlocks: 4
; VGPRBlocks: 4
; NumSGPRsForWavesPerEU: 40
; NumVGPRsForWavesPerEU: 40
; AccumOffset: 40
; Occupancy: 8
; WaveLimiterHint : 1
; COMPUTE_PGM_RSRC2:SCRATCH_EN: 1
; COMPUTE_PGM_RSRC2:USER_SGPR: 2
; COMPUTE_PGM_RSRC2:TRAP_HANDLER: 0
; COMPUTE_PGM_RSRC2:TGID_X_EN: 1
; COMPUTE_PGM_RSRC2:TGID_Y_EN: 0
; COMPUTE_PGM_RSRC2:TGID_Z_EN: 0
; COMPUTE_PGM_RSRC2:TIDIG_COMP_CNT: 0
; COMPUTE_PGM_RSRC3_GFX90A:ACCUM_OFFSET: 9
; COMPUTE_PGM_RSRC3_GFX90A:TG_SPLIT: 0
	.section	.text._Z11wvSplitKrc_I14__hip_bfloat16Li64ELi16ELi4ELi8ELi1ELi128ELi4ELi2ELi1EEviiiiiiPKT_S3_S3_PfPiPS1_i,"axG",@progbits,_Z11wvSplitKrc_I14__hip_bfloat16Li64ELi16ELi4ELi8ELi1ELi128ELi4ELi2ELi1EEviiiiiiPKT_S3_S3_PfPiPS1_i,comdat
	.protected	_Z11wvSplitKrc_I14__hip_bfloat16Li64ELi16ELi4ELi8ELi1ELi128ELi4ELi2ELi1EEviiiiiiPKT_S3_S3_PfPiPS1_i ; -- Begin function _Z11wvSplitKrc_I14__hip_bfloat16Li64ELi16ELi4ELi8ELi1ELi128ELi4ELi2ELi1EEviiiiiiPKT_S3_S3_PfPiPS1_i
	.globl	_Z11wvSplitKrc_I14__hip_bfloat16Li64ELi16ELi4ELi8ELi1ELi128ELi4ELi2ELi1EEviiiiiiPKT_S3_S3_PfPiPS1_i
	.p2align	8
	.type	_Z11wvSplitKrc_I14__hip_bfloat16Li64ELi16ELi4ELi8ELi1ELi128ELi4ELi2ELi1EEviiiiiiPKT_S3_S3_PfPiPS1_i,@function
_Z11wvSplitKrc_I14__hip_bfloat16Li64ELi16ELi4ELi8ELi1ELi128ELi4ELi2ELi1EEviiiiiiPKT_S3_S3_PfPiPS1_i: ; @_Z11wvSplitKrc_I14__hip_bfloat16Li64ELi16ELi4ELi8ELi1ELi128ELi4ELi2ELi1EEviiiiiiPKT_S3_S3_PfPiPS1_i
; %bb.0:
	s_add_u32 s8, s0, 0x50
	s_addc_u32 s9, s1, 0
	s_getpc_b64 s[0:1]
	s_add_u32 s0, s0, __PRETTY_FUNCTION__._Z11wvSplitKrc_I14__hip_bfloat16Li64ELi16ELi4ELi8ELi1ELi128ELi4ELi2ELi1EEviiiiiiPKT_S3_S3_PfPiPS1_i@rel32@lo+4
	s_addc_u32 s1, s1, __PRETTY_FUNCTION__._Z11wvSplitKrc_I14__hip_bfloat16Li64ELi16ELi4ELi8ELi1ELi128ELi4ELi2ELi1EEviiiiiiPKT_S3_S3_PfPiPS1_i@rel32@hi+12
	v_mov_b32_e32 v0, s0
	v_mov_b32_e32 v1, s1
	s_mov_b32 s32, 0
	s_getpc_b64 s[2:3]
	s_add_u32 s2, s2, __assert_fail@rel32@lo+4
	s_addc_u32 s3, s3, __assert_fail@rel32@hi+12
	s_swappc_b64 s[30:31], s[2:3]
	.section	.rodata,"a",@progbits
	.p2align	6, 0x0
	.amdhsa_kernel _Z11wvSplitKrc_I14__hip_bfloat16Li64ELi16ELi4ELi8ELi1ELi128ELi4ELi2ELi1EEviiiiiiPKT_S3_S3_PfPiPS1_i
		.amdhsa_group_segment_fixed_size 0
		.amdhsa_private_segment_fixed_size 64
		.amdhsa_kernarg_size 336
		.amdhsa_user_sgpr_count 2
		.amdhsa_user_sgpr_dispatch_ptr 0
		.amdhsa_user_sgpr_queue_ptr 0
		.amdhsa_user_sgpr_kernarg_segment_ptr 1
		.amdhsa_user_sgpr_dispatch_id 0
		.amdhsa_user_sgpr_kernarg_preload_length 0
		.amdhsa_user_sgpr_kernarg_preload_offset 0
		.amdhsa_user_sgpr_private_segment_size 0
		.amdhsa_uses_dynamic_stack 0
		.amdhsa_enable_private_segment 1
		.amdhsa_system_sgpr_workgroup_id_x 1
		.amdhsa_system_sgpr_workgroup_id_y 0
		.amdhsa_system_sgpr_workgroup_id_z 0
		.amdhsa_system_sgpr_workgroup_info 0
		.amdhsa_system_vgpr_workitem_id 0
		.amdhsa_next_free_vgpr 40
		.amdhsa_next_free_sgpr 34
		.amdhsa_accum_offset 40
		.amdhsa_reserve_vcc 1
		.amdhsa_float_round_mode_32 0
		.amdhsa_float_round_mode_16_64 0
		.amdhsa_float_denorm_mode_32 3
		.amdhsa_float_denorm_mode_16_64 3
		.amdhsa_dx10_clamp 1
		.amdhsa_ieee_mode 1
		.amdhsa_fp16_overflow 0
		.amdhsa_tg_split 0
		.amdhsa_exception_fp_ieee_invalid_op 0
		.amdhsa_exception_fp_denorm_src 0
		.amdhsa_exception_fp_ieee_div_zero 0
		.amdhsa_exception_fp_ieee_overflow 0
		.amdhsa_exception_fp_ieee_underflow 0
		.amdhsa_exception_fp_ieee_inexact 0
		.amdhsa_exception_int_div_zero 0
	.end_amdhsa_kernel
	.section	.text._Z11wvSplitKrc_I14__hip_bfloat16Li64ELi16ELi4ELi8ELi1ELi128ELi4ELi2ELi1EEviiiiiiPKT_S3_S3_PfPiPS1_i,"axG",@progbits,_Z11wvSplitKrc_I14__hip_bfloat16Li64ELi16ELi4ELi8ELi1ELi128ELi4ELi2ELi1EEviiiiiiPKT_S3_S3_PfPiPS1_i,comdat
.Lfunc_end334:
	.size	_Z11wvSplitKrc_I14__hip_bfloat16Li64ELi16ELi4ELi8ELi1ELi128ELi4ELi2ELi1EEviiiiiiPKT_S3_S3_PfPiPS1_i, .Lfunc_end334-_Z11wvSplitKrc_I14__hip_bfloat16Li64ELi16ELi4ELi8ELi1ELi128ELi4ELi2ELi1EEviiiiiiPKT_S3_S3_PfPiPS1_i
                                        ; -- End function
	.section	.AMDGPU.csdata,"",@progbits
; Kernel info:
; codeLenInByte = 68
; NumSgprs: 40
; NumVgprs: 40
; NumAgprs: 0
; TotalNumVgprs: 40
; ScratchSize: 64
; MemoryBound: 0
; FloatMode: 240
; IeeeMode: 1
; LDSByteSize: 0 bytes/workgroup (compile time only)
; SGPRBlocks: 4
; VGPRBlocks: 4
; NumSGPRsForWavesPerEU: 40
; NumVGPRsForWavesPerEU: 40
; AccumOffset: 40
; Occupancy: 8
; WaveLimiterHint : 1
; COMPUTE_PGM_RSRC2:SCRATCH_EN: 1
; COMPUTE_PGM_RSRC2:USER_SGPR: 2
; COMPUTE_PGM_RSRC2:TRAP_HANDLER: 0
; COMPUTE_PGM_RSRC2:TGID_X_EN: 1
; COMPUTE_PGM_RSRC2:TGID_Y_EN: 0
; COMPUTE_PGM_RSRC2:TGID_Z_EN: 0
; COMPUTE_PGM_RSRC2:TIDIG_COMP_CNT: 0
; COMPUTE_PGM_RSRC3_GFX90A:ACCUM_OFFSET: 9
; COMPUTE_PGM_RSRC3_GFX90A:TG_SPLIT: 0
	.section	.text._Z11wvSplitKrc_I14__hip_bfloat16Li64ELi16ELi4ELi8ELi1ELi128ELi4ELi2ELi0EEviiiiiiPKT_S3_S3_PfPiPS1_i,"axG",@progbits,_Z11wvSplitKrc_I14__hip_bfloat16Li64ELi16ELi4ELi8ELi1ELi128ELi4ELi2ELi0EEviiiiiiPKT_S3_S3_PfPiPS1_i,comdat
	.protected	_Z11wvSplitKrc_I14__hip_bfloat16Li64ELi16ELi4ELi8ELi1ELi128ELi4ELi2ELi0EEviiiiiiPKT_S3_S3_PfPiPS1_i ; -- Begin function _Z11wvSplitKrc_I14__hip_bfloat16Li64ELi16ELi4ELi8ELi1ELi128ELi4ELi2ELi0EEviiiiiiPKT_S3_S3_PfPiPS1_i
	.globl	_Z11wvSplitKrc_I14__hip_bfloat16Li64ELi16ELi4ELi8ELi1ELi128ELi4ELi2ELi0EEviiiiiiPKT_S3_S3_PfPiPS1_i
	.p2align	8
	.type	_Z11wvSplitKrc_I14__hip_bfloat16Li64ELi16ELi4ELi8ELi1ELi128ELi4ELi2ELi0EEviiiiiiPKT_S3_S3_PfPiPS1_i,@function
_Z11wvSplitKrc_I14__hip_bfloat16Li64ELi16ELi4ELi8ELi1ELi128ELi4ELi2ELi0EEviiiiiiPKT_S3_S3_PfPiPS1_i: ; @_Z11wvSplitKrc_I14__hip_bfloat16Li64ELi16ELi4ELi8ELi1ELi128ELi4ELi2ELi0EEviiiiiiPKT_S3_S3_PfPiPS1_i
; %bb.0:
	s_add_u32 s8, s0, 0x50
	s_addc_u32 s9, s1, 0
	s_getpc_b64 s[0:1]
	s_add_u32 s0, s0, __PRETTY_FUNCTION__._Z11wvSplitKrc_I14__hip_bfloat16Li64ELi16ELi4ELi8ELi1ELi128ELi4ELi2ELi0EEviiiiiiPKT_S3_S3_PfPiPS1_i@rel32@lo+4
	s_addc_u32 s1, s1, __PRETTY_FUNCTION__._Z11wvSplitKrc_I14__hip_bfloat16Li64ELi16ELi4ELi8ELi1ELi128ELi4ELi2ELi0EEviiiiiiPKT_S3_S3_PfPiPS1_i@rel32@hi+12
	v_mov_b32_e32 v0, s0
	v_mov_b32_e32 v1, s1
	s_mov_b32 s32, 0
	s_getpc_b64 s[2:3]
	s_add_u32 s2, s2, __assert_fail@rel32@lo+4
	s_addc_u32 s3, s3, __assert_fail@rel32@hi+12
	s_swappc_b64 s[30:31], s[2:3]
	.section	.rodata,"a",@progbits
	.p2align	6, 0x0
	.amdhsa_kernel _Z11wvSplitKrc_I14__hip_bfloat16Li64ELi16ELi4ELi8ELi1ELi128ELi4ELi2ELi0EEviiiiiiPKT_S3_S3_PfPiPS1_i
		.amdhsa_group_segment_fixed_size 0
		.amdhsa_private_segment_fixed_size 64
		.amdhsa_kernarg_size 336
		.amdhsa_user_sgpr_count 2
		.amdhsa_user_sgpr_dispatch_ptr 0
		.amdhsa_user_sgpr_queue_ptr 0
		.amdhsa_user_sgpr_kernarg_segment_ptr 1
		.amdhsa_user_sgpr_dispatch_id 0
		.amdhsa_user_sgpr_kernarg_preload_length 0
		.amdhsa_user_sgpr_kernarg_preload_offset 0
		.amdhsa_user_sgpr_private_segment_size 0
		.amdhsa_uses_dynamic_stack 0
		.amdhsa_enable_private_segment 1
		.amdhsa_system_sgpr_workgroup_id_x 1
		.amdhsa_system_sgpr_workgroup_id_y 0
		.amdhsa_system_sgpr_workgroup_id_z 0
		.amdhsa_system_sgpr_workgroup_info 0
		.amdhsa_system_vgpr_workitem_id 0
		.amdhsa_next_free_vgpr 40
		.amdhsa_next_free_sgpr 34
		.amdhsa_accum_offset 40
		.amdhsa_reserve_vcc 1
		.amdhsa_float_round_mode_32 0
		.amdhsa_float_round_mode_16_64 0
		.amdhsa_float_denorm_mode_32 3
		.amdhsa_float_denorm_mode_16_64 3
		.amdhsa_dx10_clamp 1
		.amdhsa_ieee_mode 1
		.amdhsa_fp16_overflow 0
		.amdhsa_tg_split 0
		.amdhsa_exception_fp_ieee_invalid_op 0
		.amdhsa_exception_fp_denorm_src 0
		.amdhsa_exception_fp_ieee_div_zero 0
		.amdhsa_exception_fp_ieee_overflow 0
		.amdhsa_exception_fp_ieee_underflow 0
		.amdhsa_exception_fp_ieee_inexact 0
		.amdhsa_exception_int_div_zero 0
	.end_amdhsa_kernel
	.section	.text._Z11wvSplitKrc_I14__hip_bfloat16Li64ELi16ELi4ELi8ELi1ELi128ELi4ELi2ELi0EEviiiiiiPKT_S3_S3_PfPiPS1_i,"axG",@progbits,_Z11wvSplitKrc_I14__hip_bfloat16Li64ELi16ELi4ELi8ELi1ELi128ELi4ELi2ELi0EEviiiiiiPKT_S3_S3_PfPiPS1_i,comdat
.Lfunc_end335:
	.size	_Z11wvSplitKrc_I14__hip_bfloat16Li64ELi16ELi4ELi8ELi1ELi128ELi4ELi2ELi0EEviiiiiiPKT_S3_S3_PfPiPS1_i, .Lfunc_end335-_Z11wvSplitKrc_I14__hip_bfloat16Li64ELi16ELi4ELi8ELi1ELi128ELi4ELi2ELi0EEviiiiiiPKT_S3_S3_PfPiPS1_i
                                        ; -- End function
	.section	.AMDGPU.csdata,"",@progbits
; Kernel info:
; codeLenInByte = 68
; NumSgprs: 40
; NumVgprs: 40
; NumAgprs: 0
; TotalNumVgprs: 40
; ScratchSize: 64
; MemoryBound: 0
; FloatMode: 240
; IeeeMode: 1
; LDSByteSize: 0 bytes/workgroup (compile time only)
; SGPRBlocks: 4
; VGPRBlocks: 4
; NumSGPRsForWavesPerEU: 40
; NumVGPRsForWavesPerEU: 40
; AccumOffset: 40
; Occupancy: 8
; WaveLimiterHint : 1
; COMPUTE_PGM_RSRC2:SCRATCH_EN: 1
; COMPUTE_PGM_RSRC2:USER_SGPR: 2
; COMPUTE_PGM_RSRC2:TRAP_HANDLER: 0
; COMPUTE_PGM_RSRC2:TGID_X_EN: 1
; COMPUTE_PGM_RSRC2:TGID_Y_EN: 0
; COMPUTE_PGM_RSRC2:TGID_Z_EN: 0
; COMPUTE_PGM_RSRC2:TIDIG_COMP_CNT: 0
; COMPUTE_PGM_RSRC3_GFX90A:ACCUM_OFFSET: 9
; COMPUTE_PGM_RSRC3_GFX90A:TG_SPLIT: 0
	.section	.text._Z11wvSplitKrc_I14__hip_bfloat16Li64ELi16ELi4ELi8ELi1ELi128ELi4ELi1ELi1EEviiiiiiPKT_S3_S3_PfPiPS1_i,"axG",@progbits,_Z11wvSplitKrc_I14__hip_bfloat16Li64ELi16ELi4ELi8ELi1ELi128ELi4ELi1ELi1EEviiiiiiPKT_S3_S3_PfPiPS1_i,comdat
	.protected	_Z11wvSplitKrc_I14__hip_bfloat16Li64ELi16ELi4ELi8ELi1ELi128ELi4ELi1ELi1EEviiiiiiPKT_S3_S3_PfPiPS1_i ; -- Begin function _Z11wvSplitKrc_I14__hip_bfloat16Li64ELi16ELi4ELi8ELi1ELi128ELi4ELi1ELi1EEviiiiiiPKT_S3_S3_PfPiPS1_i
	.globl	_Z11wvSplitKrc_I14__hip_bfloat16Li64ELi16ELi4ELi8ELi1ELi128ELi4ELi1ELi1EEviiiiiiPKT_S3_S3_PfPiPS1_i
	.p2align	8
	.type	_Z11wvSplitKrc_I14__hip_bfloat16Li64ELi16ELi4ELi8ELi1ELi128ELi4ELi1ELi1EEviiiiiiPKT_S3_S3_PfPiPS1_i,@function
_Z11wvSplitKrc_I14__hip_bfloat16Li64ELi16ELi4ELi8ELi1ELi128ELi4ELi1ELi1EEviiiiiiPKT_S3_S3_PfPiPS1_i: ; @_Z11wvSplitKrc_I14__hip_bfloat16Li64ELi16ELi4ELi8ELi1ELi128ELi4ELi1ELi1EEviiiiiiPKT_S3_S3_PfPiPS1_i
; %bb.0:
	s_add_u32 s8, s0, 0x50
	s_addc_u32 s9, s1, 0
	s_getpc_b64 s[0:1]
	s_add_u32 s0, s0, __PRETTY_FUNCTION__._Z11wvSplitKrc_I14__hip_bfloat16Li64ELi16ELi4ELi8ELi1ELi128ELi4ELi1ELi1EEviiiiiiPKT_S3_S3_PfPiPS1_i@rel32@lo+4
	s_addc_u32 s1, s1, __PRETTY_FUNCTION__._Z11wvSplitKrc_I14__hip_bfloat16Li64ELi16ELi4ELi8ELi1ELi128ELi4ELi1ELi1EEviiiiiiPKT_S3_S3_PfPiPS1_i@rel32@hi+12
	v_mov_b32_e32 v0, s0
	v_mov_b32_e32 v1, s1
	s_mov_b32 s32, 0
	s_getpc_b64 s[2:3]
	s_add_u32 s2, s2, __assert_fail@rel32@lo+4
	s_addc_u32 s3, s3, __assert_fail@rel32@hi+12
	s_swappc_b64 s[30:31], s[2:3]
	.section	.rodata,"a",@progbits
	.p2align	6, 0x0
	.amdhsa_kernel _Z11wvSplitKrc_I14__hip_bfloat16Li64ELi16ELi4ELi8ELi1ELi128ELi4ELi1ELi1EEviiiiiiPKT_S3_S3_PfPiPS1_i
		.amdhsa_group_segment_fixed_size 0
		.amdhsa_private_segment_fixed_size 64
		.amdhsa_kernarg_size 336
		.amdhsa_user_sgpr_count 2
		.amdhsa_user_sgpr_dispatch_ptr 0
		.amdhsa_user_sgpr_queue_ptr 0
		.amdhsa_user_sgpr_kernarg_segment_ptr 1
		.amdhsa_user_sgpr_dispatch_id 0
		.amdhsa_user_sgpr_kernarg_preload_length 0
		.amdhsa_user_sgpr_kernarg_preload_offset 0
		.amdhsa_user_sgpr_private_segment_size 0
		.amdhsa_uses_dynamic_stack 0
		.amdhsa_enable_private_segment 1
		.amdhsa_system_sgpr_workgroup_id_x 1
		.amdhsa_system_sgpr_workgroup_id_y 0
		.amdhsa_system_sgpr_workgroup_id_z 0
		.amdhsa_system_sgpr_workgroup_info 0
		.amdhsa_system_vgpr_workitem_id 0
		.amdhsa_next_free_vgpr 40
		.amdhsa_next_free_sgpr 34
		.amdhsa_accum_offset 40
		.amdhsa_reserve_vcc 1
		.amdhsa_float_round_mode_32 0
		.amdhsa_float_round_mode_16_64 0
		.amdhsa_float_denorm_mode_32 3
		.amdhsa_float_denorm_mode_16_64 3
		.amdhsa_dx10_clamp 1
		.amdhsa_ieee_mode 1
		.amdhsa_fp16_overflow 0
		.amdhsa_tg_split 0
		.amdhsa_exception_fp_ieee_invalid_op 0
		.amdhsa_exception_fp_denorm_src 0
		.amdhsa_exception_fp_ieee_div_zero 0
		.amdhsa_exception_fp_ieee_overflow 0
		.amdhsa_exception_fp_ieee_underflow 0
		.amdhsa_exception_fp_ieee_inexact 0
		.amdhsa_exception_int_div_zero 0
	.end_amdhsa_kernel
	.section	.text._Z11wvSplitKrc_I14__hip_bfloat16Li64ELi16ELi4ELi8ELi1ELi128ELi4ELi1ELi1EEviiiiiiPKT_S3_S3_PfPiPS1_i,"axG",@progbits,_Z11wvSplitKrc_I14__hip_bfloat16Li64ELi16ELi4ELi8ELi1ELi128ELi4ELi1ELi1EEviiiiiiPKT_S3_S3_PfPiPS1_i,comdat
.Lfunc_end336:
	.size	_Z11wvSplitKrc_I14__hip_bfloat16Li64ELi16ELi4ELi8ELi1ELi128ELi4ELi1ELi1EEviiiiiiPKT_S3_S3_PfPiPS1_i, .Lfunc_end336-_Z11wvSplitKrc_I14__hip_bfloat16Li64ELi16ELi4ELi8ELi1ELi128ELi4ELi1ELi1EEviiiiiiPKT_S3_S3_PfPiPS1_i
                                        ; -- End function
	.section	.AMDGPU.csdata,"",@progbits
; Kernel info:
; codeLenInByte = 68
; NumSgprs: 40
; NumVgprs: 40
; NumAgprs: 0
; TotalNumVgprs: 40
; ScratchSize: 64
; MemoryBound: 0
; FloatMode: 240
; IeeeMode: 1
; LDSByteSize: 0 bytes/workgroup (compile time only)
; SGPRBlocks: 4
; VGPRBlocks: 4
; NumSGPRsForWavesPerEU: 40
; NumVGPRsForWavesPerEU: 40
; AccumOffset: 40
; Occupancy: 8
; WaveLimiterHint : 1
; COMPUTE_PGM_RSRC2:SCRATCH_EN: 1
; COMPUTE_PGM_RSRC2:USER_SGPR: 2
; COMPUTE_PGM_RSRC2:TRAP_HANDLER: 0
; COMPUTE_PGM_RSRC2:TGID_X_EN: 1
; COMPUTE_PGM_RSRC2:TGID_Y_EN: 0
; COMPUTE_PGM_RSRC2:TGID_Z_EN: 0
; COMPUTE_PGM_RSRC2:TIDIG_COMP_CNT: 0
; COMPUTE_PGM_RSRC3_GFX90A:ACCUM_OFFSET: 9
; COMPUTE_PGM_RSRC3_GFX90A:TG_SPLIT: 0
	.section	.text._Z11wvSplitKrc_I14__hip_bfloat16Li64ELi16ELi4ELi8ELi1ELi128ELi4ELi1ELi0EEviiiiiiPKT_S3_S3_PfPiPS1_i,"axG",@progbits,_Z11wvSplitKrc_I14__hip_bfloat16Li64ELi16ELi4ELi8ELi1ELi128ELi4ELi1ELi0EEviiiiiiPKT_S3_S3_PfPiPS1_i,comdat
	.protected	_Z11wvSplitKrc_I14__hip_bfloat16Li64ELi16ELi4ELi8ELi1ELi128ELi4ELi1ELi0EEviiiiiiPKT_S3_S3_PfPiPS1_i ; -- Begin function _Z11wvSplitKrc_I14__hip_bfloat16Li64ELi16ELi4ELi8ELi1ELi128ELi4ELi1ELi0EEviiiiiiPKT_S3_S3_PfPiPS1_i
	.globl	_Z11wvSplitKrc_I14__hip_bfloat16Li64ELi16ELi4ELi8ELi1ELi128ELi4ELi1ELi0EEviiiiiiPKT_S3_S3_PfPiPS1_i
	.p2align	8
	.type	_Z11wvSplitKrc_I14__hip_bfloat16Li64ELi16ELi4ELi8ELi1ELi128ELi4ELi1ELi0EEviiiiiiPKT_S3_S3_PfPiPS1_i,@function
_Z11wvSplitKrc_I14__hip_bfloat16Li64ELi16ELi4ELi8ELi1ELi128ELi4ELi1ELi0EEviiiiiiPKT_S3_S3_PfPiPS1_i: ; @_Z11wvSplitKrc_I14__hip_bfloat16Li64ELi16ELi4ELi8ELi1ELi128ELi4ELi1ELi0EEviiiiiiPKT_S3_S3_PfPiPS1_i
; %bb.0:
	s_add_u32 s8, s0, 0x50
	s_addc_u32 s9, s1, 0
	s_getpc_b64 s[0:1]
	s_add_u32 s0, s0, __PRETTY_FUNCTION__._Z11wvSplitKrc_I14__hip_bfloat16Li64ELi16ELi4ELi8ELi1ELi128ELi4ELi1ELi0EEviiiiiiPKT_S3_S3_PfPiPS1_i@rel32@lo+4
	s_addc_u32 s1, s1, __PRETTY_FUNCTION__._Z11wvSplitKrc_I14__hip_bfloat16Li64ELi16ELi4ELi8ELi1ELi128ELi4ELi1ELi0EEviiiiiiPKT_S3_S3_PfPiPS1_i@rel32@hi+12
	v_mov_b32_e32 v0, s0
	v_mov_b32_e32 v1, s1
	s_mov_b32 s32, 0
	s_getpc_b64 s[2:3]
	s_add_u32 s2, s2, __assert_fail@rel32@lo+4
	s_addc_u32 s3, s3, __assert_fail@rel32@hi+12
	s_swappc_b64 s[30:31], s[2:3]
	.section	.rodata,"a",@progbits
	.p2align	6, 0x0
	.amdhsa_kernel _Z11wvSplitKrc_I14__hip_bfloat16Li64ELi16ELi4ELi8ELi1ELi128ELi4ELi1ELi0EEviiiiiiPKT_S3_S3_PfPiPS1_i
		.amdhsa_group_segment_fixed_size 0
		.amdhsa_private_segment_fixed_size 64
		.amdhsa_kernarg_size 336
		.amdhsa_user_sgpr_count 2
		.amdhsa_user_sgpr_dispatch_ptr 0
		.amdhsa_user_sgpr_queue_ptr 0
		.amdhsa_user_sgpr_kernarg_segment_ptr 1
		.amdhsa_user_sgpr_dispatch_id 0
		.amdhsa_user_sgpr_kernarg_preload_length 0
		.amdhsa_user_sgpr_kernarg_preload_offset 0
		.amdhsa_user_sgpr_private_segment_size 0
		.amdhsa_uses_dynamic_stack 0
		.amdhsa_enable_private_segment 1
		.amdhsa_system_sgpr_workgroup_id_x 1
		.amdhsa_system_sgpr_workgroup_id_y 0
		.amdhsa_system_sgpr_workgroup_id_z 0
		.amdhsa_system_sgpr_workgroup_info 0
		.amdhsa_system_vgpr_workitem_id 0
		.amdhsa_next_free_vgpr 40
		.amdhsa_next_free_sgpr 34
		.amdhsa_accum_offset 40
		.amdhsa_reserve_vcc 1
		.amdhsa_float_round_mode_32 0
		.amdhsa_float_round_mode_16_64 0
		.amdhsa_float_denorm_mode_32 3
		.amdhsa_float_denorm_mode_16_64 3
		.amdhsa_dx10_clamp 1
		.amdhsa_ieee_mode 1
		.amdhsa_fp16_overflow 0
		.amdhsa_tg_split 0
		.amdhsa_exception_fp_ieee_invalid_op 0
		.amdhsa_exception_fp_denorm_src 0
		.amdhsa_exception_fp_ieee_div_zero 0
		.amdhsa_exception_fp_ieee_overflow 0
		.amdhsa_exception_fp_ieee_underflow 0
		.amdhsa_exception_fp_ieee_inexact 0
		.amdhsa_exception_int_div_zero 0
	.end_amdhsa_kernel
	.section	.text._Z11wvSplitKrc_I14__hip_bfloat16Li64ELi16ELi4ELi8ELi1ELi128ELi4ELi1ELi0EEviiiiiiPKT_S3_S3_PfPiPS1_i,"axG",@progbits,_Z11wvSplitKrc_I14__hip_bfloat16Li64ELi16ELi4ELi8ELi1ELi128ELi4ELi1ELi0EEviiiiiiPKT_S3_S3_PfPiPS1_i,comdat
.Lfunc_end337:
	.size	_Z11wvSplitKrc_I14__hip_bfloat16Li64ELi16ELi4ELi8ELi1ELi128ELi4ELi1ELi0EEviiiiiiPKT_S3_S3_PfPiPS1_i, .Lfunc_end337-_Z11wvSplitKrc_I14__hip_bfloat16Li64ELi16ELi4ELi8ELi1ELi128ELi4ELi1ELi0EEviiiiiiPKT_S3_S3_PfPiPS1_i
                                        ; -- End function
	.section	.AMDGPU.csdata,"",@progbits
; Kernel info:
; codeLenInByte = 68
; NumSgprs: 40
; NumVgprs: 40
; NumAgprs: 0
; TotalNumVgprs: 40
; ScratchSize: 64
; MemoryBound: 0
; FloatMode: 240
; IeeeMode: 1
; LDSByteSize: 0 bytes/workgroup (compile time only)
; SGPRBlocks: 4
; VGPRBlocks: 4
; NumSGPRsForWavesPerEU: 40
; NumVGPRsForWavesPerEU: 40
; AccumOffset: 40
; Occupancy: 8
; WaveLimiterHint : 1
; COMPUTE_PGM_RSRC2:SCRATCH_EN: 1
; COMPUTE_PGM_RSRC2:USER_SGPR: 2
; COMPUTE_PGM_RSRC2:TRAP_HANDLER: 0
; COMPUTE_PGM_RSRC2:TGID_X_EN: 1
; COMPUTE_PGM_RSRC2:TGID_Y_EN: 0
; COMPUTE_PGM_RSRC2:TGID_Z_EN: 0
; COMPUTE_PGM_RSRC2:TIDIG_COMP_CNT: 0
; COMPUTE_PGM_RSRC3_GFX90A:ACCUM_OFFSET: 9
; COMPUTE_PGM_RSRC3_GFX90A:TG_SPLIT: 0
	.section	.text._Z17wvSplitKQ_hf_sml_I6__halfN3c1013Float8_e4m3fnELi32ELi2ELi16ELi16ELi2ELi1EEviiiiiiPKT0_S5_PKT_PS6_PKfSB_ii,"axG",@progbits,_Z17wvSplitKQ_hf_sml_I6__halfN3c1013Float8_e4m3fnELi32ELi2ELi16ELi16ELi2ELi1EEviiiiiiPKT0_S5_PKT_PS6_PKfSB_ii,comdat
	.protected	_Z17wvSplitKQ_hf_sml_I6__halfN3c1013Float8_e4m3fnELi32ELi2ELi16ELi16ELi2ELi1EEviiiiiiPKT0_S5_PKT_PS6_PKfSB_ii ; -- Begin function _Z17wvSplitKQ_hf_sml_I6__halfN3c1013Float8_e4m3fnELi32ELi2ELi16ELi16ELi2ELi1EEviiiiiiPKT0_S5_PKT_PS6_PKfSB_ii
	.globl	_Z17wvSplitKQ_hf_sml_I6__halfN3c1013Float8_e4m3fnELi32ELi2ELi16ELi16ELi2ELi1EEviiiiiiPKT0_S5_PKT_PS6_PKfSB_ii
	.p2align	8
	.type	_Z17wvSplitKQ_hf_sml_I6__halfN3c1013Float8_e4m3fnELi32ELi2ELi16ELi16ELi2ELi1EEviiiiiiPKT0_S5_PKT_PS6_PKfSB_ii,@function
_Z17wvSplitKQ_hf_sml_I6__halfN3c1013Float8_e4m3fnELi32ELi2ELi16ELi16ELi2ELi1EEviiiiiiPKT0_S5_PKT_PS6_PKfSB_ii: ; @_Z17wvSplitKQ_hf_sml_I6__halfN3c1013Float8_e4m3fnELi32ELi2ELi16ELi16ELi2ELi1EEviiiiiiPKT0_S5_PKT_PS6_PKfSB_ii
; %bb.0:
	s_load_dwordx4 s[12:15], s[0:1], 0x0
	v_and_b32_e32 v4, 0x3ff, v0
	v_bfe_u32 v5, v0, 10, 10
	v_lshlrev_b32_e32 v40, 4, v4
	v_lshl_add_u32 v0, v5, 9, v40
	s_waitcnt lgkmcnt(0)
	s_min_u32 s3, s13, 0x10000
	v_cmp_gt_u32_e32 vcc, s3, v0
	s_and_saveexec_b64 s[4:5], vcc
	s_cbranch_execz .LBB338_9
; %bb.1:
	s_load_dwordx2 s[6:7], s[0:1], 0x20
	v_add_u32_e32 v1, 0x2000, v0
	v_cmp_gt_u32_e32 vcc, s3, v1
	s_waitcnt lgkmcnt(0)
	global_load_dwordx4 v[6:9], v0, s[6:7]
	s_waitcnt vmcnt(0)
	ds_write_b128 v0, v[6:9]
	s_and_saveexec_b64 s[8:9], vcc
	s_xor_b64 s[8:9], exec, s[8:9]
	s_cbranch_execz .LBB338_9
; %bb.2:
	v_mov_b32_e32 v1, 0
	v_lshl_add_u64 v[2:3], s[6:7], 0, v[0:1]
	v_add_co_u32_e32 v6, vcc, 0x2000, v2
	v_add_u32_e32 v1, 0x4000, v0
	s_nop 0
	v_addc_co_u32_e32 v7, vcc, 0, v3, vcc
	global_load_dwordx4 v[6:9], v[6:7], off
	v_cmp_gt_u32_e32 vcc, s3, v1
	s_waitcnt vmcnt(0)
	ds_write_b128 v0, v[6:9] offset:8192
	s_and_saveexec_b64 s[6:7], vcc
	s_xor_b64 s[6:7], exec, s[6:7]
	s_cbranch_execz .LBB338_9
; %bb.3:
	v_add_co_u32_e32 v6, vcc, 0x4000, v2
	v_add_u32_e32 v1, 0x6000, v0
	s_nop 0
	v_addc_co_u32_e32 v7, vcc, 0, v3, vcc
	global_load_dwordx4 v[6:9], v[6:7], off
	v_cmp_gt_u32_e32 vcc, s3, v1
	s_waitcnt vmcnt(0)
	ds_write_b128 v0, v[6:9] offset:16384
	s_and_saveexec_b64 s[6:7], vcc
	s_xor_b64 s[6:7], exec, s[6:7]
	s_cbranch_execz .LBB338_9
; %bb.4:
	;; [unrolled: 12-line block ×6, first 2 shown]
	v_add_co_u32_e32 v2, vcc, 0xe000, v2
	s_nop 1
	v_addc_co_u32_e32 v3, vcc, 0, v3, vcc
	global_load_dwordx4 v[6:9], v[2:3], off
	s_waitcnt vmcnt(0)
	ds_write_b128 v0, v[6:9] offset:57344
.LBB338_9:
	s_or_b64 exec, exec, s[4:5]
	s_load_dwordx2 s[18:19], s[0:1], 0x48
	;;#ASMSTART
	s_waitcnt vmcnt(0)
	;;#ASMEND
	s_waitcnt lgkmcnt(0)
	s_barrier
	v_cmp_gt_u32_e32 vcc, s18, v5
	s_and_saveexec_b64 s[4:5], vcc
	s_cbranch_execz .LBB338_27
; %bb.10:
	s_load_dword s13, s[0:1], 0x10
	s_mul_i32 s2, s2, s18
	v_add_lshl_u32 v32, s2, v5, 1
	v_cmp_gt_u32_e32 vcc, s15, v32
	s_and_b64 exec, exec, vcc
	s_cbranch_execz .LBB338_27
; %bb.11:
	v_mbcnt_lo_u32_b32 v0, -1, 0
	v_mbcnt_hi_u32_b32 v0, -1, v0
	v_and_b32_e32 v1, 63, v0
	v_cmp_lt_u32_e32 vcc, 43, v1
	s_load_dwordx8 s[4:11], s[0:1], 0x28
	s_load_dwordx2 s[16:17], s[0:1], 0x18
	v_cndmask_b32_e64 v2, 20, 0, vcc
	v_add_lshl_u32 v41, v2, v0, 2
	s_waitcnt lgkmcnt(0)
	v_cvt_f32_u32_e32 v2, s13
	v_cmp_lt_u32_e32 vcc, 23, v1
	s_cmp_lg_u32 s12, 0
	s_cselect_b64 s[2:3], -1, 0
	v_cndmask_b32_e64 v1, 40, 0, vcc
	v_add_lshl_u32 v42, v1, v0, 2
	v_rcp_iflag_f32_e32 v0, v2
	s_add_i32 s24, s12, -16
	s_add_i32 s25, s15, -1
	s_mul_i32 s18, s18, s19
	v_mul_f32_e32 v0, 0x4f7ffffe, v0
	v_cvt_u32_f32_e32 v0, v0
	s_cmp_lg_u64 s[4:5], 0
	s_load_dword s22, s[8:9], 0x0
	s_load_dword s23, s[10:11], 0x0
	s_cselect_b64 s[10:11], -1, 0
	s_lshl_b32 s26, s18, 1
	s_sub_i32 s18, 0, s13
	v_mul_lo_u32 v1, s18, v0
	v_mul_hi_u32 v1, v0, v1
	v_add_u32_e32 v43, v0, v1
	v_cndmask_b32_e64 v0, 0, 1, s[2:3]
	v_cmp_eq_u32_e64 s[0:1], 0, v4
	s_mov_b64 s[8:9], 0
	v_mov_b32_e32 v35, 0
	v_cmp_ne_u32_e64 s[2:3], 1, v0
	s_branch .LBB338_13
.LBB338_12:                             ;   in Loop: Header=BB338_13 Depth=1
	s_or_b64 exec, exec, s[18:19]
	v_add_u32_e32 v32, s26, v32
	v_cmp_le_u32_e32 vcc, s15, v32
	s_or_b64 s[8:9], vcc, s[8:9]
	s_andn2_b64 exec, exec, s[8:9]
	s_cbranch_execz .LBB338_27
.LBB338_13:                             ; =>This Loop Header: Depth=1
                                        ;     Child Loop BB338_17 Depth 2
	s_and_b64 vcc, exec, s[2:3]
	v_or_b32_e32 v44, 1, v32
	v_mov_b32_e32 v7, v35
	v_mov_b32_e32 v6, v35
	s_waitcnt vmcnt(1)
	v_mov_b32_e32 v5, v35
	v_mov_b32_e32 v4, v35
	s_waitcnt lgkmcnt(0)
	v_mov_b32_e32 v3, v35
	v_mov_b32_e32 v2, v35
	;; [unrolled: 1-line block ×4, first 2 shown]
	s_cbranch_vccnz .LBB338_20
; %bb.14:                               ;   in Loop: Header=BB338_13 Depth=1
	v_min_u32_e32 v0, s25, v32
	v_mul_lo_u32 v36, v0, s14
	v_or_b32_e32 v0, 1, v32
	v_min_u32_e32 v0, s25, v0
	v_mul_lo_u32 v38, v0, s14
	v_mov_b32_e32 v0, 0
	v_mov_b32_e32 v37, v35
	;; [unrolled: 1-line block ×3, first 2 shown]
	s_mov_b32 s27, 0
	v_mov_b32_e32 v1, v0
	v_mov_b32_e32 v2, v0
	;; [unrolled: 1-line block ×7, first 2 shown]
	s_branch .LBB338_17
.LBB338_15:                             ;   in Loop: Header=BB338_17 Depth=2
	s_or_b64 exec, exec, s[20:21]
.LBB338_16:                             ;   in Loop: Header=BB338_17 Depth=2
	s_or_b64 exec, exec, s[18:19]
	s_waitcnt vmcnt(3) lgkmcnt(0)
	v_mfma_f32_16x16x32_fp8_fp8 v[4:7], v[28:29], v[24:25], v[4:7]
	s_addk_i32 s27, 0x400
	s_cmp_ge_u32 s27, s12
	s_waitcnt vmcnt(2)
	v_mfma_f32_16x16x32_fp8_fp8 v[0:3], v[28:29], v[20:21], v[0:3]
	v_mfma_f32_16x16x32_fp8_fp8 v[4:7], v[30:31], v[26:27], v[4:7]
	;; [unrolled: 1-line block ×3, first 2 shown]
	s_waitcnt vmcnt(1)
	v_mfma_f32_16x16x32_fp8_fp8 v[4:7], v[12:13], v[16:17], v[4:7]
	s_waitcnt vmcnt(0)
	v_mfma_f32_16x16x32_fp8_fp8 v[0:3], v[12:13], v[8:9], v[0:3]
	v_mfma_f32_16x16x32_fp8_fp8 v[4:7], v[14:15], v[18:19], v[4:7]
	v_mfma_f32_16x16x32_fp8_fp8 v[0:3], v[14:15], v[10:11], v[0:3]
	s_cbranch_scc1 .LBB338_20
.LBB338_17:                             ;   Parent Loop BB338_13 Depth=1
                                        ; =>  This Inner Loop Header: Depth=2
	v_add_u32_e32 v33, s27, v40
	v_min_u32_e32 v34, s24, v33
	v_lshl_add_u64 v[8:9], s[16:17], 0, v[34:35]
	v_add_u32_e32 v45, 0x200, v33
	v_lshl_add_u64 v[10:11], v[8:9], 0, v[36:37]
	v_lshl_add_u64 v[8:9], v[8:9], 0, v[38:39]
	v_min_u32_e32 v34, s24, v45
	global_load_dwordx4 v[24:27], v[10:11], off nt
	global_load_dwordx4 v[20:23], v[8:9], off nt
	v_lshl_add_u64 v[8:9], s[16:17], 0, v[34:35]
	v_lshl_add_u64 v[12:13], v[8:9], 0, v[36:37]
	;; [unrolled: 1-line block ×3, first 2 shown]
	global_load_dwordx4 v[16:19], v[12:13], off nt
	global_load_dwordx4 v[8:11], v[14:15], off nt
	v_mov_b64_e32 v[28:29], 0
	v_cmp_gt_u32_e32 vcc, s12, v33
	v_mov_b64_e32 v[30:31], v[28:29]
	v_mov_b64_e32 v[12:13], v[28:29]
	;; [unrolled: 1-line block ×3, first 2 shown]
	s_and_saveexec_b64 s[18:19], vcc
	s_cbranch_execz .LBB338_16
; %bb.18:                               ;   in Loop: Header=BB338_17 Depth=2
	ds_read_b128 v[28:31], v33
	v_mov_b64_e32 v[14:15], 0
	v_cmp_gt_u32_e32 vcc, s12, v45
	v_mov_b64_e32 v[12:13], v[14:15]
	s_and_saveexec_b64 s[20:21], vcc
	s_cbranch_execz .LBB338_15
; %bb.19:                               ;   in Loop: Header=BB338_17 Depth=2
	ds_read_b128 v[12:15], v33 offset:512
	s_branch .LBB338_15
.LBB338_20:                             ;   in Loop: Header=BB338_13 Depth=1
	s_nop 4
	v_cvt_i32_f32_e32 v5, v5
	v_cvt_i32_f32_e32 v1, v1
	;; [unrolled: 1-line block ×6, first 2 shown]
	v_cvt_f32_i32_dpp v5, v5 row_shl:1 row_mask:0xf bank_mask:0xf bound_ctrl:1
	v_cvt_f32_i32_dpp v1, v1 row_shl:1 row_mask:0xf bank_mask:0xf bound_ctrl:1
	;; [unrolled: 1-line block ×6, first 2 shown]
	v_add_f32_e32 v4, v4, v5
	v_add_f32_e32 v0, v0, v1
	v_add_f32_e32 v4, v4, v6
	v_add_f32_e32 v0, v0, v2
	v_add_f32_e32 v4, v4, v7
	v_add_f32_e32 v2, v0, v3
	ds_bpermute_b32 v5, v41, v4
	ds_bpermute_b32 v3, v41, v2
	s_waitcnt lgkmcnt(0)
	v_add_f32_e32 v0, v4, v5
	v_add_f32_e32 v2, v2, v3
	ds_bpermute_b32 v1, v42, v0
	ds_bpermute_b32 v3, v42, v2
	s_and_saveexec_b64 s[18:19], s[0:1]
	s_cbranch_execz .LBB338_12
; %bb.21:                               ;   in Loop: Header=BB338_13 Depth=1
	s_and_b64 vcc, exec, s[10:11]
	s_cbranch_vccz .LBB338_26
; %bb.22:                               ;   in Loop: Header=BB338_13 Depth=1
	v_mul_hi_u32 v4, v32, v43
	v_mul_lo_u32 v4, v4, s13
	v_sub_u32_e32 v4, v32, v4
	v_subrev_u32_e32 v5, s13, v4
	v_cmp_le_u32_e32 vcc, s13, v4
	v_mov_b32_e32 v33, v35
	s_nop 0
	v_cndmask_b32_e32 v4, v4, v5, vcc
	v_subrev_u32_e32 v5, s13, v4
	v_cmp_le_u32_e32 vcc, s13, v4
	s_nop 1
	v_cndmask_b32_e32 v34, v4, v5, vcc
	v_or_b32_e32 v4, 1, v32
	v_mul_hi_u32 v5, v4, v43
	v_mul_lo_u32 v5, v5, s13
	v_sub_u32_e32 v5, v4, v5
	v_subrev_u32_e32 v6, s13, v5
	v_cmp_le_u32_e32 vcc, s13, v5
	v_lshl_add_u64 v[8:9], v[34:35], 1, s[4:5]
	s_nop 0
	v_cndmask_b32_e32 v5, v5, v6, vcc
	v_subrev_u32_e32 v6, s13, v5
	v_cmp_le_u32_e32 vcc, s13, v5
	s_nop 1
	v_cndmask_b32_e32 v34, v5, v6, vcc
	v_lshl_add_u64 v[10:11], v[34:35], 1, s[4:5]
	global_load_ushort v6, v[8:9], off
	global_load_ushort v5, v[10:11], off
	s_cbranch_execnz .LBB338_24
.LBB338_23:                             ;   in Loop: Header=BB338_13 Depth=1
	v_mov_b32_e32 v33, v35
	s_waitcnt vmcnt(0)
	v_mov_b32_e32 v5, 0
	v_mov_b32_e32 v4, v44
	;; [unrolled: 1-line block ×3, first 2 shown]
.LBB338_24:                             ;   in Loop: Header=BB338_13 Depth=1
	s_waitcnt lgkmcnt(1)
	v_add_f32_e32 v0, v0, v1
	v_mul_f32_e32 v0, s22, v0
	s_waitcnt vmcnt(1)
	v_fma_mixlo_f16 v6, s23, v0, v6 op_sel_hi:[0,0,1]
	v_lshl_add_u64 v[0:1], v[32:33], 1, s[6:7]
	v_cmp_gt_u32_e32 vcc, s15, v4
	global_store_short v[0:1], v6, off
	s_and_b64 exec, exec, vcc
	s_cbranch_execz .LBB338_12
; %bb.25:                               ;   in Loop: Header=BB338_13 Depth=1
	s_waitcnt lgkmcnt(0)
	v_add_f32_e32 v2, v2, v3
	v_mul_f32_e32 v2, s22, v2
	s_waitcnt vmcnt(1)
	v_fma_mixlo_f16 v2, s23, v2, v5 op_sel_hi:[0,0,1]
	global_store_short v[0:1], v2, off offset:2
	s_branch .LBB338_12
.LBB338_26:                             ;   in Loop: Header=BB338_13 Depth=1
                                        ; implicit-def: $vgpr6
                                        ; implicit-def: $vgpr5
                                        ; implicit-def: $vgpr4
	s_branch .LBB338_23
.LBB338_27:
	s_endpgm
	.section	.rodata,"a",@progbits
	.p2align	6, 0x0
	.amdhsa_kernel _Z17wvSplitKQ_hf_sml_I6__halfN3c1013Float8_e4m3fnELi32ELi2ELi16ELi16ELi2ELi1EEviiiiiiPKT0_S5_PKT_PS6_PKfSB_ii
		.amdhsa_group_segment_fixed_size 65536
		.amdhsa_private_segment_fixed_size 0
		.amdhsa_kernarg_size 80
		.amdhsa_user_sgpr_count 2
		.amdhsa_user_sgpr_dispatch_ptr 0
		.amdhsa_user_sgpr_queue_ptr 0
		.amdhsa_user_sgpr_kernarg_segment_ptr 1
		.amdhsa_user_sgpr_dispatch_id 0
		.amdhsa_user_sgpr_kernarg_preload_length 0
		.amdhsa_user_sgpr_kernarg_preload_offset 0
		.amdhsa_user_sgpr_private_segment_size 0
		.amdhsa_uses_dynamic_stack 0
		.amdhsa_enable_private_segment 0
		.amdhsa_system_sgpr_workgroup_id_x 1
		.amdhsa_system_sgpr_workgroup_id_y 0
		.amdhsa_system_sgpr_workgroup_id_z 0
		.amdhsa_system_sgpr_workgroup_info 0
		.amdhsa_system_vgpr_workitem_id 1
		.amdhsa_next_free_vgpr 46
		.amdhsa_next_free_sgpr 28
		.amdhsa_accum_offset 48
		.amdhsa_reserve_vcc 1
		.amdhsa_float_round_mode_32 0
		.amdhsa_float_round_mode_16_64 0
		.amdhsa_float_denorm_mode_32 3
		.amdhsa_float_denorm_mode_16_64 3
		.amdhsa_dx10_clamp 1
		.amdhsa_ieee_mode 1
		.amdhsa_fp16_overflow 0
		.amdhsa_tg_split 0
		.amdhsa_exception_fp_ieee_invalid_op 0
		.amdhsa_exception_fp_denorm_src 0
		.amdhsa_exception_fp_ieee_div_zero 0
		.amdhsa_exception_fp_ieee_overflow 0
		.amdhsa_exception_fp_ieee_underflow 0
		.amdhsa_exception_fp_ieee_inexact 0
		.amdhsa_exception_int_div_zero 0
	.end_amdhsa_kernel
	.section	.text._Z17wvSplitKQ_hf_sml_I6__halfN3c1013Float8_e4m3fnELi32ELi2ELi16ELi16ELi2ELi1EEviiiiiiPKT0_S5_PKT_PS6_PKfSB_ii,"axG",@progbits,_Z17wvSplitKQ_hf_sml_I6__halfN3c1013Float8_e4m3fnELi32ELi2ELi16ELi16ELi2ELi1EEviiiiiiPKT0_S5_PKT_PS6_PKfSB_ii,comdat
.Lfunc_end338:
	.size	_Z17wvSplitKQ_hf_sml_I6__halfN3c1013Float8_e4m3fnELi32ELi2ELi16ELi16ELi2ELi1EEviiiiiiPKT0_S5_PKT_PS6_PKfSB_ii, .Lfunc_end338-_Z17wvSplitKQ_hf_sml_I6__halfN3c1013Float8_e4m3fnELi32ELi2ELi16ELi16ELi2ELi1EEviiiiiiPKT0_S5_PKT_PS6_PKfSB_ii
                                        ; -- End function
	.section	.AMDGPU.csdata,"",@progbits
; Kernel info:
; codeLenInByte = 1648
; NumSgprs: 34
; NumVgprs: 46
; NumAgprs: 0
; TotalNumVgprs: 46
; ScratchSize: 0
; MemoryBound: 0
; FloatMode: 240
; IeeeMode: 1
; LDSByteSize: 65536 bytes/workgroup (compile time only)
; SGPRBlocks: 4
; VGPRBlocks: 5
; NumSGPRsForWavesPerEU: 34
; NumVGPRsForWavesPerEU: 46
; AccumOffset: 48
; Occupancy: 2
; WaveLimiterHint : 0
; COMPUTE_PGM_RSRC2:SCRATCH_EN: 0
; COMPUTE_PGM_RSRC2:USER_SGPR: 2
; COMPUTE_PGM_RSRC2:TRAP_HANDLER: 0
; COMPUTE_PGM_RSRC2:TGID_X_EN: 1
; COMPUTE_PGM_RSRC2:TGID_Y_EN: 0
; COMPUTE_PGM_RSRC2:TGID_Z_EN: 0
; COMPUTE_PGM_RSRC2:TIDIG_COMP_CNT: 1
; COMPUTE_PGM_RSRC3_GFX90A:ACCUM_OFFSET: 11
; COMPUTE_PGM_RSRC3_GFX90A:TG_SPLIT: 0
	.section	.text._Z13wvSplitKQ_hf_I6__halfN3c1013Float8_e4m3fnELi32ELi2ELi16ELi16ELi2ELi1EEviiiiiiPKT0_S5_PKT_PS6_PKfSB_ii,"axG",@progbits,_Z13wvSplitKQ_hf_I6__halfN3c1013Float8_e4m3fnELi32ELi2ELi16ELi16ELi2ELi1EEviiiiiiPKT0_S5_PKT_PS6_PKfSB_ii,comdat
	.protected	_Z13wvSplitKQ_hf_I6__halfN3c1013Float8_e4m3fnELi32ELi2ELi16ELi16ELi2ELi1EEviiiiiiPKT0_S5_PKT_PS6_PKfSB_ii ; -- Begin function _Z13wvSplitKQ_hf_I6__halfN3c1013Float8_e4m3fnELi32ELi2ELi16ELi16ELi2ELi1EEviiiiiiPKT0_S5_PKT_PS6_PKfSB_ii
	.globl	_Z13wvSplitKQ_hf_I6__halfN3c1013Float8_e4m3fnELi32ELi2ELi16ELi16ELi2ELi1EEviiiiiiPKT0_S5_PKT_PS6_PKfSB_ii
	.p2align	8
	.type	_Z13wvSplitKQ_hf_I6__halfN3c1013Float8_e4m3fnELi32ELi2ELi16ELi16ELi2ELi1EEviiiiiiPKT0_S5_PKT_PS6_PKfSB_ii,@function
_Z13wvSplitKQ_hf_I6__halfN3c1013Float8_e4m3fnELi32ELi2ELi16ELi16ELi2ELi1EEviiiiiiPKT0_S5_PKT_PS6_PKfSB_ii: ; @_Z13wvSplitKQ_hf_I6__halfN3c1013Float8_e4m3fnELi32ELi2ELi16ELi16ELi2ELi1EEviiiiiiPKT0_S5_PKT_PS6_PKfSB_ii
; %bb.0:
	s_load_dwordx4 s[12:15], s[0:1], 0x0
	s_load_dwordx2 s[16:17], s[0:1], 0x20
	v_and_b32_e32 v4, 0x3ff, v0
	v_bfe_u32 v5, v0, 10, 10
	v_lshlrev_b32_e32 v40, 4, v4
	v_lshl_add_u32 v0, v5, 9, v40
	s_waitcnt lgkmcnt(0)
	s_min_u32 s3, s13, 0x10000
	v_cmp_gt_u32_e32 vcc, s3, v0
	s_and_saveexec_b64 s[4:5], vcc
	s_cbranch_execz .LBB339_9
; %bb.1:
	global_load_dwordx4 v[6:9], v0, s[16:17]
	v_add_u32_e32 v1, 0x2000, v0
	v_cmp_gt_u32_e32 vcc, s3, v1
	s_waitcnt vmcnt(0)
	ds_write_b128 v0, v[6:9]
	s_and_saveexec_b64 s[6:7], vcc
	s_xor_b64 s[6:7], exec, s[6:7]
	s_cbranch_execz .LBB339_9
; %bb.2:
	v_mov_b32_e32 v1, 0
	v_lshl_add_u64 v[2:3], s[16:17], 0, v[0:1]
	v_add_co_u32_e32 v6, vcc, 0x2000, v2
	v_add_u32_e32 v1, 0x4000, v0
	s_nop 0
	v_addc_co_u32_e32 v7, vcc, 0, v3, vcc
	global_load_dwordx4 v[6:9], v[6:7], off
	v_cmp_gt_u32_e32 vcc, s3, v1
	s_waitcnt vmcnt(0)
	ds_write_b128 v0, v[6:9] offset:8192
	s_and_saveexec_b64 s[6:7], vcc
	s_xor_b64 s[6:7], exec, s[6:7]
	s_cbranch_execz .LBB339_9
; %bb.3:
	v_add_co_u32_e32 v6, vcc, 0x4000, v2
	v_add_u32_e32 v1, 0x6000, v0
	s_nop 0
	v_addc_co_u32_e32 v7, vcc, 0, v3, vcc
	global_load_dwordx4 v[6:9], v[6:7], off
	v_cmp_gt_u32_e32 vcc, s3, v1
	s_waitcnt vmcnt(0)
	ds_write_b128 v0, v[6:9] offset:16384
	s_and_saveexec_b64 s[6:7], vcc
	s_xor_b64 s[6:7], exec, s[6:7]
	s_cbranch_execz .LBB339_9
; %bb.4:
	;; [unrolled: 12-line block ×6, first 2 shown]
	v_add_co_u32_e32 v2, vcc, 0xe000, v2
	s_nop 1
	v_addc_co_u32_e32 v3, vcc, 0, v3, vcc
	global_load_dwordx4 v[6:9], v[2:3], off
	s_waitcnt vmcnt(0)
	ds_write_b128 v0, v[6:9] offset:57344
.LBB339_9:
	s_or_b64 exec, exec, s[4:5]
	s_load_dwordx2 s[20:21], s[0:1], 0x48
	;;#ASMSTART
	s_waitcnt vmcnt(0)
	;;#ASMEND
	s_waitcnt lgkmcnt(0)
	s_barrier
	v_cmp_gt_u32_e32 vcc, s20, v5
	s_and_saveexec_b64 s[4:5], vcc
	s_cbranch_execz .LBB339_35
; %bb.10:
	s_load_dword s13, s[0:1], 0x10
	s_mul_i32 s2, s2, s20
	v_add_lshl_u32 v32, s2, v5, 1
	v_cmp_gt_u32_e32 vcc, s15, v32
	s_and_b64 exec, exec, vcc
	s_cbranch_execz .LBB339_35
; %bb.11:
	v_mbcnt_lo_u32_b32 v0, -1, 0
	v_mbcnt_hi_u32_b32 v0, -1, v0
	v_and_b32_e32 v1, 63, v0
	v_cmp_lt_u32_e32 vcc, 43, v1
	s_load_dwordx8 s[4:11], s[0:1], 0x28
	s_load_dwordx2 s[18:19], s[0:1], 0x18
	v_cndmask_b32_e64 v2, 20, 0, vcc
	v_add_lshl_u32 v41, v2, v0, 2
	s_waitcnt lgkmcnt(0)
	v_cvt_f32_u32_e32 v2, s13
	v_cmp_lt_u32_e32 vcc, 23, v1
	s_cmp_lg_u32 s12, 0
	s_cselect_b64 s[2:3], -1, 0
	v_cndmask_b32_e64 v1, 40, 0, vcc
	v_add_lshl_u32 v42, v1, v0, 2
	v_rcp_iflag_f32_e32 v0, v2
	s_add_i32 s28, s12, -16
	s_add_i32 s29, s15, -1
	s_mul_i32 s20, s20, s21
	v_mul_f32_e32 v0, 0x4f7ffffe, v0
	v_cvt_u32_f32_e32 v0, v0
	s_cmp_lg_u64 s[4:5], 0
	s_load_dword s26, s[8:9], 0x0
	s_load_dword s27, s[10:11], 0x0
	s_cselect_b64 s[10:11], -1, 0
	s_lshl_b32 s30, s20, 1
	s_sub_i32 s20, 0, s13
	v_mul_lo_u32 v1, s20, v0
	v_mul_hi_u32 v1, v0, v1
	v_add_u32_e32 v43, v0, v1
	v_cndmask_b32_e64 v0, 0, 1, s[2:3]
	v_cmp_eq_u32_e64 s[0:1], 0, v4
	s_mov_b64 s[8:9], 0
	v_mov_b32_e32 v35, 0
	v_cmp_ne_u32_e64 s[2:3], 1, v0
	s_mov_b32 s31, 0xffff
	s_branch .LBB339_13
.LBB339_12:                             ;   in Loop: Header=BB339_13 Depth=1
	s_or_b64 exec, exec, s[20:21]
	v_add_u32_e32 v32, s30, v32
	v_cmp_le_u32_e32 vcc, s15, v32
	s_or_b64 s[8:9], vcc, s[8:9]
	s_andn2_b64 exec, exec, s[8:9]
	s_cbranch_execz .LBB339_35
.LBB339_13:                             ; =>This Loop Header: Depth=1
                                        ;     Child Loop BB339_18 Depth 2
	s_and_b64 vcc, exec, s[2:3]
	v_or_b32_e32 v44, 1, v32
	v_mov_b32_e32 v7, v35
	v_mov_b32_e32 v6, v35
	s_waitcnt vmcnt(1)
	v_mov_b32_e32 v5, v35
	v_mov_b32_e32 v4, v35
	s_waitcnt lgkmcnt(0)
	v_mov_b32_e32 v3, v35
	v_mov_b32_e32 v2, v35
	;; [unrolled: 1-line block ×4, first 2 shown]
	s_cbranch_vccnz .LBB339_28
; %bb.14:                               ;   in Loop: Header=BB339_13 Depth=1
	v_min_u32_e32 v0, s29, v32
	v_mul_lo_u32 v36, v0, s14
	v_or_b32_e32 v0, 1, v32
	v_min_u32_e32 v0, s29, v0
	v_mul_lo_u32 v38, v0, s14
	v_mov_b32_e32 v0, 0
	v_mov_b32_e32 v37, v35
	;; [unrolled: 1-line block ×3, first 2 shown]
	s_mov_b32 s33, 0
	v_mov_b32_e32 v1, v0
	v_mov_b32_e32 v2, v0
	;; [unrolled: 1-line block ×7, first 2 shown]
	s_branch .LBB339_18
.LBB339_15:                             ;   in Loop: Header=BB339_18 Depth=2
	s_or_b64 exec, exec, s[24:25]
.LBB339_16:                             ;   in Loop: Header=BB339_18 Depth=2
	s_or_b64 exec, exec, s[22:23]
.LBB339_17:                             ;   in Loop: Header=BB339_18 Depth=2
	s_or_b64 exec, exec, s[20:21]
	s_waitcnt vmcnt(0) lgkmcnt(0)
	v_mfma_f32_16x16x32_fp8_fp8 v[4:7], v[24:25], v[20:21], v[4:7]
	s_addk_i32 s33, 0x400
	s_cmp_ge_u32 s33, s12
	v_mfma_f32_16x16x32_fp8_fp8 v[0:3], v[24:25], v[16:17], v[0:3]
	v_mfma_f32_16x16x32_fp8_fp8 v[4:7], v[26:27], v[22:23], v[4:7]
	;; [unrolled: 1-line block ×7, first 2 shown]
	s_cbranch_scc1 .LBB339_28
.LBB339_18:                             ;   Parent Loop BB339_13 Depth=1
                                        ; =>  This Inner Loop Header: Depth=2
	v_add_u32_e32 v33, s33, v40
	v_min_u32_e32 v34, s28, v33
	v_lshl_add_u64 v[8:9], s[18:19], 0, v[34:35]
	v_add_u32_e32 v45, 0x200, v33
	v_lshl_add_u64 v[10:11], v[8:9], 0, v[36:37]
	v_lshl_add_u64 v[8:9], v[8:9], 0, v[38:39]
	v_min_u32_e32 v34, s28, v45
	global_load_dwordx4 v[20:23], v[10:11], off nt
	global_load_dwordx4 v[16:19], v[8:9], off nt
	v_lshl_add_u64 v[8:9], s[18:19], 0, v[34:35]
	v_lshl_add_u64 v[24:25], v[8:9], 0, v[36:37]
	;; [unrolled: 1-line block ×3, first 2 shown]
	global_load_dwordx4 v[12:15], v[24:25], off nt
	global_load_dwordx4 v[8:11], v[26:27], off nt
	v_mov_b64_e32 v[30:31], 0
	v_cmp_gt_u32_e32 vcc, s12, v33
	v_mov_b64_e32 v[28:29], v[30:31]
	v_mov_b64_e32 v[26:27], v[30:31]
	;; [unrolled: 1-line block ×3, first 2 shown]
	s_and_saveexec_b64 s[20:21], vcc
	s_cbranch_execz .LBB339_17
; %bb.19:                               ;   in Loop: Header=BB339_18 Depth=2
	v_cmp_lt_u32_e32 vcc, s31, v33
                                        ; implicit-def: $vgpr26_vgpr27
	s_and_saveexec_b64 s[22:23], vcc
	s_xor_b64 s[22:23], exec, s[22:23]
	s_cbranch_execz .LBB339_21
; %bb.20:                               ;   in Loop: Header=BB339_18 Depth=2
	global_load_dwordx4 v[24:27], v33, s[16:17]
.LBB339_21:                             ;   in Loop: Header=BB339_18 Depth=2
	s_andn2_saveexec_b64 s[22:23], s[22:23]
	s_cbranch_execz .LBB339_23
; %bb.22:                               ;   in Loop: Header=BB339_18 Depth=2
	s_waitcnt vmcnt(0)
	ds_read_b128 v[24:27], v33
.LBB339_23:                             ;   in Loop: Header=BB339_18 Depth=2
	s_or_b64 exec, exec, s[22:23]
	v_mov_b64_e32 v[30:31], 0
	v_cmp_gt_u32_e32 vcc, s12, v45
	v_mov_b64_e32 v[28:29], v[30:31]
	s_and_saveexec_b64 s[22:23], vcc
	s_cbranch_execz .LBB339_16
; %bb.24:                               ;   in Loop: Header=BB339_18 Depth=2
	v_cmp_lt_u32_e32 vcc, s31, v45
                                        ; implicit-def: $vgpr30_vgpr31
	s_and_saveexec_b64 s[24:25], vcc
	s_xor_b64 s[24:25], exec, s[24:25]
	s_cbranch_execz .LBB339_26
; %bb.25:                               ;   in Loop: Header=BB339_18 Depth=2
	global_load_dwordx4 v[28:31], v45, s[16:17]
                                        ; implicit-def: $vgpr33
.LBB339_26:                             ;   in Loop: Header=BB339_18 Depth=2
	s_andn2_saveexec_b64 s[24:25], s[24:25]
	s_cbranch_execz .LBB339_15
; %bb.27:                               ;   in Loop: Header=BB339_18 Depth=2
	s_waitcnt vmcnt(0)
	ds_read_b128 v[28:31], v33 offset:512
	s_branch .LBB339_15
.LBB339_28:                             ;   in Loop: Header=BB339_13 Depth=1
	s_nop 4
	v_cvt_i32_f32_e32 v5, v5
	v_cvt_i32_f32_e32 v1, v1
	;; [unrolled: 1-line block ×6, first 2 shown]
	v_cvt_f32_i32_dpp v5, v5 row_shl:1 row_mask:0xf bank_mask:0xf bound_ctrl:1
	v_cvt_f32_i32_dpp v1, v1 row_shl:1 row_mask:0xf bank_mask:0xf bound_ctrl:1
	;; [unrolled: 1-line block ×6, first 2 shown]
	v_add_f32_e32 v4, v4, v5
	v_add_f32_e32 v0, v0, v1
	;; [unrolled: 1-line block ×6, first 2 shown]
	ds_bpermute_b32 v5, v41, v4
	ds_bpermute_b32 v3, v41, v2
	s_waitcnt lgkmcnt(0)
	v_add_f32_e32 v0, v4, v5
	v_add_f32_e32 v2, v2, v3
	ds_bpermute_b32 v1, v42, v0
	ds_bpermute_b32 v3, v42, v2
	s_and_saveexec_b64 s[20:21], s[0:1]
	s_cbranch_execz .LBB339_12
; %bb.29:                               ;   in Loop: Header=BB339_13 Depth=1
	s_and_b64 vcc, exec, s[10:11]
	s_cbranch_vccz .LBB339_34
; %bb.30:                               ;   in Loop: Header=BB339_13 Depth=1
	v_mul_hi_u32 v4, v32, v43
	v_mul_lo_u32 v4, v4, s13
	v_sub_u32_e32 v4, v32, v4
	v_subrev_u32_e32 v5, s13, v4
	v_cmp_le_u32_e32 vcc, s13, v4
	v_mov_b32_e32 v33, v35
	s_nop 0
	v_cndmask_b32_e32 v4, v4, v5, vcc
	v_subrev_u32_e32 v5, s13, v4
	v_cmp_le_u32_e32 vcc, s13, v4
	s_nop 1
	v_cndmask_b32_e32 v34, v4, v5, vcc
	v_or_b32_e32 v4, 1, v32
	v_mul_hi_u32 v5, v4, v43
	v_mul_lo_u32 v5, v5, s13
	v_sub_u32_e32 v5, v4, v5
	v_subrev_u32_e32 v6, s13, v5
	v_cmp_le_u32_e32 vcc, s13, v5
	v_lshl_add_u64 v[8:9], v[34:35], 1, s[4:5]
	s_nop 0
	v_cndmask_b32_e32 v5, v5, v6, vcc
	v_subrev_u32_e32 v6, s13, v5
	v_cmp_le_u32_e32 vcc, s13, v5
	s_nop 1
	v_cndmask_b32_e32 v34, v5, v6, vcc
	v_lshl_add_u64 v[10:11], v[34:35], 1, s[4:5]
	global_load_ushort v6, v[8:9], off
	global_load_ushort v5, v[10:11], off
	s_cbranch_execnz .LBB339_32
.LBB339_31:                             ;   in Loop: Header=BB339_13 Depth=1
	v_mov_b32_e32 v33, v35
	s_waitcnt vmcnt(0)
	v_mov_b32_e32 v5, 0
	v_mov_b32_e32 v4, v44
	;; [unrolled: 1-line block ×3, first 2 shown]
.LBB339_32:                             ;   in Loop: Header=BB339_13 Depth=1
	s_waitcnt lgkmcnt(1)
	v_add_f32_e32 v0, v0, v1
	v_mul_f32_e32 v0, s26, v0
	s_waitcnt vmcnt(1)
	v_fma_mixlo_f16 v6, s27, v0, v6 op_sel_hi:[0,0,1]
	v_lshl_add_u64 v[0:1], v[32:33], 1, s[6:7]
	v_cmp_gt_u32_e32 vcc, s15, v4
	global_store_short v[0:1], v6, off
	s_and_b64 exec, exec, vcc
	s_cbranch_execz .LBB339_12
; %bb.33:                               ;   in Loop: Header=BB339_13 Depth=1
	s_waitcnt lgkmcnt(0)
	v_add_f32_e32 v2, v2, v3
	v_mul_f32_e32 v2, s26, v2
	s_waitcnt vmcnt(1)
	v_fma_mixlo_f16 v2, s27, v2, v5 op_sel_hi:[0,0,1]
	global_store_short v[0:1], v2, off offset:2
	s_branch .LBB339_12
.LBB339_34:                             ;   in Loop: Header=BB339_13 Depth=1
                                        ; implicit-def: $vgpr6
                                        ; implicit-def: $vgpr5
                                        ; implicit-def: $vgpr4
	s_branch .LBB339_31
.LBB339_35:
	s_endpgm
	.section	.rodata,"a",@progbits
	.p2align	6, 0x0
	.amdhsa_kernel _Z13wvSplitKQ_hf_I6__halfN3c1013Float8_e4m3fnELi32ELi2ELi16ELi16ELi2ELi1EEviiiiiiPKT0_S5_PKT_PS6_PKfSB_ii
		.amdhsa_group_segment_fixed_size 65536
		.amdhsa_private_segment_fixed_size 0
		.amdhsa_kernarg_size 80
		.amdhsa_user_sgpr_count 2
		.amdhsa_user_sgpr_dispatch_ptr 0
		.amdhsa_user_sgpr_queue_ptr 0
		.amdhsa_user_sgpr_kernarg_segment_ptr 1
		.amdhsa_user_sgpr_dispatch_id 0
		.amdhsa_user_sgpr_kernarg_preload_length 0
		.amdhsa_user_sgpr_kernarg_preload_offset 0
		.amdhsa_user_sgpr_private_segment_size 0
		.amdhsa_uses_dynamic_stack 0
		.amdhsa_enable_private_segment 0
		.amdhsa_system_sgpr_workgroup_id_x 1
		.amdhsa_system_sgpr_workgroup_id_y 0
		.amdhsa_system_sgpr_workgroup_id_z 0
		.amdhsa_system_sgpr_workgroup_info 0
		.amdhsa_system_vgpr_workitem_id 1
		.amdhsa_next_free_vgpr 46
		.amdhsa_next_free_sgpr 34
		.amdhsa_accum_offset 48
		.amdhsa_reserve_vcc 1
		.amdhsa_float_round_mode_32 0
		.amdhsa_float_round_mode_16_64 0
		.amdhsa_float_denorm_mode_32 3
		.amdhsa_float_denorm_mode_16_64 3
		.amdhsa_dx10_clamp 1
		.amdhsa_ieee_mode 1
		.amdhsa_fp16_overflow 0
		.amdhsa_tg_split 0
		.amdhsa_exception_fp_ieee_invalid_op 0
		.amdhsa_exception_fp_denorm_src 0
		.amdhsa_exception_fp_ieee_div_zero 0
		.amdhsa_exception_fp_ieee_overflow 0
		.amdhsa_exception_fp_ieee_underflow 0
		.amdhsa_exception_fp_ieee_inexact 0
		.amdhsa_exception_int_div_zero 0
	.end_amdhsa_kernel
	.section	.text._Z13wvSplitKQ_hf_I6__halfN3c1013Float8_e4m3fnELi32ELi2ELi16ELi16ELi2ELi1EEviiiiiiPKT0_S5_PKT_PS6_PKfSB_ii,"axG",@progbits,_Z13wvSplitKQ_hf_I6__halfN3c1013Float8_e4m3fnELi32ELi2ELi16ELi16ELi2ELi1EEviiiiiiPKT0_S5_PKT_PS6_PKfSB_ii,comdat
.Lfunc_end339:
	.size	_Z13wvSplitKQ_hf_I6__halfN3c1013Float8_e4m3fnELi32ELi2ELi16ELi16ELi2ELi1EEviiiiiiPKT0_S5_PKT_PS6_PKfSB_ii, .Lfunc_end339-_Z13wvSplitKQ_hf_I6__halfN3c1013Float8_e4m3fnELi32ELi2ELi16ELi16ELi2ELi1EEviiiiiiPKT0_S5_PKT_PS6_PKfSB_ii
                                        ; -- End function
	.section	.AMDGPU.csdata,"",@progbits
; Kernel info:
; codeLenInByte = 1720
; NumSgprs: 40
; NumVgprs: 46
; NumAgprs: 0
; TotalNumVgprs: 46
; ScratchSize: 0
; MemoryBound: 1
; FloatMode: 240
; IeeeMode: 1
; LDSByteSize: 65536 bytes/workgroup (compile time only)
; SGPRBlocks: 4
; VGPRBlocks: 5
; NumSGPRsForWavesPerEU: 40
; NumVGPRsForWavesPerEU: 46
; AccumOffset: 48
; Occupancy: 2
; WaveLimiterHint : 0
; COMPUTE_PGM_RSRC2:SCRATCH_EN: 0
; COMPUTE_PGM_RSRC2:USER_SGPR: 2
; COMPUTE_PGM_RSRC2:TRAP_HANDLER: 0
; COMPUTE_PGM_RSRC2:TGID_X_EN: 1
; COMPUTE_PGM_RSRC2:TGID_Y_EN: 0
; COMPUTE_PGM_RSRC2:TGID_Z_EN: 0
; COMPUTE_PGM_RSRC2:TIDIG_COMP_CNT: 1
; COMPUTE_PGM_RSRC3_GFX90A:ACCUM_OFFSET: 11
; COMPUTE_PGM_RSRC3_GFX90A:TG_SPLIT: 0
	.section	.text._Z17wvSplitKQ_hf_sml_I6__halfN3c1013Float8_e4m3fnELi64ELi2ELi16ELi16ELi2ELi1EEviiiiiiPKT0_S5_PKT_PS6_PKfSB_ii,"axG",@progbits,_Z17wvSplitKQ_hf_sml_I6__halfN3c1013Float8_e4m3fnELi64ELi2ELi16ELi16ELi2ELi1EEviiiiiiPKT0_S5_PKT_PS6_PKfSB_ii,comdat
	.protected	_Z17wvSplitKQ_hf_sml_I6__halfN3c1013Float8_e4m3fnELi64ELi2ELi16ELi16ELi2ELi1EEviiiiiiPKT0_S5_PKT_PS6_PKfSB_ii ; -- Begin function _Z17wvSplitKQ_hf_sml_I6__halfN3c1013Float8_e4m3fnELi64ELi2ELi16ELi16ELi2ELi1EEviiiiiiPKT0_S5_PKT_PS6_PKfSB_ii
	.globl	_Z17wvSplitKQ_hf_sml_I6__halfN3c1013Float8_e4m3fnELi64ELi2ELi16ELi16ELi2ELi1EEviiiiiiPKT0_S5_PKT_PS6_PKfSB_ii
	.p2align	8
	.type	_Z17wvSplitKQ_hf_sml_I6__halfN3c1013Float8_e4m3fnELi64ELi2ELi16ELi16ELi2ELi1EEviiiiiiPKT0_S5_PKT_PS6_PKfSB_ii,@function
_Z17wvSplitKQ_hf_sml_I6__halfN3c1013Float8_e4m3fnELi64ELi2ELi16ELi16ELi2ELi1EEviiiiiiPKT0_S5_PKT_PS6_PKfSB_ii: ; @_Z17wvSplitKQ_hf_sml_I6__halfN3c1013Float8_e4m3fnELi64ELi2ELi16ELi16ELi2ELi1EEviiiiiiPKT0_S5_PKT_PS6_PKfSB_ii
; %bb.0:
	s_load_dwordx4 s[4:7], s[0:1], 0x0
	s_load_dword s22, s[0:1], 0x10
	s_load_dwordx4 s[8:11], s[0:1], 0x38
	s_load_dwordx2 s[12:13], s[0:1], 0x28
	v_and_b32_e32 v2, 0x3ff, v0
	v_bfe_u32 v3, v0, 10, 10
	v_lshlrev_b32_e32 v32, 4, v2
	v_lshl_add_u32 v4, v3, 10, v32
	s_waitcnt lgkmcnt(0)
	s_min_u32 s3, s5, 0x10000
	v_cmp_gt_u32_e32 vcc, s3, v4
	s_and_saveexec_b64 s[14:15], vcc
	s_cbranch_execz .LBB340_3
; %bb.1:
	s_load_dwordx2 s[16:17], s[0:1], 0x20
	v_mov_b32_e32 v1, 0
	v_lshlrev_b32_e32 v0, 10, v3
	v_mov_b32_e32 v33, v1
	v_lshl_add_u64 v[0:1], v[0:1], 0, v[32:33]
	s_waitcnt lgkmcnt(0)
	v_lshl_add_u64 v[0:1], s[16:17], 0, v[0:1]
	s_mov_b64 s[16:17], 0
	s_mov_b64 s[18:19], 0x4000
.LBB340_2:                              ; =>This Inner Loop Header: Depth=1
	global_load_dwordx4 v[6:9], v[0:1], off
	v_lshl_add_u64 v[0:1], v[0:1], 0, s[18:19]
	s_waitcnt vmcnt(0)
	ds_write_b128 v4, v[6:9]
	v_add_u32_e32 v4, 0x4000, v4
	v_cmp_le_u32_e32 vcc, s3, v4
	s_or_b64 s[16:17], vcc, s[16:17]
	s_andn2_b64 exec, exec, s[16:17]
	s_cbranch_execnz .LBB340_2
.LBB340_3:
	s_or_b64 exec, exec, s[14:15]
	s_load_dwordx2 s[18:19], s[0:1], 0x48
	;;#ASMSTART
	s_waitcnt vmcnt(0)
	;;#ASMEND
	s_waitcnt lgkmcnt(0)
	s_barrier
	v_cmp_gt_u32_e32 vcc, s18, v3
	s_and_saveexec_b64 s[14:15], vcc
	s_cbranch_execz .LBB340_21
; %bb.4:
	s_mul_i32 s2, s2, s18
	v_add_lshl_u32 v34, s2, v3, 1
	v_cmp_gt_u32_e32 vcc, s7, v34
	s_and_b64 exec, exec, vcc
	s_cbranch_execz .LBB340_21
; %bb.5:
	v_mbcnt_lo_u32_b32 v0, -1, 0
	v_mbcnt_hi_u32_b32 v0, -1, v0
	v_and_b32_e32 v1, 63, v0
	v_cmp_lt_u32_e32 vcc, 43, v1
	s_cmp_lg_u32 s4, 0
	s_load_dword s5, s[8:9], 0x0
	s_load_dword s23, s[10:11], 0x0
	s_load_dwordx2 s[14:15], s[0:1], 0x18
	s_load_dwordx2 s[16:17], s[0:1], 0x30
	v_cndmask_b32_e64 v3, 20, 0, vcc
	v_add_lshl_u32 v33, v3, v0, 2
	v_cvt_f32_u32_e32 v3, s22
	v_cmp_lt_u32_e32 vcc, 23, v1
	s_cselect_b64 s[2:3], -1, 0
	s_add_i32 s24, s4, -16
	v_cndmask_b32_e64 v1, 40, 0, vcc
	v_add_lshl_u32 v42, v1, v0, 2
	v_rcp_iflag_f32_e32 v0, v3
	s_add_i32 s25, s7, -1
	s_mul_i32 s18, s18, s19
	s_cmp_lg_u64 s[12:13], 0
	v_mul_f32_e32 v0, 0x4f7ffffe, v0
	v_cvt_u32_f32_e32 v0, v0
	s_cselect_b64 s[10:11], -1, 0
	s_lshl_b32 s26, s18, 1
	s_sub_i32 s18, 0, s22
	v_mul_lo_u32 v1, s18, v0
	v_mul_hi_u32 v1, v0, v1
	v_add_u32_e32 v43, v0, v1
	v_cndmask_b32_e64 v0, 0, 1, s[2:3]
	v_cmp_eq_u32_e64 s[0:1], 0, v2
	s_mov_b64 s[8:9], 0
	v_mov_b32_e32 v37, 0
	v_cmp_ne_u32_e64 s[2:3], 1, v0
	s_branch .LBB340_7
.LBB340_6:                              ;   in Loop: Header=BB340_7 Depth=1
	s_or_b64 exec, exec, s[18:19]
	v_add_u32_e32 v34, s26, v34
	v_cmp_le_u32_e32 vcc, s7, v34
	s_or_b64 s[8:9], vcc, s[8:9]
	s_andn2_b64 exec, exec, s[8:9]
	s_cbranch_execz .LBB340_21
.LBB340_7:                              ; =>This Loop Header: Depth=1
                                        ;     Child Loop BB340_11 Depth 2
	s_and_b64 vcc, exec, s[2:3]
	v_or_b32_e32 v44, 1, v34
	v_mov_b32_e32 v7, v37
	v_mov_b32_e32 v6, v37
	s_waitcnt vmcnt(1)
	v_mov_b32_e32 v5, v37
	v_mov_b32_e32 v4, v37
	s_waitcnt lgkmcnt(0)
	v_mov_b32_e32 v3, v37
	v_mov_b32_e32 v2, v37
	;; [unrolled: 1-line block ×4, first 2 shown]
	s_cbranch_vccnz .LBB340_14
; %bb.8:                                ;   in Loop: Header=BB340_7 Depth=1
	v_min_u32_e32 v0, s25, v34
	v_mul_lo_u32 v38, v0, s6
	v_or_b32_e32 v0, 1, v34
	v_min_u32_e32 v0, s25, v0
	v_mul_lo_u32 v40, v0, s6
	v_mov_b32_e32 v0, 0
	v_mov_b32_e32 v39, v37
	;; [unrolled: 1-line block ×3, first 2 shown]
	s_mov_b32 s27, 0
	v_mov_b32_e32 v1, v0
	v_mov_b32_e32 v2, v0
	;; [unrolled: 1-line block ×7, first 2 shown]
	s_branch .LBB340_11
.LBB340_9:                              ;   in Loop: Header=BB340_11 Depth=2
	s_or_b64 exec, exec, s[20:21]
.LBB340_10:                             ;   in Loop: Header=BB340_11 Depth=2
	s_or_b64 exec, exec, s[18:19]
	s_waitcnt vmcnt(3) lgkmcnt(0)
	v_mfma_f32_16x16x32_fp8_fp8 v[4:7], v[28:29], v[24:25], v[4:7]
	s_addk_i32 s27, 0x800
	s_cmp_ge_u32 s27, s4
	s_waitcnt vmcnt(2)
	v_mfma_f32_16x16x32_fp8_fp8 v[0:3], v[28:29], v[20:21], v[0:3]
	v_mfma_f32_16x16x32_fp8_fp8 v[4:7], v[30:31], v[26:27], v[4:7]
	;; [unrolled: 1-line block ×3, first 2 shown]
	s_waitcnt vmcnt(1)
	v_mfma_f32_16x16x32_fp8_fp8 v[4:7], v[12:13], v[16:17], v[4:7]
	s_waitcnt vmcnt(0)
	v_mfma_f32_16x16x32_fp8_fp8 v[0:3], v[12:13], v[8:9], v[0:3]
	v_mfma_f32_16x16x32_fp8_fp8 v[4:7], v[14:15], v[18:19], v[4:7]
	;; [unrolled: 1-line block ×3, first 2 shown]
	s_cbranch_scc1 .LBB340_14
.LBB340_11:                             ;   Parent Loop BB340_7 Depth=1
                                        ; =>  This Inner Loop Header: Depth=2
	v_add_u32_e32 v35, s27, v32
	v_min_u32_e32 v36, s24, v35
	s_waitcnt lgkmcnt(0)
	v_lshl_add_u64 v[8:9], s[14:15], 0, v[36:37]
	v_add_u32_e32 v45, 0x400, v35
	v_lshl_add_u64 v[10:11], v[8:9], 0, v[38:39]
	v_lshl_add_u64 v[8:9], v[8:9], 0, v[40:41]
	v_min_u32_e32 v36, s24, v45
	global_load_dwordx4 v[24:27], v[10:11], off nt
	global_load_dwordx4 v[20:23], v[8:9], off nt
	v_lshl_add_u64 v[8:9], s[14:15], 0, v[36:37]
	v_lshl_add_u64 v[12:13], v[8:9], 0, v[38:39]
	;; [unrolled: 1-line block ×3, first 2 shown]
	global_load_dwordx4 v[16:19], v[12:13], off nt
	global_load_dwordx4 v[8:11], v[14:15], off nt
	v_mov_b64_e32 v[28:29], 0
	v_cmp_gt_u32_e32 vcc, s4, v35
	v_mov_b64_e32 v[30:31], v[28:29]
	v_mov_b64_e32 v[12:13], v[28:29]
	;; [unrolled: 1-line block ×3, first 2 shown]
	s_and_saveexec_b64 s[18:19], vcc
	s_cbranch_execz .LBB340_10
; %bb.12:                               ;   in Loop: Header=BB340_11 Depth=2
	ds_read_b128 v[28:31], v35
	v_mov_b64_e32 v[14:15], 0
	v_cmp_gt_u32_e32 vcc, s4, v45
	v_mov_b64_e32 v[12:13], v[14:15]
	s_and_saveexec_b64 s[20:21], vcc
	s_cbranch_execz .LBB340_9
; %bb.13:                               ;   in Loop: Header=BB340_11 Depth=2
	ds_read_b128 v[12:15], v35 offset:1024
	s_branch .LBB340_9
.LBB340_14:                             ;   in Loop: Header=BB340_7 Depth=1
	s_nop 4
	v_cvt_i32_f32_e32 v5, v5
	v_cvt_i32_f32_e32 v1, v1
	;; [unrolled: 1-line block ×6, first 2 shown]
	v_cvt_f32_i32_dpp v5, v5 row_shl:1 row_mask:0xf bank_mask:0xf bound_ctrl:1
	v_cvt_f32_i32_dpp v1, v1 row_shl:1 row_mask:0xf bank_mask:0xf bound_ctrl:1
	;; [unrolled: 1-line block ×6, first 2 shown]
	v_add_f32_e32 v4, v4, v5
	v_add_f32_e32 v0, v0, v1
	;; [unrolled: 1-line block ×6, first 2 shown]
	ds_bpermute_b32 v5, v33, v4
	ds_bpermute_b32 v3, v33, v2
	s_waitcnt lgkmcnt(0)
	v_add_f32_e32 v0, v4, v5
	v_add_f32_e32 v2, v2, v3
	ds_bpermute_b32 v1, v42, v0
	ds_bpermute_b32 v3, v42, v2
	s_and_saveexec_b64 s[18:19], s[0:1]
	s_cbranch_execz .LBB340_6
; %bb.15:                               ;   in Loop: Header=BB340_7 Depth=1
	s_and_b64 vcc, exec, s[10:11]
	s_cbranch_vccz .LBB340_20
; %bb.16:                               ;   in Loop: Header=BB340_7 Depth=1
	v_mul_hi_u32 v4, v34, v43
	v_mul_lo_u32 v4, v4, s22
	v_sub_u32_e32 v4, v34, v4
	v_subrev_u32_e32 v5, s22, v4
	v_cmp_le_u32_e32 vcc, s22, v4
	v_mov_b32_e32 v35, v37
	s_nop 0
	v_cndmask_b32_e32 v4, v4, v5, vcc
	v_subrev_u32_e32 v5, s22, v4
	v_cmp_le_u32_e32 vcc, s22, v4
	s_nop 1
	v_cndmask_b32_e32 v36, v4, v5, vcc
	v_or_b32_e32 v4, 1, v34
	v_mul_hi_u32 v5, v4, v43
	v_mul_lo_u32 v5, v5, s22
	v_sub_u32_e32 v5, v4, v5
	v_subrev_u32_e32 v6, s22, v5
	v_cmp_le_u32_e32 vcc, s22, v5
	v_lshl_add_u64 v[8:9], v[36:37], 1, s[12:13]
	s_nop 0
	v_cndmask_b32_e32 v5, v5, v6, vcc
	v_subrev_u32_e32 v6, s22, v5
	v_cmp_le_u32_e32 vcc, s22, v5
	s_nop 1
	v_cndmask_b32_e32 v36, v5, v6, vcc
	v_lshl_add_u64 v[10:11], v[36:37], 1, s[12:13]
	global_load_ushort v6, v[8:9], off
	global_load_ushort v5, v[10:11], off
	s_cbranch_execnz .LBB340_18
.LBB340_17:                             ;   in Loop: Header=BB340_7 Depth=1
	v_mov_b32_e32 v35, v37
	s_waitcnt vmcnt(0)
	v_mov_b32_e32 v5, 0
	v_mov_b32_e32 v4, v44
	v_mov_b32_e32 v6, 0
.LBB340_18:                             ;   in Loop: Header=BB340_7 Depth=1
	s_waitcnt lgkmcnt(1)
	v_add_f32_e32 v0, v0, v1
	v_mul_f32_e32 v0, s5, v0
	s_waitcnt vmcnt(1)
	v_fma_mixlo_f16 v6, s23, v0, v6 op_sel_hi:[0,0,1]
	v_lshl_add_u64 v[0:1], v[34:35], 1, s[16:17]
	v_cmp_gt_u32_e32 vcc, s7, v4
	global_store_short v[0:1], v6, off
	s_and_b64 exec, exec, vcc
	s_cbranch_execz .LBB340_6
; %bb.19:                               ;   in Loop: Header=BB340_7 Depth=1
	s_waitcnt lgkmcnt(0)
	v_add_f32_e32 v2, v2, v3
	v_mul_f32_e32 v2, s5, v2
	s_waitcnt vmcnt(1)
	v_fma_mixlo_f16 v2, s23, v2, v5 op_sel_hi:[0,0,1]
	global_store_short v[0:1], v2, off offset:2
	s_branch .LBB340_6
.LBB340_20:                             ;   in Loop: Header=BB340_7 Depth=1
                                        ; implicit-def: $vgpr6
                                        ; implicit-def: $vgpr5
                                        ; implicit-def: $vgpr4
	s_branch .LBB340_17
.LBB340_21:
	s_endpgm
	.section	.rodata,"a",@progbits
	.p2align	6, 0x0
	.amdhsa_kernel _Z17wvSplitKQ_hf_sml_I6__halfN3c1013Float8_e4m3fnELi64ELi2ELi16ELi16ELi2ELi1EEviiiiiiPKT0_S5_PKT_PS6_PKfSB_ii
		.amdhsa_group_segment_fixed_size 65536
		.amdhsa_private_segment_fixed_size 0
		.amdhsa_kernarg_size 80
		.amdhsa_user_sgpr_count 2
		.amdhsa_user_sgpr_dispatch_ptr 0
		.amdhsa_user_sgpr_queue_ptr 0
		.amdhsa_user_sgpr_kernarg_segment_ptr 1
		.amdhsa_user_sgpr_dispatch_id 0
		.amdhsa_user_sgpr_kernarg_preload_length 0
		.amdhsa_user_sgpr_kernarg_preload_offset 0
		.amdhsa_user_sgpr_private_segment_size 0
		.amdhsa_uses_dynamic_stack 0
		.amdhsa_enable_private_segment 0
		.amdhsa_system_sgpr_workgroup_id_x 1
		.amdhsa_system_sgpr_workgroup_id_y 0
		.amdhsa_system_sgpr_workgroup_id_z 0
		.amdhsa_system_sgpr_workgroup_info 0
		.amdhsa_system_vgpr_workitem_id 1
		.amdhsa_next_free_vgpr 46
		.amdhsa_next_free_sgpr 28
		.amdhsa_accum_offset 48
		.amdhsa_reserve_vcc 1
		.amdhsa_float_round_mode_32 0
		.amdhsa_float_round_mode_16_64 0
		.amdhsa_float_denorm_mode_32 3
		.amdhsa_float_denorm_mode_16_64 3
		.amdhsa_dx10_clamp 1
		.amdhsa_ieee_mode 1
		.amdhsa_fp16_overflow 0
		.amdhsa_tg_split 0
		.amdhsa_exception_fp_ieee_invalid_op 0
		.amdhsa_exception_fp_denorm_src 0
		.amdhsa_exception_fp_ieee_div_zero 0
		.amdhsa_exception_fp_ieee_overflow 0
		.amdhsa_exception_fp_ieee_underflow 0
		.amdhsa_exception_fp_ieee_inexact 0
		.amdhsa_exception_int_div_zero 0
	.end_amdhsa_kernel
	.section	.text._Z17wvSplitKQ_hf_sml_I6__halfN3c1013Float8_e4m3fnELi64ELi2ELi16ELi16ELi2ELi1EEviiiiiiPKT0_S5_PKT_PS6_PKfSB_ii,"axG",@progbits,_Z17wvSplitKQ_hf_sml_I6__halfN3c1013Float8_e4m3fnELi64ELi2ELi16ELi16ELi2ELi1EEviiiiiiPKT0_S5_PKT_PS6_PKfSB_ii,comdat
.Lfunc_end340:
	.size	_Z17wvSplitKQ_hf_sml_I6__halfN3c1013Float8_e4m3fnELi64ELi2ELi16ELi16ELi2ELi1EEviiiiiiPKT0_S5_PKT_PS6_PKfSB_ii, .Lfunc_end340-_Z17wvSplitKQ_hf_sml_I6__halfN3c1013Float8_e4m3fnELi64ELi2ELi16ELi16ELi2ELi1EEviiiiiiPKT0_S5_PKT_PS6_PKfSB_ii
                                        ; -- End function
	.section	.AMDGPU.csdata,"",@progbits
; Kernel info:
; codeLenInByte = 1304
; NumSgprs: 34
; NumVgprs: 46
; NumAgprs: 0
; TotalNumVgprs: 46
; ScratchSize: 0
; MemoryBound: 0
; FloatMode: 240
; IeeeMode: 1
; LDSByteSize: 65536 bytes/workgroup (compile time only)
; SGPRBlocks: 4
; VGPRBlocks: 5
; NumSGPRsForWavesPerEU: 34
; NumVGPRsForWavesPerEU: 46
; AccumOffset: 48
; Occupancy: 4
; WaveLimiterHint : 0
; COMPUTE_PGM_RSRC2:SCRATCH_EN: 0
; COMPUTE_PGM_RSRC2:USER_SGPR: 2
; COMPUTE_PGM_RSRC2:TRAP_HANDLER: 0
; COMPUTE_PGM_RSRC2:TGID_X_EN: 1
; COMPUTE_PGM_RSRC2:TGID_Y_EN: 0
; COMPUTE_PGM_RSRC2:TGID_Z_EN: 0
; COMPUTE_PGM_RSRC2:TIDIG_COMP_CNT: 1
; COMPUTE_PGM_RSRC3_GFX90A:ACCUM_OFFSET: 11
; COMPUTE_PGM_RSRC3_GFX90A:TG_SPLIT: 0
	.section	.text._Z13wvSplitKQ_hf_I6__halfN3c1013Float8_e4m3fnELi64ELi2ELi16ELi16ELi2ELi1EEviiiiiiPKT0_S5_PKT_PS6_PKfSB_ii,"axG",@progbits,_Z13wvSplitKQ_hf_I6__halfN3c1013Float8_e4m3fnELi64ELi2ELi16ELi16ELi2ELi1EEviiiiiiPKT0_S5_PKT_PS6_PKfSB_ii,comdat
	.protected	_Z13wvSplitKQ_hf_I6__halfN3c1013Float8_e4m3fnELi64ELi2ELi16ELi16ELi2ELi1EEviiiiiiPKT0_S5_PKT_PS6_PKfSB_ii ; -- Begin function _Z13wvSplitKQ_hf_I6__halfN3c1013Float8_e4m3fnELi64ELi2ELi16ELi16ELi2ELi1EEviiiiiiPKT0_S5_PKT_PS6_PKfSB_ii
	.globl	_Z13wvSplitKQ_hf_I6__halfN3c1013Float8_e4m3fnELi64ELi2ELi16ELi16ELi2ELi1EEviiiiiiPKT0_S5_PKT_PS6_PKfSB_ii
	.p2align	8
	.type	_Z13wvSplitKQ_hf_I6__halfN3c1013Float8_e4m3fnELi64ELi2ELi16ELi16ELi2ELi1EEviiiiiiPKT0_S5_PKT_PS6_PKfSB_ii,@function
_Z13wvSplitKQ_hf_I6__halfN3c1013Float8_e4m3fnELi64ELi2ELi16ELi16ELi2ELi1EEviiiiiiPKT0_S5_PKT_PS6_PKfSB_ii: ; @_Z13wvSplitKQ_hf_I6__halfN3c1013Float8_e4m3fnELi64ELi2ELi16ELi16ELi2ELi1EEviiiiiiPKT0_S5_PKT_PS6_PKfSB_ii
; %bb.0:
	s_load_dwordx4 s[4:7], s[0:1], 0x0
	s_load_dword s26, s[0:1], 0x10
	s_load_dwordx4 s[12:15], s[0:1], 0x38
	s_load_dwordx4 s[8:11], s[0:1], 0x20
	v_and_b32_e32 v2, 0x3ff, v0
	v_bfe_u32 v3, v0, 10, 10
	v_lshlrev_b32_e32 v32, 4, v2
	v_lshl_add_u32 v4, v3, 10, v32
	s_waitcnt lgkmcnt(0)
	s_min_u32 s3, s5, 0x10000
	v_cmp_gt_u32_e32 vcc, s3, v4
	s_and_saveexec_b64 s[16:17], vcc
	s_cbranch_execz .LBB341_3
; %bb.1:
	v_mov_b32_e32 v1, 0
	v_lshlrev_b32_e32 v0, 10, v3
	v_mov_b32_e32 v33, v1
	v_lshl_add_u64 v[0:1], v[0:1], 0, v[32:33]
	v_lshl_add_u64 v[0:1], s[8:9], 0, v[0:1]
	s_mov_b64 s[18:19], 0
	s_mov_b64 s[20:21], 0x4000
.LBB341_2:                              ; =>This Inner Loop Header: Depth=1
	global_load_dwordx4 v[6:9], v[0:1], off
	v_lshl_add_u64 v[0:1], v[0:1], 0, s[20:21]
	s_waitcnt vmcnt(0)
	ds_write_b128 v4, v[6:9]
	v_add_u32_e32 v4, 0x4000, v4
	v_cmp_le_u32_e32 vcc, s3, v4
	s_or_b64 s[18:19], vcc, s[18:19]
	s_andn2_b64 exec, exec, s[18:19]
	s_cbranch_execnz .LBB341_2
.LBB341_3:
	s_or_b64 exec, exec, s[16:17]
	s_load_dwordx2 s[20:21], s[0:1], 0x48
	;;#ASMSTART
	s_waitcnt vmcnt(0)
	;;#ASMEND
	s_waitcnt lgkmcnt(0)
	s_barrier
	v_cmp_gt_u32_e32 vcc, s20, v3
	s_and_saveexec_b64 s[16:17], vcc
	s_cbranch_execz .LBB341_29
; %bb.4:
	s_mul_i32 s2, s2, s20
	v_add_lshl_u32 v34, s2, v3, 1
	v_cmp_gt_u32_e32 vcc, s7, v34
	s_and_b64 exec, exec, vcc
	s_cbranch_execz .LBB341_29
; %bb.5:
	v_mbcnt_lo_u32_b32 v0, -1, 0
	v_mbcnt_hi_u32_b32 v0, -1, v0
	v_and_b32_e32 v1, 63, v0
	v_cmp_lt_u32_e32 vcc, 43, v1
	s_cmp_lg_u32 s4, 0
	s_load_dword s5, s[12:13], 0x0
	s_load_dword s27, s[14:15], 0x0
	s_load_dwordx2 s[16:17], s[0:1], 0x18
	s_load_dwordx2 s[18:19], s[0:1], 0x30
	v_cndmask_b32_e64 v3, 20, 0, vcc
	v_add_lshl_u32 v33, v3, v0, 2
	v_cvt_f32_u32_e32 v3, s26
	v_cmp_lt_u32_e32 vcc, 23, v1
	s_cselect_b64 s[2:3], -1, 0
	s_add_i32 s28, s4, -16
	v_cndmask_b32_e64 v1, 40, 0, vcc
	v_add_lshl_u32 v42, v1, v0, 2
	v_rcp_iflag_f32_e32 v0, v3
	s_add_i32 s29, s7, -1
	s_mul_i32 s20, s20, s21
	s_cmp_lg_u64 s[10:11], 0
	v_mul_f32_e32 v0, 0x4f7ffffe, v0
	v_cvt_u32_f32_e32 v0, v0
	s_cselect_b64 s[14:15], -1, 0
	s_lshl_b32 s30, s20, 1
	s_sub_i32 s20, 0, s26
	v_mul_lo_u32 v1, s20, v0
	v_mul_hi_u32 v1, v0, v1
	v_add_u32_e32 v43, v0, v1
	v_cndmask_b32_e64 v0, 0, 1, s[2:3]
	v_cmp_eq_u32_e64 s[0:1], 0, v2
	s_mov_b64 s[12:13], 0
	v_mov_b32_e32 v37, 0
	v_cmp_ne_u32_e64 s[2:3], 1, v0
	s_mov_b32 s31, 0xffff
	s_branch .LBB341_7
.LBB341_6:                              ;   in Loop: Header=BB341_7 Depth=1
	s_or_b64 exec, exec, s[20:21]
	v_add_u32_e32 v34, s30, v34
	v_cmp_le_u32_e32 vcc, s7, v34
	s_or_b64 s[12:13], vcc, s[12:13]
	s_andn2_b64 exec, exec, s[12:13]
	s_cbranch_execz .LBB341_29
.LBB341_7:                              ; =>This Loop Header: Depth=1
                                        ;     Child Loop BB341_12 Depth 2
	s_and_b64 vcc, exec, s[2:3]
	v_or_b32_e32 v44, 1, v34
	v_mov_b32_e32 v7, v37
	v_mov_b32_e32 v6, v37
	s_waitcnt vmcnt(1)
	v_mov_b32_e32 v5, v37
	v_mov_b32_e32 v4, v37
	s_waitcnt lgkmcnt(0)
	v_mov_b32_e32 v3, v37
	v_mov_b32_e32 v2, v37
	;; [unrolled: 1-line block ×4, first 2 shown]
	s_cbranch_vccnz .LBB341_22
; %bb.8:                                ;   in Loop: Header=BB341_7 Depth=1
	v_min_u32_e32 v0, s29, v34
	v_mul_lo_u32 v38, v0, s6
	v_or_b32_e32 v0, 1, v34
	v_min_u32_e32 v0, s29, v0
	v_mul_lo_u32 v40, v0, s6
	v_mov_b32_e32 v0, 0
	v_mov_b32_e32 v39, v37
	;; [unrolled: 1-line block ×3, first 2 shown]
	s_mov_b32 s33, 0
	v_mov_b32_e32 v1, v0
	v_mov_b32_e32 v2, v0
	;; [unrolled: 1-line block ×7, first 2 shown]
	s_branch .LBB341_12
.LBB341_9:                              ;   in Loop: Header=BB341_12 Depth=2
	s_or_b64 exec, exec, s[24:25]
.LBB341_10:                             ;   in Loop: Header=BB341_12 Depth=2
	s_or_b64 exec, exec, s[22:23]
.LBB341_11:                             ;   in Loop: Header=BB341_12 Depth=2
	s_or_b64 exec, exec, s[20:21]
	s_waitcnt vmcnt(0) lgkmcnt(0)
	v_mfma_f32_16x16x32_fp8_fp8 v[4:7], v[24:25], v[20:21], v[4:7]
	s_addk_i32 s33, 0x800
	s_cmp_ge_u32 s33, s4
	v_mfma_f32_16x16x32_fp8_fp8 v[0:3], v[24:25], v[16:17], v[0:3]
	v_mfma_f32_16x16x32_fp8_fp8 v[4:7], v[26:27], v[22:23], v[4:7]
	;; [unrolled: 1-line block ×7, first 2 shown]
	s_cbranch_scc1 .LBB341_22
.LBB341_12:                             ;   Parent Loop BB341_7 Depth=1
                                        ; =>  This Inner Loop Header: Depth=2
	v_add_u32_e32 v35, s33, v32
	v_min_u32_e32 v36, s28, v35
	s_waitcnt lgkmcnt(0)
	v_lshl_add_u64 v[8:9], s[16:17], 0, v[36:37]
	v_add_u32_e32 v45, 0x400, v35
	v_lshl_add_u64 v[10:11], v[8:9], 0, v[38:39]
	v_lshl_add_u64 v[8:9], v[8:9], 0, v[40:41]
	v_min_u32_e32 v36, s28, v45
	global_load_dwordx4 v[20:23], v[10:11], off nt
	global_load_dwordx4 v[16:19], v[8:9], off nt
	v_lshl_add_u64 v[8:9], s[16:17], 0, v[36:37]
	v_lshl_add_u64 v[24:25], v[8:9], 0, v[38:39]
	;; [unrolled: 1-line block ×3, first 2 shown]
	global_load_dwordx4 v[12:15], v[24:25], off nt
	global_load_dwordx4 v[8:11], v[26:27], off nt
	v_mov_b64_e32 v[30:31], 0
	v_cmp_gt_u32_e32 vcc, s4, v35
	v_mov_b64_e32 v[28:29], v[30:31]
	v_mov_b64_e32 v[26:27], v[30:31]
	;; [unrolled: 1-line block ×3, first 2 shown]
	s_and_saveexec_b64 s[20:21], vcc
	s_cbranch_execz .LBB341_11
; %bb.13:                               ;   in Loop: Header=BB341_12 Depth=2
	v_cmp_lt_u32_e32 vcc, s31, v35
                                        ; implicit-def: $vgpr26_vgpr27
	s_and_saveexec_b64 s[22:23], vcc
	s_xor_b64 s[22:23], exec, s[22:23]
	s_cbranch_execz .LBB341_15
; %bb.14:                               ;   in Loop: Header=BB341_12 Depth=2
	global_load_dwordx4 v[24:27], v35, s[8:9]
.LBB341_15:                             ;   in Loop: Header=BB341_12 Depth=2
	s_andn2_saveexec_b64 s[22:23], s[22:23]
	s_cbranch_execz .LBB341_17
; %bb.16:                               ;   in Loop: Header=BB341_12 Depth=2
	s_waitcnt vmcnt(0)
	ds_read_b128 v[24:27], v35
.LBB341_17:                             ;   in Loop: Header=BB341_12 Depth=2
	s_or_b64 exec, exec, s[22:23]
	v_mov_b64_e32 v[30:31], 0
	v_cmp_gt_u32_e32 vcc, s4, v45
	v_mov_b64_e32 v[28:29], v[30:31]
	s_and_saveexec_b64 s[22:23], vcc
	s_cbranch_execz .LBB341_10
; %bb.18:                               ;   in Loop: Header=BB341_12 Depth=2
	v_cmp_lt_u32_e32 vcc, s31, v45
                                        ; implicit-def: $vgpr30_vgpr31
	s_and_saveexec_b64 s[24:25], vcc
	s_xor_b64 s[24:25], exec, s[24:25]
	s_cbranch_execz .LBB341_20
; %bb.19:                               ;   in Loop: Header=BB341_12 Depth=2
	global_load_dwordx4 v[28:31], v45, s[8:9]
                                        ; implicit-def: $vgpr35
.LBB341_20:                             ;   in Loop: Header=BB341_12 Depth=2
	s_andn2_saveexec_b64 s[24:25], s[24:25]
	s_cbranch_execz .LBB341_9
; %bb.21:                               ;   in Loop: Header=BB341_12 Depth=2
	s_waitcnt vmcnt(0)
	ds_read_b128 v[28:31], v35 offset:1024
	s_branch .LBB341_9
.LBB341_22:                             ;   in Loop: Header=BB341_7 Depth=1
	s_nop 4
	v_cvt_i32_f32_e32 v5, v5
	v_cvt_i32_f32_e32 v1, v1
	;; [unrolled: 1-line block ×6, first 2 shown]
	v_cvt_f32_i32_dpp v5, v5 row_shl:1 row_mask:0xf bank_mask:0xf bound_ctrl:1
	v_cvt_f32_i32_dpp v1, v1 row_shl:1 row_mask:0xf bank_mask:0xf bound_ctrl:1
	;; [unrolled: 1-line block ×6, first 2 shown]
	v_add_f32_e32 v4, v4, v5
	v_add_f32_e32 v0, v0, v1
	;; [unrolled: 1-line block ×6, first 2 shown]
	ds_bpermute_b32 v5, v33, v4
	ds_bpermute_b32 v3, v33, v2
	s_waitcnt lgkmcnt(0)
	v_add_f32_e32 v0, v4, v5
	v_add_f32_e32 v2, v2, v3
	ds_bpermute_b32 v1, v42, v0
	ds_bpermute_b32 v3, v42, v2
	s_and_saveexec_b64 s[20:21], s[0:1]
	s_cbranch_execz .LBB341_6
; %bb.23:                               ;   in Loop: Header=BB341_7 Depth=1
	s_and_b64 vcc, exec, s[14:15]
	s_cbranch_vccz .LBB341_28
; %bb.24:                               ;   in Loop: Header=BB341_7 Depth=1
	v_mul_hi_u32 v4, v34, v43
	v_mul_lo_u32 v4, v4, s26
	v_sub_u32_e32 v4, v34, v4
	v_subrev_u32_e32 v5, s26, v4
	v_cmp_le_u32_e32 vcc, s26, v4
	v_mov_b32_e32 v35, v37
	s_nop 0
	v_cndmask_b32_e32 v4, v4, v5, vcc
	v_subrev_u32_e32 v5, s26, v4
	v_cmp_le_u32_e32 vcc, s26, v4
	s_nop 1
	v_cndmask_b32_e32 v36, v4, v5, vcc
	v_or_b32_e32 v4, 1, v34
	v_mul_hi_u32 v5, v4, v43
	v_mul_lo_u32 v5, v5, s26
	v_sub_u32_e32 v5, v4, v5
	v_subrev_u32_e32 v6, s26, v5
	v_cmp_le_u32_e32 vcc, s26, v5
	v_lshl_add_u64 v[8:9], v[36:37], 1, s[10:11]
	s_nop 0
	v_cndmask_b32_e32 v5, v5, v6, vcc
	v_subrev_u32_e32 v6, s26, v5
	v_cmp_le_u32_e32 vcc, s26, v5
	s_nop 1
	v_cndmask_b32_e32 v36, v5, v6, vcc
	v_lshl_add_u64 v[10:11], v[36:37], 1, s[10:11]
	global_load_ushort v6, v[8:9], off
	global_load_ushort v5, v[10:11], off
	s_cbranch_execnz .LBB341_26
.LBB341_25:                             ;   in Loop: Header=BB341_7 Depth=1
	v_mov_b32_e32 v35, v37
	s_waitcnt vmcnt(0)
	v_mov_b32_e32 v5, 0
	v_mov_b32_e32 v4, v44
	;; [unrolled: 1-line block ×3, first 2 shown]
.LBB341_26:                             ;   in Loop: Header=BB341_7 Depth=1
	s_waitcnt lgkmcnt(1)
	v_add_f32_e32 v0, v0, v1
	v_mul_f32_e32 v0, s5, v0
	s_waitcnt vmcnt(1)
	v_fma_mixlo_f16 v6, s27, v0, v6 op_sel_hi:[0,0,1]
	v_lshl_add_u64 v[0:1], v[34:35], 1, s[18:19]
	v_cmp_gt_u32_e32 vcc, s7, v4
	global_store_short v[0:1], v6, off
	s_and_b64 exec, exec, vcc
	s_cbranch_execz .LBB341_6
; %bb.27:                               ;   in Loop: Header=BB341_7 Depth=1
	s_waitcnt lgkmcnt(0)
	v_add_f32_e32 v2, v2, v3
	v_mul_f32_e32 v2, s5, v2
	s_waitcnt vmcnt(1)
	v_fma_mixlo_f16 v2, s27, v2, v5 op_sel_hi:[0,0,1]
	global_store_short v[0:1], v2, off offset:2
	s_branch .LBB341_6
.LBB341_28:                             ;   in Loop: Header=BB341_7 Depth=1
                                        ; implicit-def: $vgpr6
                                        ; implicit-def: $vgpr5
                                        ; implicit-def: $vgpr4
	s_branch .LBB341_25
.LBB341_29:
	s_endpgm
	.section	.rodata,"a",@progbits
	.p2align	6, 0x0
	.amdhsa_kernel _Z13wvSplitKQ_hf_I6__halfN3c1013Float8_e4m3fnELi64ELi2ELi16ELi16ELi2ELi1EEviiiiiiPKT0_S5_PKT_PS6_PKfSB_ii
		.amdhsa_group_segment_fixed_size 65536
		.amdhsa_private_segment_fixed_size 0
		.amdhsa_kernarg_size 80
		.amdhsa_user_sgpr_count 2
		.amdhsa_user_sgpr_dispatch_ptr 0
		.amdhsa_user_sgpr_queue_ptr 0
		.amdhsa_user_sgpr_kernarg_segment_ptr 1
		.amdhsa_user_sgpr_dispatch_id 0
		.amdhsa_user_sgpr_kernarg_preload_length 0
		.amdhsa_user_sgpr_kernarg_preload_offset 0
		.amdhsa_user_sgpr_private_segment_size 0
		.amdhsa_uses_dynamic_stack 0
		.amdhsa_enable_private_segment 0
		.amdhsa_system_sgpr_workgroup_id_x 1
		.amdhsa_system_sgpr_workgroup_id_y 0
		.amdhsa_system_sgpr_workgroup_id_z 0
		.amdhsa_system_sgpr_workgroup_info 0
		.amdhsa_system_vgpr_workitem_id 1
		.amdhsa_next_free_vgpr 46
		.amdhsa_next_free_sgpr 34
		.amdhsa_accum_offset 48
		.amdhsa_reserve_vcc 1
		.amdhsa_float_round_mode_32 0
		.amdhsa_float_round_mode_16_64 0
		.amdhsa_float_denorm_mode_32 3
		.amdhsa_float_denorm_mode_16_64 3
		.amdhsa_dx10_clamp 1
		.amdhsa_ieee_mode 1
		.amdhsa_fp16_overflow 0
		.amdhsa_tg_split 0
		.amdhsa_exception_fp_ieee_invalid_op 0
		.amdhsa_exception_fp_denorm_src 0
		.amdhsa_exception_fp_ieee_div_zero 0
		.amdhsa_exception_fp_ieee_overflow 0
		.amdhsa_exception_fp_ieee_underflow 0
		.amdhsa_exception_fp_ieee_inexact 0
		.amdhsa_exception_int_div_zero 0
	.end_amdhsa_kernel
	.section	.text._Z13wvSplitKQ_hf_I6__halfN3c1013Float8_e4m3fnELi64ELi2ELi16ELi16ELi2ELi1EEviiiiiiPKT0_S5_PKT_PS6_PKfSB_ii,"axG",@progbits,_Z13wvSplitKQ_hf_I6__halfN3c1013Float8_e4m3fnELi64ELi2ELi16ELi16ELi2ELi1EEviiiiiiPKT0_S5_PKT_PS6_PKfSB_ii,comdat
.Lfunc_end341:
	.size	_Z13wvSplitKQ_hf_I6__halfN3c1013Float8_e4m3fnELi64ELi2ELi16ELi16ELi2ELi1EEviiiiiiPKT0_S5_PKT_PS6_PKfSB_ii, .Lfunc_end341-_Z13wvSplitKQ_hf_I6__halfN3c1013Float8_e4m3fnELi64ELi2ELi16ELi16ELi2ELi1EEviiiiiiPKT0_S5_PKT_PS6_PKfSB_ii
                                        ; -- End function
	.section	.AMDGPU.csdata,"",@progbits
; Kernel info:
; codeLenInByte = 1368
; NumSgprs: 40
; NumVgprs: 46
; NumAgprs: 0
; TotalNumVgprs: 46
; ScratchSize: 0
; MemoryBound: 1
; FloatMode: 240
; IeeeMode: 1
; LDSByteSize: 65536 bytes/workgroup (compile time only)
; SGPRBlocks: 4
; VGPRBlocks: 5
; NumSGPRsForWavesPerEU: 40
; NumVGPRsForWavesPerEU: 46
; AccumOffset: 48
; Occupancy: 4
; WaveLimiterHint : 0
; COMPUTE_PGM_RSRC2:SCRATCH_EN: 0
; COMPUTE_PGM_RSRC2:USER_SGPR: 2
; COMPUTE_PGM_RSRC2:TRAP_HANDLER: 0
; COMPUTE_PGM_RSRC2:TGID_X_EN: 1
; COMPUTE_PGM_RSRC2:TGID_Y_EN: 0
; COMPUTE_PGM_RSRC2:TGID_Z_EN: 0
; COMPUTE_PGM_RSRC2:TIDIG_COMP_CNT: 1
; COMPUTE_PGM_RSRC3_GFX90A:ACCUM_OFFSET: 11
; COMPUTE_PGM_RSRC3_GFX90A:TG_SPLIT: 0
	.section	.text._Z17wvSplitKQ_hf_sml_I6__halfN3c1013Float8_e4m3fnELi32ELi2ELi16ELi16ELi2ELi2EEviiiiiiPKT0_S5_PKT_PS6_PKfSB_ii,"axG",@progbits,_Z17wvSplitKQ_hf_sml_I6__halfN3c1013Float8_e4m3fnELi32ELi2ELi16ELi16ELi2ELi2EEviiiiiiPKT0_S5_PKT_PS6_PKfSB_ii,comdat
	.protected	_Z17wvSplitKQ_hf_sml_I6__halfN3c1013Float8_e4m3fnELi32ELi2ELi16ELi16ELi2ELi2EEviiiiiiPKT0_S5_PKT_PS6_PKfSB_ii ; -- Begin function _Z17wvSplitKQ_hf_sml_I6__halfN3c1013Float8_e4m3fnELi32ELi2ELi16ELi16ELi2ELi2EEviiiiiiPKT0_S5_PKT_PS6_PKfSB_ii
	.globl	_Z17wvSplitKQ_hf_sml_I6__halfN3c1013Float8_e4m3fnELi32ELi2ELi16ELi16ELi2ELi2EEviiiiiiPKT0_S5_PKT_PS6_PKfSB_ii
	.p2align	8
	.type	_Z17wvSplitKQ_hf_sml_I6__halfN3c1013Float8_e4m3fnELi32ELi2ELi16ELi16ELi2ELi2EEviiiiiiPKT0_S5_PKT_PS6_PKfSB_ii,@function
_Z17wvSplitKQ_hf_sml_I6__halfN3c1013Float8_e4m3fnELi32ELi2ELi16ELi16ELi2ELi2EEviiiiiiPKT0_S5_PKT_PS6_PKfSB_ii: ; @_Z17wvSplitKQ_hf_sml_I6__halfN3c1013Float8_e4m3fnELi32ELi2ELi16ELi16ELi2ELi2EEviiiiiiPKT0_S5_PKT_PS6_PKfSB_ii
; %bb.0:
	s_load_dwordx4 s[12:15], s[0:1], 0x0
	v_and_b32_e32 v4, 0x3ff, v0
	v_bfe_u32 v5, v0, 10, 10
	v_lshlrev_b32_e32 v56, 4, v4
	v_lshl_add_u32 v0, v5, 9, v56
	s_waitcnt lgkmcnt(0)
	s_lshl_b32 s3, s13, 1
	s_min_u32 s3, s3, 0x10000
	v_cmp_gt_u32_e32 vcc, s3, v0
	s_and_saveexec_b64 s[4:5], vcc
	s_cbranch_execz .LBB342_9
; %bb.1:
	s_load_dwordx2 s[6:7], s[0:1], 0x20
	v_add_u32_e32 v1, 0x2000, v0
	v_cmp_gt_u32_e32 vcc, s3, v1
	s_waitcnt lgkmcnt(0)
	global_load_dwordx4 v[6:9], v0, s[6:7]
	s_waitcnt vmcnt(0)
	ds_write_b128 v0, v[6:9]
	s_and_saveexec_b64 s[8:9], vcc
	s_xor_b64 s[8:9], exec, s[8:9]
	s_cbranch_execz .LBB342_9
; %bb.2:
	v_mov_b32_e32 v1, 0
	v_lshl_add_u64 v[2:3], s[6:7], 0, v[0:1]
	v_add_co_u32_e32 v6, vcc, 0x2000, v2
	v_add_u32_e32 v1, 0x4000, v0
	s_nop 0
	v_addc_co_u32_e32 v7, vcc, 0, v3, vcc
	global_load_dwordx4 v[6:9], v[6:7], off
	v_cmp_gt_u32_e32 vcc, s3, v1
	s_waitcnt vmcnt(0)
	ds_write_b128 v0, v[6:9] offset:8192
	s_and_saveexec_b64 s[6:7], vcc
	s_xor_b64 s[6:7], exec, s[6:7]
	s_cbranch_execz .LBB342_9
; %bb.3:
	v_add_co_u32_e32 v6, vcc, 0x4000, v2
	v_add_u32_e32 v1, 0x6000, v0
	s_nop 0
	v_addc_co_u32_e32 v7, vcc, 0, v3, vcc
	global_load_dwordx4 v[6:9], v[6:7], off
	v_cmp_gt_u32_e32 vcc, s3, v1
	s_waitcnt vmcnt(0)
	ds_write_b128 v0, v[6:9] offset:16384
	s_and_saveexec_b64 s[6:7], vcc
	s_xor_b64 s[6:7], exec, s[6:7]
	s_cbranch_execz .LBB342_9
; %bb.4:
	;; [unrolled: 12-line block ×6, first 2 shown]
	v_add_co_u32_e32 v2, vcc, 0xe000, v2
	s_nop 1
	v_addc_co_u32_e32 v3, vcc, 0, v3, vcc
	global_load_dwordx4 v[6:9], v[2:3], off
	s_waitcnt vmcnt(0)
	ds_write_b128 v0, v[6:9] offset:57344
.LBB342_9:
	s_or_b64 exec, exec, s[4:5]
	s_load_dwordx2 s[20:21], s[0:1], 0x48
	;;#ASMSTART
	s_waitcnt vmcnt(0)
	;;#ASMEND
	s_waitcnt lgkmcnt(0)
	s_barrier
	v_cmp_gt_u32_e32 vcc, s20, v5
	s_and_saveexec_b64 s[4:5], vcc
	s_cbranch_execz .LBB342_29
; %bb.10:
	s_load_dwordx2 s[16:17], s[0:1], 0x10
	s_mul_i32 s2, s2, s20
	v_add_lshl_u32 v48, s2, v5, 1
	v_cmp_gt_u32_e32 vcc, s15, v48
	s_and_b64 exec, exec, vcc
	s_cbranch_execz .LBB342_29
; %bb.11:
	v_mbcnt_lo_u32_b32 v0, -1, 0
	v_mbcnt_hi_u32_b32 v0, -1, v0
	v_and_b32_e32 v1, 63, v0
	v_cmp_lt_u32_e32 vcc, 43, v1
	s_load_dwordx8 s[4:11], s[0:1], 0x28
	s_load_dwordx2 s[18:19], s[0:1], 0x18
	v_cndmask_b32_e64 v2, 20, 0, vcc
	v_add_lshl_u32 v57, v2, v0, 2
	s_waitcnt lgkmcnt(0)
	v_cvt_f32_u32_e32 v2, s16
	v_cmp_lt_u32_e32 vcc, 23, v1
	s_cmp_lg_u32 s12, 0
	s_cselect_b64 s[2:3], -1, 0
	v_cndmask_b32_e64 v1, 40, 0, vcc
	v_add_lshl_u32 v58, v1, v0, 2
	v_rcp_iflag_f32_e32 v0, v2
	s_add_i32 s26, s12, -16
	s_add_i32 s27, s15, -1
	s_mul_i32 s20, s20, s21
	v_mul_f32_e32 v0, 0x4f7ffffe, v0
	v_cvt_u32_f32_e32 v0, v0
	s_cmp_lg_u64 s[4:5], 0
	s_load_dword s24, s[8:9], 0x0
	s_load_dword s25, s[10:11], 0x0
	s_cselect_b64 s[10:11], -1, 0
	s_lshl_b32 s28, s20, 1
	s_sub_i32 s20, 0, s16
	s_abs_i32 s17, s17
	v_mul_lo_u32 v1, s20, v0
	s_sub_i32 s20, 1, s17
	s_cmp_lt_u32 s17, 2
	s_cselect_b32 s20, s20, 1
	s_sub_i32 s21, s20, s17
	v_mul_hi_u32 v1, v0, v1
	s_cmp_ge_u32 s20, s17
	v_add_u32_e32 v59, v0, v1
	s_cselect_b32 s17, s21, s20
	v_cndmask_b32_e64 v0, 0, 1, s[2:3]
	v_cmp_eq_u32_e64 s[0:1], 0, v4
	s_mov_b64 s[8:9], 0
	v_mov_b32_e32 v51, 0
	s_mul_i32 s17, s17, s16
	v_add_u32_e32 v60, s13, v56
	v_cmp_ne_u32_e64 s[2:3], 1, v0
	s_branch .LBB342_13
.LBB342_12:                             ;   in Loop: Header=BB342_13 Depth=1
	s_or_b64 exec, exec, s[20:21]
	v_add_u32_e32 v48, s28, v48
	v_cmp_le_u32_e32 vcc, s15, v48
	s_or_b64 s[8:9], vcc, s[8:9]
	s_andn2_b64 exec, exec, s[8:9]
	s_cbranch_execz .LBB342_29
.LBB342_13:                             ; =>This Loop Header: Depth=1
                                        ;     Child Loop BB342_17 Depth 2
	s_and_b64 vcc, exec, s[2:3]
	v_or_b32_e32 v61, 1, v48
	v_mov_b32_e32 v15, v51
	v_mov_b32_e32 v14, v51
	;; [unrolled: 1-line block ×4, first 2 shown]
	s_waitcnt vmcnt(2)
	v_mov_b32_e32 v11, v51
	v_mov_b32_e32 v10, v51
	s_waitcnt lgkmcnt(0)
	v_mov_b32_e32 v9, v51
	v_mov_b32_e32 v8, v51
	;; [unrolled: 1-line block ×10, first 2 shown]
	s_cbranch_vccnz .LBB342_20
; %bb.14:                               ;   in Loop: Header=BB342_13 Depth=1
	v_min_u32_e32 v0, s27, v48
	v_mul_lo_u32 v52, v0, s14
	v_or_b32_e32 v0, 1, v48
	v_min_u32_e32 v0, s27, v0
	v_mul_lo_u32 v54, v0, s14
	v_mov_b32_e32 v0, 0
	v_mov_b32_e32 v53, v51
	;; [unrolled: 1-line block ×3, first 2 shown]
	s_mov_b32 s13, 0
	v_mov_b32_e32 v1, v0
	v_mov_b32_e32 v2, v0
	;; [unrolled: 1-line block ×15, first 2 shown]
	s_branch .LBB342_17
.LBB342_15:                             ;   in Loop: Header=BB342_17 Depth=2
	s_or_b64 exec, exec, s[22:23]
.LBB342_16:                             ;   in Loop: Header=BB342_17 Depth=2
	s_or_b64 exec, exec, s[20:21]
	s_waitcnt vmcnt(3) lgkmcnt(0)
	v_mfma_f32_16x16x32_fp8_fp8 v[12:15], v[40:41], v[28:29], v[12:15]
	s_addk_i32 s13, 0x400
	s_cmp_ge_u32 s13, s12
	s_waitcnt vmcnt(2)
	v_mfma_f32_16x16x32_fp8_fp8 v[8:11], v[40:41], v[32:33], v[8:11]
	v_mfma_f32_16x16x32_fp8_fp8 v[4:7], v[44:45], v[28:29], v[4:7]
	;; [unrolled: 1-line block ×7, first 2 shown]
	s_waitcnt vmcnt(1)
	v_mfma_f32_16x16x32_fp8_fp8 v[12:15], v[36:37], v[20:21], v[12:15]
	s_waitcnt vmcnt(0)
	v_mfma_f32_16x16x32_fp8_fp8 v[8:11], v[36:37], v[16:17], v[8:11]
	v_mfma_f32_16x16x32_fp8_fp8 v[4:7], v[24:25], v[20:21], v[4:7]
	;; [unrolled: 1-line block ×7, first 2 shown]
	s_cbranch_scc1 .LBB342_20
.LBB342_17:                             ;   Parent Loop BB342_13 Depth=1
                                        ; =>  This Inner Loop Header: Depth=2
	v_add_u32_e32 v49, s13, v56
	v_min_u32_e32 v50, s26, v49
	v_lshl_add_u64 v[16:17], s[18:19], 0, v[50:51]
	v_add_u32_e32 v62, 0x200, v49
	v_lshl_add_u64 v[18:19], v[16:17], 0, v[52:53]
	v_lshl_add_u64 v[16:17], v[16:17], 0, v[54:55]
	v_min_u32_e32 v50, s26, v62
	global_load_dwordx4 v[28:31], v[18:19], off nt
	global_load_dwordx4 v[32:35], v[16:17], off nt
	v_lshl_add_u64 v[16:17], s[18:19], 0, v[50:51]
	v_lshl_add_u64 v[24:25], v[16:17], 0, v[52:53]
	;; [unrolled: 1-line block ×3, first 2 shown]
	global_load_dwordx4 v[20:23], v[24:25], off nt
	global_load_dwordx4 v[16:19], v[26:27], off nt
	v_mov_b64_e32 v[40:41], 0
	v_cmp_gt_u32_e32 vcc, s12, v49
	v_mov_b64_e32 v[42:43], v[40:41]
	v_mov_b64_e32 v[36:37], v[40:41]
	;; [unrolled: 1-line block ×7, first 2 shown]
	s_and_saveexec_b64 s[20:21], vcc
	s_cbranch_execz .LBB342_16
; %bb.18:                               ;   in Loop: Header=BB342_17 Depth=2
	v_add_u32_e32 v50, s13, v60
	ds_read_b128 v[40:43], v49
	ds_read_b128 v[44:47], v50
	v_mov_b64_e32 v[26:27], 0
	v_cmp_gt_u32_e32 vcc, s12, v62
	v_mov_b64_e32 v[24:25], v[26:27]
	v_mov_b64_e32 v[38:39], v[26:27]
	;; [unrolled: 1-line block ×3, first 2 shown]
	s_and_saveexec_b64 s[22:23], vcc
	s_cbranch_execz .LBB342_15
; %bb.19:                               ;   in Loop: Header=BB342_17 Depth=2
	ds_read_b128 v[36:39], v49 offset:512
	ds_read_b128 v[24:27], v50 offset:512
	s_branch .LBB342_15
.LBB342_20:                             ;   in Loop: Header=BB342_13 Depth=1
	s_nop 4
	v_cvt_i32_f32_e32 v5, v5
	v_cvt_i32_f32_e32 v13, v13
	;; [unrolled: 1-line block ×10, first 2 shown]
	v_cvt_f32_i32_dpp v5, v5 row_shl:1 row_mask:0xf bank_mask:0xf bound_ctrl:1
	v_cvt_i32_f32_e32 v7, v7
	v_cvt_i32_f32_e32 v3, v3
	v_cvt_f32_i32_dpp v13, v13 row_shl:1 row_mask:0xf bank_mask:0xf bound_ctrl:1
	v_cvt_f32_i32_dpp v14, v14 row_shl:2 row_mask:0xf bank_mask:0xf bound_ctrl:1
	;; [unrolled: 1-line block ×9, first 2 shown]
	v_add_f32_e32 v4, v4, v5
	v_cvt_f32_i32_dpp v5, v7 row_shl:3 row_mask:0xf bank_mask:0xf bound_ctrl:1
	v_cvt_f32_i32_dpp v3, v3 row_shl:3 row_mask:0xf bank_mask:0xf bound_ctrl:1
	v_add_f32_e32 v12, v12, v13
	v_add_f32_e32 v12, v12, v14
	;; [unrolled: 1-line block ×11, first 2 shown]
	ds_bpermute_b32 v13, v57, v12
	ds_bpermute_b32 v11, v57, v10
	;; [unrolled: 1-line block ×4, first 2 shown]
	s_waitcnt lgkmcnt(0)
	v_add_f32_e32 v8, v12, v13
	v_add_f32_e32 v6, v10, v11
	;; [unrolled: 1-line block ×4, first 2 shown]
	ds_bpermute_b32 v9, v58, v8
	ds_bpermute_b32 v7, v58, v6
	;; [unrolled: 1-line block ×4, first 2 shown]
	s_and_saveexec_b64 s[20:21], s[0:1]
	s_cbranch_execz .LBB342_12
; %bb.21:                               ;   in Loop: Header=BB342_13 Depth=1
	s_and_b64 vcc, exec, s[10:11]
	s_cbranch_vccz .LBB342_28
; %bb.22:                               ;   in Loop: Header=BB342_13 Depth=1
	v_mul_hi_u32 v0, v48, v59
	v_mul_lo_u32 v0, v0, s16
	v_sub_u32_e32 v0, v48, v0
	v_subrev_u32_e32 v1, s16, v0
	v_cmp_le_u32_e32 vcc, s16, v0
	v_or_b32_e32 v10, 1, v48
	v_mov_b32_e32 v49, v51
	v_cndmask_b32_e32 v0, v0, v1, vcc
	v_subrev_u32_e32 v1, s16, v0
	v_cmp_le_u32_e32 vcc, s16, v0
	s_nop 1
	v_cndmask_b32_e32 v50, v0, v1, vcc
	v_mul_hi_u32 v0, v10, v59
	v_mul_lo_u32 v0, v0, s16
	v_sub_u32_e32 v0, v10, v0
	v_subrev_u32_e32 v1, s16, v0
	v_cmp_le_u32_e32 vcc, s16, v0
	v_lshl_add_u64 v[14:15], v[50:51], 1, s[4:5]
	v_add_u32_e32 v50, s17, v50
	v_cndmask_b32_e32 v0, v0, v1, vcc
	v_subrev_u32_e32 v1, s16, v0
	v_cmp_le_u32_e32 vcc, s16, v0
	v_lshl_add_u64 v[18:19], v[50:51], 1, s[4:5]
	s_nop 0
	v_cndmask_b32_e32 v0, v0, v1, vcc
	v_mov_b32_e32 v1, v51
	v_add_u32_e32 v50, s17, v0
	v_lshl_add_u64 v[16:17], v[0:1], 1, s[4:5]
	v_lshl_add_u64 v[20:21], v[50:51], 1, s[4:5]
	global_load_ushort v0, v[14:15], off
	global_load_ushort v13, v[16:17], off
	;; [unrolled: 1-line block ×4, first 2 shown]
	s_cbranch_execnz .LBB342_24
.LBB342_23:                             ;   in Loop: Header=BB342_13 Depth=1
	v_mov_b32_e32 v49, v51
	s_waitcnt vmcnt(0)
	v_mov_b32_e32 v11, 0
	v_mov_b32_e32 v10, v61
	;; [unrolled: 1-line block ×5, first 2 shown]
.LBB342_24:                             ;   in Loop: Header=BB342_13 Depth=1
	s_waitcnt lgkmcnt(3)
	v_add_f32_e32 v1, v8, v9
	v_mul_f32_e32 v1, s24, v1
	s_waitcnt vmcnt(3)
	v_fma_mixlo_f16 v8, s25, v1, v0 op_sel_hi:[0,0,1]
	v_lshl_add_u64 v[0:1], v[48:49], 1, s[6:7]
	v_cmp_gt_u32_e32 vcc, s15, v10
	global_store_short v[0:1], v8, off
	s_and_saveexec_b64 s[22:23], vcc
	s_cbranch_execz .LBB342_26
; %bb.25:                               ;   in Loop: Header=BB342_13 Depth=1
	s_waitcnt lgkmcnt(2)
	v_add_f32_e32 v6, v6, v7
	v_mul_f32_e32 v6, s24, v6
	s_waitcnt vmcnt(3)
	v_fma_mixlo_f16 v6, s25, v6, v13 op_sel_hi:[0,0,1]
	global_store_short v[0:1], v6, off offset:2
.LBB342_26:                             ;   in Loop: Header=BB342_13 Depth=1
	s_or_b64 exec, exec, s[22:23]
	s_waitcnt lgkmcnt(1)
	v_add_f32_e32 v0, v4, v5
	v_mul_f32_e32 v0, s24, v0
	v_add_u32_e32 v50, s15, v48
	s_waitcnt vmcnt(2)
	v_fma_mixlo_f16 v4, s25, v0, v12 op_sel_hi:[0,0,1]
	v_lshl_add_u64 v[0:1], v[50:51], 1, s[6:7]
	global_store_short v[0:1], v4, off
	s_and_b64 exec, exec, vcc
	s_cbranch_execz .LBB342_12
; %bb.27:                               ;   in Loop: Header=BB342_13 Depth=1
	s_waitcnt lgkmcnt(0)
	v_add_f32_e32 v0, v2, v3
	v_mul_f32_e32 v0, s24, v0
	v_add_u32_e32 v50, s15, v10
	s_waitcnt vmcnt(2)
	v_fma_mixlo_f16 v2, s25, v0, v11 op_sel_hi:[0,0,1]
	v_lshl_add_u64 v[0:1], v[50:51], 1, s[6:7]
	global_store_short v[0:1], v2, off
	s_branch .LBB342_12
.LBB342_28:                             ;   in Loop: Header=BB342_13 Depth=1
                                        ; implicit-def: $vgpr0
                                        ; implicit-def: $vgpr13
                                        ; implicit-def: $vgpr12
                                        ; implicit-def: $vgpr11
                                        ; implicit-def: $vgpr10
	s_branch .LBB342_23
.LBB342_29:
	s_endpgm
	.section	.rodata,"a",@progbits
	.p2align	6, 0x0
	.amdhsa_kernel _Z17wvSplitKQ_hf_sml_I6__halfN3c1013Float8_e4m3fnELi32ELi2ELi16ELi16ELi2ELi2EEviiiiiiPKT0_S5_PKT_PS6_PKfSB_ii
		.amdhsa_group_segment_fixed_size 65536
		.amdhsa_private_segment_fixed_size 0
		.amdhsa_kernarg_size 80
		.amdhsa_user_sgpr_count 2
		.amdhsa_user_sgpr_dispatch_ptr 0
		.amdhsa_user_sgpr_queue_ptr 0
		.amdhsa_user_sgpr_kernarg_segment_ptr 1
		.amdhsa_user_sgpr_dispatch_id 0
		.amdhsa_user_sgpr_kernarg_preload_length 0
		.amdhsa_user_sgpr_kernarg_preload_offset 0
		.amdhsa_user_sgpr_private_segment_size 0
		.amdhsa_uses_dynamic_stack 0
		.amdhsa_enable_private_segment 0
		.amdhsa_system_sgpr_workgroup_id_x 1
		.amdhsa_system_sgpr_workgroup_id_y 0
		.amdhsa_system_sgpr_workgroup_id_z 0
		.amdhsa_system_sgpr_workgroup_info 0
		.amdhsa_system_vgpr_workitem_id 1
		.amdhsa_next_free_vgpr 63
		.amdhsa_next_free_sgpr 29
		.amdhsa_accum_offset 64
		.amdhsa_reserve_vcc 1
		.amdhsa_float_round_mode_32 0
		.amdhsa_float_round_mode_16_64 0
		.amdhsa_float_denorm_mode_32 3
		.amdhsa_float_denorm_mode_16_64 3
		.amdhsa_dx10_clamp 1
		.amdhsa_ieee_mode 1
		.amdhsa_fp16_overflow 0
		.amdhsa_tg_split 0
		.amdhsa_exception_fp_ieee_invalid_op 0
		.amdhsa_exception_fp_denorm_src 0
		.amdhsa_exception_fp_ieee_div_zero 0
		.amdhsa_exception_fp_ieee_overflow 0
		.amdhsa_exception_fp_ieee_underflow 0
		.amdhsa_exception_fp_ieee_inexact 0
		.amdhsa_exception_int_div_zero 0
	.end_amdhsa_kernel
	.section	.text._Z17wvSplitKQ_hf_sml_I6__halfN3c1013Float8_e4m3fnELi32ELi2ELi16ELi16ELi2ELi2EEviiiiiiPKT0_S5_PKT_PS6_PKfSB_ii,"axG",@progbits,_Z17wvSplitKQ_hf_sml_I6__halfN3c1013Float8_e4m3fnELi32ELi2ELi16ELi16ELi2ELi2EEviiiiiiPKT0_S5_PKT_PS6_PKfSB_ii,comdat
.Lfunc_end342:
	.size	_Z17wvSplitKQ_hf_sml_I6__halfN3c1013Float8_e4m3fnELi32ELi2ELi16ELi16ELi2ELi2EEviiiiiiPKT0_S5_PKT_PS6_PKfSB_ii, .Lfunc_end342-_Z17wvSplitKQ_hf_sml_I6__halfN3c1013Float8_e4m3fnELi32ELi2ELi16ELi16ELi2ELi2EEviiiiiiPKT0_S5_PKT_PS6_PKfSB_ii
                                        ; -- End function
	.section	.AMDGPU.csdata,"",@progbits
; Kernel info:
; codeLenInByte = 2140
; NumSgprs: 35
; NumVgprs: 63
; NumAgprs: 0
; TotalNumVgprs: 63
; ScratchSize: 0
; MemoryBound: 0
; FloatMode: 240
; IeeeMode: 1
; LDSByteSize: 65536 bytes/workgroup (compile time only)
; SGPRBlocks: 4
; VGPRBlocks: 7
; NumSGPRsForWavesPerEU: 35
; NumVGPRsForWavesPerEU: 63
; AccumOffset: 64
; Occupancy: 2
; WaveLimiterHint : 0
; COMPUTE_PGM_RSRC2:SCRATCH_EN: 0
; COMPUTE_PGM_RSRC2:USER_SGPR: 2
; COMPUTE_PGM_RSRC2:TRAP_HANDLER: 0
; COMPUTE_PGM_RSRC2:TGID_X_EN: 1
; COMPUTE_PGM_RSRC2:TGID_Y_EN: 0
; COMPUTE_PGM_RSRC2:TGID_Z_EN: 0
; COMPUTE_PGM_RSRC2:TIDIG_COMP_CNT: 1
; COMPUTE_PGM_RSRC3_GFX90A:ACCUM_OFFSET: 15
; COMPUTE_PGM_RSRC3_GFX90A:TG_SPLIT: 0
	.section	.text._Z13wvSplitKQ_hf_I6__halfN3c1013Float8_e4m3fnELi32ELi2ELi16ELi16ELi2ELi2EEviiiiiiPKT0_S5_PKT_PS6_PKfSB_ii,"axG",@progbits,_Z13wvSplitKQ_hf_I6__halfN3c1013Float8_e4m3fnELi32ELi2ELi16ELi16ELi2ELi2EEviiiiiiPKT0_S5_PKT_PS6_PKfSB_ii,comdat
	.protected	_Z13wvSplitKQ_hf_I6__halfN3c1013Float8_e4m3fnELi32ELi2ELi16ELi16ELi2ELi2EEviiiiiiPKT0_S5_PKT_PS6_PKfSB_ii ; -- Begin function _Z13wvSplitKQ_hf_I6__halfN3c1013Float8_e4m3fnELi32ELi2ELi16ELi16ELi2ELi2EEviiiiiiPKT0_S5_PKT_PS6_PKfSB_ii
	.globl	_Z13wvSplitKQ_hf_I6__halfN3c1013Float8_e4m3fnELi32ELi2ELi16ELi16ELi2ELi2EEviiiiiiPKT0_S5_PKT_PS6_PKfSB_ii
	.p2align	8
	.type	_Z13wvSplitKQ_hf_I6__halfN3c1013Float8_e4m3fnELi32ELi2ELi16ELi16ELi2ELi2EEviiiiiiPKT0_S5_PKT_PS6_PKfSB_ii,@function
_Z13wvSplitKQ_hf_I6__halfN3c1013Float8_e4m3fnELi32ELi2ELi16ELi16ELi2ELi2EEviiiiiiPKT0_S5_PKT_PS6_PKfSB_ii: ; @_Z13wvSplitKQ_hf_I6__halfN3c1013Float8_e4m3fnELi32ELi2ELi16ELi16ELi2ELi2EEviiiiiiPKT0_S5_PKT_PS6_PKfSB_ii
; %bb.0:
	s_load_dwordx4 s[12:15], s[0:1], 0x0
	s_load_dwordx2 s[16:17], s[0:1], 0x20
	v_and_b32_e32 v4, 0x3ff, v0
	v_bfe_u32 v5, v0, 10, 10
	v_lshlrev_b32_e32 v56, 4, v4
	s_waitcnt lgkmcnt(0)
	s_lshl_b32 s3, s13, 1
	v_lshl_add_u32 v0, v5, 9, v56
	s_min_u32 s3, s3, 0x10000
	v_cmp_gt_u32_e32 vcc, s3, v0
	s_and_saveexec_b64 s[4:5], vcc
	s_cbranch_execz .LBB343_9
; %bb.1:
	global_load_dwordx4 v[6:9], v0, s[16:17]
	v_add_u32_e32 v1, 0x2000, v0
	v_cmp_gt_u32_e32 vcc, s3, v1
	s_waitcnt vmcnt(0)
	ds_write_b128 v0, v[6:9]
	s_and_saveexec_b64 s[6:7], vcc
	s_xor_b64 s[6:7], exec, s[6:7]
	s_cbranch_execz .LBB343_9
; %bb.2:
	v_mov_b32_e32 v1, 0
	v_lshl_add_u64 v[2:3], s[16:17], 0, v[0:1]
	v_add_co_u32_e32 v6, vcc, 0x2000, v2
	v_add_u32_e32 v1, 0x4000, v0
	s_nop 0
	v_addc_co_u32_e32 v7, vcc, 0, v3, vcc
	global_load_dwordx4 v[6:9], v[6:7], off
	v_cmp_gt_u32_e32 vcc, s3, v1
	s_waitcnt vmcnt(0)
	ds_write_b128 v0, v[6:9] offset:8192
	s_and_saveexec_b64 s[6:7], vcc
	s_xor_b64 s[6:7], exec, s[6:7]
	s_cbranch_execz .LBB343_9
; %bb.3:
	v_add_co_u32_e32 v6, vcc, 0x4000, v2
	v_add_u32_e32 v1, 0x6000, v0
	s_nop 0
	v_addc_co_u32_e32 v7, vcc, 0, v3, vcc
	global_load_dwordx4 v[6:9], v[6:7], off
	v_cmp_gt_u32_e32 vcc, s3, v1
	s_waitcnt vmcnt(0)
	ds_write_b128 v0, v[6:9] offset:16384
	s_and_saveexec_b64 s[6:7], vcc
	s_xor_b64 s[6:7], exec, s[6:7]
	s_cbranch_execz .LBB343_9
; %bb.4:
	v_add_co_u32_e32 v6, vcc, 0x6000, v2
	v_add_u32_e32 v1, 0x8000, v0
	s_nop 0
	v_addc_co_u32_e32 v7, vcc, 0, v3, vcc
	global_load_dwordx4 v[6:9], v[6:7], off
	v_cmp_gt_u32_e32 vcc, s3, v1
	s_waitcnt vmcnt(0)
	ds_write_b128 v0, v[6:9] offset:24576
	s_and_saveexec_b64 s[6:7], vcc
	s_xor_b64 s[6:7], exec, s[6:7]
	s_cbranch_execz .LBB343_9
; %bb.5:
	v_add_co_u32_e32 v6, vcc, 0x8000, v2
	v_add_u32_e32 v1, 0xa000, v0
	s_nop 0
	v_addc_co_u32_e32 v7, vcc, 0, v3, vcc
	global_load_dwordx4 v[6:9], v[6:7], off
	v_cmp_gt_u32_e32 vcc, s3, v1
	s_waitcnt vmcnt(0)
	ds_write_b128 v0, v[6:9] offset:32768
	s_and_saveexec_b64 s[6:7], vcc
	s_xor_b64 s[6:7], exec, s[6:7]
	s_cbranch_execz .LBB343_9
; %bb.6:
	v_add_co_u32_e32 v6, vcc, 0xa000, v2
	v_add_u32_e32 v1, 0xc000, v0
	s_nop 0
	v_addc_co_u32_e32 v7, vcc, 0, v3, vcc
	global_load_dwordx4 v[6:9], v[6:7], off
	v_cmp_gt_u32_e32 vcc, s3, v1
	s_waitcnt vmcnt(0)
	ds_write_b128 v0, v[6:9] offset:40960
	s_and_saveexec_b64 s[6:7], vcc
	s_xor_b64 s[6:7], exec, s[6:7]
	s_cbranch_execz .LBB343_9
; %bb.7:
	v_add_co_u32_e32 v6, vcc, 0xc000, v2
	v_add_u32_e32 v1, 0xe000, v0
	s_nop 0
	v_addc_co_u32_e32 v7, vcc, 0, v3, vcc
	global_load_dwordx4 v[6:9], v[6:7], off
	v_cmp_gt_u32_e32 vcc, s3, v1
	s_waitcnt vmcnt(0)
	ds_write_b128 v0, v[6:9] offset:49152
	s_and_saveexec_b64 s[6:7], vcc
	s_xor_b64 s[6:7], exec, s[6:7]
	s_cbranch_execz .LBB343_9
; %bb.8:
	v_add_co_u32_e32 v2, vcc, 0xe000, v2
	s_nop 1
	v_addc_co_u32_e32 v3, vcc, 0, v3, vcc
	global_load_dwordx4 v[6:9], v[2:3], off
	s_waitcnt vmcnt(0)
	ds_write_b128 v0, v[6:9] offset:57344
.LBB343_9:
	s_or_b64 exec, exec, s[4:5]
	s_load_dwordx2 s[22:23], s[0:1], 0x48
	;;#ASMSTART
	s_waitcnt vmcnt(0)
	;;#ASMEND
	s_waitcnt lgkmcnt(0)
	s_barrier
	v_cmp_gt_u32_e32 vcc, s22, v5
	s_and_saveexec_b64 s[4:5], vcc
	s_cbranch_execz .LBB343_45
; %bb.10:
	s_load_dwordx2 s[18:19], s[0:1], 0x10
	s_mul_i32 s2, s2, s22
	v_add_lshl_u32 v48, s2, v5, 1
	v_cmp_gt_u32_e32 vcc, s15, v48
	s_and_b64 exec, exec, vcc
	s_cbranch_execz .LBB343_45
; %bb.11:
	v_mbcnt_lo_u32_b32 v0, -1, 0
	v_mbcnt_hi_u32_b32 v0, -1, v0
	v_and_b32_e32 v1, 63, v0
	v_cmp_lt_u32_e32 vcc, 43, v1
	s_load_dwordx8 s[4:11], s[0:1], 0x28
	s_load_dwordx2 s[20:21], s[0:1], 0x18
	v_cndmask_b32_e64 v2, 20, 0, vcc
	v_add_lshl_u32 v57, v2, v0, 2
	s_waitcnt lgkmcnt(0)
	v_cvt_f32_u32_e32 v2, s18
	v_cmp_lt_u32_e32 vcc, 23, v1
	s_cmp_lg_u32 s12, 0
	s_cselect_b64 s[2:3], -1, 0
	v_cndmask_b32_e64 v1, 40, 0, vcc
	v_add_lshl_u32 v58, v1, v0, 2
	v_rcp_iflag_f32_e32 v0, v2
	s_add_i32 s30, s12, -16
	s_add_i32 s31, s15, -1
	s_mul_i32 s22, s22, s23
	v_mul_f32_e32 v0, 0x4f7ffffe, v0
	v_cvt_u32_f32_e32 v0, v0
	s_cmp_lg_u64 s[4:5], 0
	s_load_dword s28, s[8:9], 0x0
	s_load_dword s29, s[10:11], 0x0
	s_cselect_b64 s[10:11], -1, 0
	s_lshl_b32 s33, s22, 1
	s_sub_i32 s22, 0, s18
	s_abs_i32 s19, s19
	v_mul_lo_u32 v1, s22, v0
	s_sub_i32 s22, 1, s19
	s_cmp_lt_u32 s19, 2
	s_cselect_b32 s22, s22, 1
	s_sub_i32 s23, s22, s19
	v_mul_hi_u32 v1, v0, v1
	s_cmp_ge_u32 s22, s19
	v_add_u32_e32 v59, v0, v1
	s_cselect_b32 s19, s23, s22
	v_cndmask_b32_e64 v0, 0, 1, s[2:3]
	v_cmp_eq_u32_e64 s[0:1], 0, v4
	s_mov_b64 s[8:9], 0
	v_mov_b32_e32 v51, 0
	s_mul_i32 s19, s19, s18
	v_cmp_ne_u32_e64 s[2:3], 1, v0
	s_mov_b32 s34, 0xffff
	s_branch .LBB343_13
.LBB343_12:                             ;   in Loop: Header=BB343_13 Depth=1
	s_or_b64 exec, exec, s[22:23]
	v_add_u32_e32 v48, s33, v48
	v_cmp_le_u32_e32 vcc, s15, v48
	s_or_b64 s[8:9], vcc, s[8:9]
	s_andn2_b64 exec, exec, s[8:9]
	s_cbranch_execz .LBB343_45
.LBB343_13:                             ; =>This Loop Header: Depth=1
                                        ;     Child Loop BB343_18 Depth 2
	s_and_b64 vcc, exec, s[2:3]
	v_or_b32_e32 v60, 1, v48
	v_mov_b32_e32 v15, v51
	v_mov_b32_e32 v14, v51
	;; [unrolled: 1-line block ×4, first 2 shown]
	s_waitcnt vmcnt(2)
	v_mov_b32_e32 v11, v51
	v_mov_b32_e32 v10, v51
	s_waitcnt lgkmcnt(0)
	v_mov_b32_e32 v9, v51
	v_mov_b32_e32 v8, v51
	;; [unrolled: 1-line block ×10, first 2 shown]
	s_cbranch_vccnz .LBB343_36
; %bb.14:                               ;   in Loop: Header=BB343_13 Depth=1
	v_min_u32_e32 v0, s31, v48
	v_mul_lo_u32 v52, v0, s14
	v_or_b32_e32 v0, 1, v48
	v_min_u32_e32 v0, s31, v0
	v_mul_lo_u32 v54, v0, s14
	v_mov_b32_e32 v0, 0
	v_mov_b32_e32 v53, v51
	;; [unrolled: 1-line block ×3, first 2 shown]
	s_mov_b32 s35, 0
	v_mov_b32_e32 v1, v0
	v_mov_b32_e32 v2, v0
	;; [unrolled: 1-line block ×15, first 2 shown]
	s_branch .LBB343_18
.LBB343_15:                             ;   in Loop: Header=BB343_18 Depth=2
	s_or_b64 exec, exec, s[26:27]
.LBB343_16:                             ;   in Loop: Header=BB343_18 Depth=2
	s_or_b64 exec, exec, s[24:25]
.LBB343_17:                             ;   in Loop: Header=BB343_18 Depth=2
	s_or_b64 exec, exec, s[22:23]
	s_waitcnt vmcnt(0) lgkmcnt(0)
	v_mfma_f32_16x16x32_fp8_fp8 v[12:15], v[32:33], v[24:25], v[12:15]
	s_addk_i32 s35, 0x400
	s_cmp_ge_u32 s35, s12
	v_mfma_f32_16x16x32_fp8_fp8 v[8:11], v[32:33], v[28:29], v[8:11]
	v_mfma_f32_16x16x32_fp8_fp8 v[4:7], v[36:37], v[24:25], v[4:7]
	;; [unrolled: 1-line block ×15, first 2 shown]
	s_cbranch_scc1 .LBB343_36
.LBB343_18:                             ;   Parent Loop BB343_13 Depth=1
                                        ; =>  This Inner Loop Header: Depth=2
	v_add_u32_e32 v61, s35, v56
	v_min_u32_e32 v50, s30, v61
	v_lshl_add_u64 v[16:17], s[20:21], 0, v[50:51]
	v_add_u32_e32 v49, 0x200, v61
	v_lshl_add_u64 v[18:19], v[16:17], 0, v[52:53]
	v_lshl_add_u64 v[16:17], v[16:17], 0, v[54:55]
	v_min_u32_e32 v50, s30, v49
	global_load_dwordx4 v[24:27], v[18:19], off nt
	global_load_dwordx4 v[28:31], v[16:17], off nt
	v_lshl_add_u64 v[16:17], s[20:21], 0, v[50:51]
	v_lshl_add_u64 v[32:33], v[16:17], 0, v[52:53]
	;; [unrolled: 1-line block ×3, first 2 shown]
	global_load_dwordx4 v[20:23], v[32:33], off nt
	global_load_dwordx4 v[16:19], v[34:35], off nt
	v_mov_b64_e32 v[46:47], 0
	v_cmp_gt_u32_e32 vcc, s12, v61
	v_mov_b64_e32 v[44:45], v[46:47]
	v_mov_b64_e32 v[38:39], v[46:47]
	;; [unrolled: 1-line block ×7, first 2 shown]
	s_and_saveexec_b64 s[22:23], vcc
	s_cbranch_execz .LBB343_17
; %bb.19:                               ;   in Loop: Header=BB343_18 Depth=2
	v_cmp_lt_u32_e32 vcc, s34, v61
                                        ; implicit-def: $vgpr34_vgpr35
	s_and_saveexec_b64 s[24:25], vcc
	s_xor_b64 s[24:25], exec, s[24:25]
	s_cbranch_execz .LBB343_21
; %bb.20:                               ;   in Loop: Header=BB343_18 Depth=2
	global_load_dwordx4 v[32:35], v61, s[16:17]
.LBB343_21:                             ;   in Loop: Header=BB343_18 Depth=2
	s_andn2_saveexec_b64 s[24:25], s[24:25]
	s_cbranch_execz .LBB343_23
; %bb.22:                               ;   in Loop: Header=BB343_18 Depth=2
	s_waitcnt vmcnt(0)
	ds_read_b128 v[32:35], v61
.LBB343_23:                             ;   in Loop: Header=BB343_18 Depth=2
	s_or_b64 exec, exec, s[24:25]
	v_add_u32_e32 v50, s13, v61
	v_cmp_lt_u32_e32 vcc, s34, v50
                                        ; implicit-def: $vgpr38_vgpr39
	s_and_saveexec_b64 s[24:25], vcc
	s_xor_b64 s[24:25], exec, s[24:25]
	s_cbranch_execz .LBB343_25
; %bb.24:                               ;   in Loop: Header=BB343_18 Depth=2
	global_load_dwordx4 v[36:39], v50, s[16:17]
.LBB343_25:                             ;   in Loop: Header=BB343_18 Depth=2
	s_andn2_saveexec_b64 s[24:25], s[24:25]
	s_cbranch_execz .LBB343_27
; %bb.26:                               ;   in Loop: Header=BB343_18 Depth=2
	s_waitcnt vmcnt(0)
	ds_read_b128 v[36:39], v50
.LBB343_27:                             ;   in Loop: Header=BB343_18 Depth=2
	s_or_b64 exec, exec, s[24:25]
	v_mov_b64_e32 v[46:47], 0
	v_cmp_gt_u32_e32 vcc, s12, v49
	v_mov_b64_e32 v[44:45], v[46:47]
	v_mov_b64_e32 v[42:43], v[46:47]
	;; [unrolled: 1-line block ×3, first 2 shown]
	s_and_saveexec_b64 s[24:25], vcc
	s_cbranch_execz .LBB343_16
; %bb.28:                               ;   in Loop: Header=BB343_18 Depth=2
	v_cmp_lt_u32_e32 vcc, s34, v49
                                        ; implicit-def: $vgpr42_vgpr43
	s_and_saveexec_b64 s[26:27], vcc
	s_xor_b64 s[26:27], exec, s[26:27]
	s_cbranch_execz .LBB343_30
; %bb.29:                               ;   in Loop: Header=BB343_18 Depth=2
	global_load_dwordx4 v[40:43], v49, s[16:17]
                                        ; implicit-def: $vgpr61
.LBB343_30:                             ;   in Loop: Header=BB343_18 Depth=2
	s_andn2_saveexec_b64 s[26:27], s[26:27]
	s_cbranch_execz .LBB343_32
; %bb.31:                               ;   in Loop: Header=BB343_18 Depth=2
	s_waitcnt vmcnt(0)
	ds_read_b128 v[40:43], v61 offset:512
.LBB343_32:                             ;   in Loop: Header=BB343_18 Depth=2
	s_or_b64 exec, exec, s[26:27]
	v_add_u32_e32 v44, s13, v49
	v_cmp_lt_u32_e32 vcc, s34, v44
                                        ; implicit-def: $vgpr46_vgpr47
	s_and_saveexec_b64 s[26:27], vcc
	s_xor_b64 s[26:27], exec, s[26:27]
	s_cbranch_execz .LBB343_34
; %bb.33:                               ;   in Loop: Header=BB343_18 Depth=2
	global_load_dwordx4 v[44:47], v44, s[16:17]
                                        ; implicit-def: $vgpr50
.LBB343_34:                             ;   in Loop: Header=BB343_18 Depth=2
	s_andn2_saveexec_b64 s[26:27], s[26:27]
	s_cbranch_execz .LBB343_15
; %bb.35:                               ;   in Loop: Header=BB343_18 Depth=2
	s_waitcnt vmcnt(0)
	ds_read_b128 v[44:47], v50 offset:512
	s_branch .LBB343_15
.LBB343_36:                             ;   in Loop: Header=BB343_13 Depth=1
	s_nop 4
	v_cvt_i32_f32_e32 v5, v5
	v_cvt_i32_f32_e32 v13, v13
	;; [unrolled: 1-line block ×10, first 2 shown]
	v_cvt_f32_i32_dpp v5, v5 row_shl:1 row_mask:0xf bank_mask:0xf bound_ctrl:1
	v_cvt_i32_f32_e32 v7, v7
	v_cvt_i32_f32_e32 v3, v3
	v_cvt_f32_i32_dpp v13, v13 row_shl:1 row_mask:0xf bank_mask:0xf bound_ctrl:1
	v_cvt_f32_i32_dpp v14, v14 row_shl:2 row_mask:0xf bank_mask:0xf bound_ctrl:1
	;; [unrolled: 1-line block ×9, first 2 shown]
	v_add_f32_e32 v4, v4, v5
	v_cvt_f32_i32_dpp v5, v7 row_shl:3 row_mask:0xf bank_mask:0xf bound_ctrl:1
	v_cvt_f32_i32_dpp v3, v3 row_shl:3 row_mask:0xf bank_mask:0xf bound_ctrl:1
	v_add_f32_e32 v12, v12, v13
	v_add_f32_e32 v12, v12, v14
	;; [unrolled: 1-line block ×11, first 2 shown]
	ds_bpermute_b32 v13, v57, v12
	ds_bpermute_b32 v11, v57, v10
	;; [unrolled: 1-line block ×4, first 2 shown]
	s_waitcnt lgkmcnt(0)
	v_add_f32_e32 v8, v12, v13
	v_add_f32_e32 v6, v10, v11
	;; [unrolled: 1-line block ×4, first 2 shown]
	ds_bpermute_b32 v9, v58, v8
	ds_bpermute_b32 v7, v58, v6
	;; [unrolled: 1-line block ×4, first 2 shown]
	s_and_saveexec_b64 s[22:23], s[0:1]
	s_cbranch_execz .LBB343_12
; %bb.37:                               ;   in Loop: Header=BB343_13 Depth=1
	s_and_b64 vcc, exec, s[10:11]
	s_cbranch_vccz .LBB343_44
; %bb.38:                               ;   in Loop: Header=BB343_13 Depth=1
	v_mul_hi_u32 v0, v48, v59
	v_mul_lo_u32 v0, v0, s18
	v_sub_u32_e32 v0, v48, v0
	v_subrev_u32_e32 v1, s18, v0
	v_cmp_le_u32_e32 vcc, s18, v0
	v_or_b32_e32 v10, 1, v48
	v_mov_b32_e32 v49, v51
	v_cndmask_b32_e32 v0, v0, v1, vcc
	v_subrev_u32_e32 v1, s18, v0
	v_cmp_le_u32_e32 vcc, s18, v0
	s_nop 1
	v_cndmask_b32_e32 v50, v0, v1, vcc
	v_mul_hi_u32 v0, v10, v59
	v_mul_lo_u32 v0, v0, s18
	v_sub_u32_e32 v0, v10, v0
	v_subrev_u32_e32 v1, s18, v0
	v_cmp_le_u32_e32 vcc, s18, v0
	v_lshl_add_u64 v[14:15], v[50:51], 1, s[4:5]
	v_add_u32_e32 v50, s19, v50
	v_cndmask_b32_e32 v0, v0, v1, vcc
	v_subrev_u32_e32 v1, s18, v0
	v_cmp_le_u32_e32 vcc, s18, v0
	v_lshl_add_u64 v[18:19], v[50:51], 1, s[4:5]
	s_nop 0
	v_cndmask_b32_e32 v0, v0, v1, vcc
	v_mov_b32_e32 v1, v51
	v_add_u32_e32 v50, s19, v0
	v_lshl_add_u64 v[16:17], v[0:1], 1, s[4:5]
	v_lshl_add_u64 v[20:21], v[50:51], 1, s[4:5]
	global_load_ushort v0, v[14:15], off
	global_load_ushort v13, v[16:17], off
	;; [unrolled: 1-line block ×4, first 2 shown]
	s_cbranch_execnz .LBB343_40
.LBB343_39:                             ;   in Loop: Header=BB343_13 Depth=1
	v_mov_b32_e32 v49, v51
	s_waitcnt vmcnt(0)
	v_mov_b32_e32 v11, 0
	v_mov_b32_e32 v10, v60
	;; [unrolled: 1-line block ×5, first 2 shown]
.LBB343_40:                             ;   in Loop: Header=BB343_13 Depth=1
	s_waitcnt lgkmcnt(3)
	v_add_f32_e32 v1, v8, v9
	v_mul_f32_e32 v1, s28, v1
	s_waitcnt vmcnt(3)
	v_fma_mixlo_f16 v8, s29, v1, v0 op_sel_hi:[0,0,1]
	v_lshl_add_u64 v[0:1], v[48:49], 1, s[6:7]
	v_cmp_gt_u32_e32 vcc, s15, v10
	global_store_short v[0:1], v8, off
	s_and_saveexec_b64 s[24:25], vcc
	s_cbranch_execz .LBB343_42
; %bb.41:                               ;   in Loop: Header=BB343_13 Depth=1
	s_waitcnt lgkmcnt(2)
	v_add_f32_e32 v6, v6, v7
	v_mul_f32_e32 v6, s28, v6
	s_waitcnt vmcnt(3)
	v_fma_mixlo_f16 v6, s29, v6, v13 op_sel_hi:[0,0,1]
	global_store_short v[0:1], v6, off offset:2
.LBB343_42:                             ;   in Loop: Header=BB343_13 Depth=1
	s_or_b64 exec, exec, s[24:25]
	s_waitcnt lgkmcnt(1)
	v_add_f32_e32 v0, v4, v5
	v_mul_f32_e32 v0, s28, v0
	v_add_u32_e32 v50, s15, v48
	s_waitcnt vmcnt(2)
	v_fma_mixlo_f16 v4, s29, v0, v12 op_sel_hi:[0,0,1]
	v_lshl_add_u64 v[0:1], v[50:51], 1, s[6:7]
	global_store_short v[0:1], v4, off
	s_and_b64 exec, exec, vcc
	s_cbranch_execz .LBB343_12
; %bb.43:                               ;   in Loop: Header=BB343_13 Depth=1
	s_waitcnt lgkmcnt(0)
	v_add_f32_e32 v0, v2, v3
	v_mul_f32_e32 v0, s28, v0
	v_add_u32_e32 v50, s15, v10
	s_waitcnt vmcnt(2)
	v_fma_mixlo_f16 v2, s29, v0, v11 op_sel_hi:[0,0,1]
	v_lshl_add_u64 v[0:1], v[50:51], 1, s[6:7]
	global_store_short v[0:1], v2, off
	s_branch .LBB343_12
.LBB343_44:                             ;   in Loop: Header=BB343_13 Depth=1
                                        ; implicit-def: $vgpr0
                                        ; implicit-def: $vgpr13
                                        ; implicit-def: $vgpr12
                                        ; implicit-def: $vgpr11
                                        ; implicit-def: $vgpr10
	s_branch .LBB343_39
.LBB343_45:
	s_endpgm
	.section	.rodata,"a",@progbits
	.p2align	6, 0x0
	.amdhsa_kernel _Z13wvSplitKQ_hf_I6__halfN3c1013Float8_e4m3fnELi32ELi2ELi16ELi16ELi2ELi2EEviiiiiiPKT0_S5_PKT_PS6_PKfSB_ii
		.amdhsa_group_segment_fixed_size 65536
		.amdhsa_private_segment_fixed_size 0
		.amdhsa_kernarg_size 80
		.amdhsa_user_sgpr_count 2
		.amdhsa_user_sgpr_dispatch_ptr 0
		.amdhsa_user_sgpr_queue_ptr 0
		.amdhsa_user_sgpr_kernarg_segment_ptr 1
		.amdhsa_user_sgpr_dispatch_id 0
		.amdhsa_user_sgpr_kernarg_preload_length 0
		.amdhsa_user_sgpr_kernarg_preload_offset 0
		.amdhsa_user_sgpr_private_segment_size 0
		.amdhsa_uses_dynamic_stack 0
		.amdhsa_enable_private_segment 0
		.amdhsa_system_sgpr_workgroup_id_x 1
		.amdhsa_system_sgpr_workgroup_id_y 0
		.amdhsa_system_sgpr_workgroup_id_z 0
		.amdhsa_system_sgpr_workgroup_info 0
		.amdhsa_system_vgpr_workitem_id 1
		.amdhsa_next_free_vgpr 62
		.amdhsa_next_free_sgpr 36
		.amdhsa_accum_offset 64
		.amdhsa_reserve_vcc 1
		.amdhsa_float_round_mode_32 0
		.amdhsa_float_round_mode_16_64 0
		.amdhsa_float_denorm_mode_32 3
		.amdhsa_float_denorm_mode_16_64 3
		.amdhsa_dx10_clamp 1
		.amdhsa_ieee_mode 1
		.amdhsa_fp16_overflow 0
		.amdhsa_tg_split 0
		.amdhsa_exception_fp_ieee_invalid_op 0
		.amdhsa_exception_fp_denorm_src 0
		.amdhsa_exception_fp_ieee_div_zero 0
		.amdhsa_exception_fp_ieee_overflow 0
		.amdhsa_exception_fp_ieee_underflow 0
		.amdhsa_exception_fp_ieee_inexact 0
		.amdhsa_exception_int_div_zero 0
	.end_amdhsa_kernel
	.section	.text._Z13wvSplitKQ_hf_I6__halfN3c1013Float8_e4m3fnELi32ELi2ELi16ELi16ELi2ELi2EEviiiiiiPKT0_S5_PKT_PS6_PKfSB_ii,"axG",@progbits,_Z13wvSplitKQ_hf_I6__halfN3c1013Float8_e4m3fnELi32ELi2ELi16ELi16ELi2ELi2EEviiiiiiPKT0_S5_PKT_PS6_PKfSB_ii,comdat
.Lfunc_end343:
	.size	_Z13wvSplitKQ_hf_I6__halfN3c1013Float8_e4m3fnELi32ELi2ELi16ELi16ELi2ELi2EEviiiiiiPKT0_S5_PKT_PS6_PKfSB_ii, .Lfunc_end343-_Z13wvSplitKQ_hf_I6__halfN3c1013Float8_e4m3fnELi32ELi2ELi16ELi16ELi2ELi2EEviiiiiiPKT0_S5_PKT_PS6_PKfSB_ii
                                        ; -- End function
	.section	.AMDGPU.csdata,"",@progbits
; Kernel info:
; codeLenInByte = 2292
; NumSgprs: 42
; NumVgprs: 62
; NumAgprs: 0
; TotalNumVgprs: 62
; ScratchSize: 0
; MemoryBound: 1
; FloatMode: 240
; IeeeMode: 1
; LDSByteSize: 65536 bytes/workgroup (compile time only)
; SGPRBlocks: 5
; VGPRBlocks: 7
; NumSGPRsForWavesPerEU: 42
; NumVGPRsForWavesPerEU: 62
; AccumOffset: 64
; Occupancy: 2
; WaveLimiterHint : 0
; COMPUTE_PGM_RSRC2:SCRATCH_EN: 0
; COMPUTE_PGM_RSRC2:USER_SGPR: 2
; COMPUTE_PGM_RSRC2:TRAP_HANDLER: 0
; COMPUTE_PGM_RSRC2:TGID_X_EN: 1
; COMPUTE_PGM_RSRC2:TGID_Y_EN: 0
; COMPUTE_PGM_RSRC2:TGID_Z_EN: 0
; COMPUTE_PGM_RSRC2:TIDIG_COMP_CNT: 1
; COMPUTE_PGM_RSRC3_GFX90A:ACCUM_OFFSET: 15
; COMPUTE_PGM_RSRC3_GFX90A:TG_SPLIT: 0
	.section	.text._Z17wvSplitKQ_hf_sml_I6__halfN3c1013Float8_e4m3fnELi64ELi2ELi16ELi16ELi2ELi2EEviiiiiiPKT0_S5_PKT_PS6_PKfSB_ii,"axG",@progbits,_Z17wvSplitKQ_hf_sml_I6__halfN3c1013Float8_e4m3fnELi64ELi2ELi16ELi16ELi2ELi2EEviiiiiiPKT0_S5_PKT_PS6_PKfSB_ii,comdat
	.protected	_Z17wvSplitKQ_hf_sml_I6__halfN3c1013Float8_e4m3fnELi64ELi2ELi16ELi16ELi2ELi2EEviiiiiiPKT0_S5_PKT_PS6_PKfSB_ii ; -- Begin function _Z17wvSplitKQ_hf_sml_I6__halfN3c1013Float8_e4m3fnELi64ELi2ELi16ELi16ELi2ELi2EEviiiiiiPKT0_S5_PKT_PS6_PKfSB_ii
	.globl	_Z17wvSplitKQ_hf_sml_I6__halfN3c1013Float8_e4m3fnELi64ELi2ELi16ELi16ELi2ELi2EEviiiiiiPKT0_S5_PKT_PS6_PKfSB_ii
	.p2align	8
	.type	_Z17wvSplitKQ_hf_sml_I6__halfN3c1013Float8_e4m3fnELi64ELi2ELi16ELi16ELi2ELi2EEviiiiiiPKT0_S5_PKT_PS6_PKfSB_ii,@function
_Z17wvSplitKQ_hf_sml_I6__halfN3c1013Float8_e4m3fnELi64ELi2ELi16ELi16ELi2ELi2EEviiiiiiPKT0_S5_PKT_PS6_PKfSB_ii: ; @_Z17wvSplitKQ_hf_sml_I6__halfN3c1013Float8_e4m3fnELi64ELi2ELi16ELi16ELi2ELi2EEviiiiiiPKT0_S5_PKT_PS6_PKfSB_ii
; %bb.0:
	s_load_dwordx4 s[4:7], s[0:1], 0x0
	s_load_dwordx2 s[12:13], s[0:1], 0x10
	s_load_dwordx4 s[8:11], s[0:1], 0x38
	s_load_dwordx2 s[14:15], s[0:1], 0x28
	v_and_b32_e32 v2, 0x3ff, v0
	v_bfe_u32 v3, v0, 10, 10
	v_lshlrev_b32_e32 v48, 4, v2
	s_waitcnt lgkmcnt(0)
	s_lshl_b32 s3, s5, 1
	v_lshl_add_u32 v4, v3, 10, v48
	s_min_u32 s3, s3, 0x10000
	v_cmp_gt_u32_e32 vcc, s3, v4
	s_and_saveexec_b64 s[16:17], vcc
	s_cbranch_execz .LBB344_3
; %bb.1:
	s_load_dwordx2 s[18:19], s[0:1], 0x20
	v_mov_b32_e32 v1, 0
	v_lshlrev_b32_e32 v0, 10, v3
	v_mov_b32_e32 v49, v1
	v_lshl_add_u64 v[0:1], v[0:1], 0, v[48:49]
	s_waitcnt lgkmcnt(0)
	v_lshl_add_u64 v[0:1], s[18:19], 0, v[0:1]
	s_mov_b64 s[18:19], 0
	s_mov_b64 s[20:21], 0x4000
.LBB344_2:                              ; =>This Inner Loop Header: Depth=1
	global_load_dwordx4 v[6:9], v[0:1], off
	v_lshl_add_u64 v[0:1], v[0:1], 0, s[20:21]
	s_waitcnt vmcnt(0)
	ds_write_b128 v4, v[6:9]
	v_add_u32_e32 v4, 0x4000, v4
	v_cmp_le_u32_e32 vcc, s3, v4
	s_or_b64 s[18:19], vcc, s[18:19]
	s_andn2_b64 exec, exec, s[18:19]
	s_cbranch_execnz .LBB344_2
.LBB344_3:
	s_or_b64 exec, exec, s[16:17]
	s_load_dwordx2 s[20:21], s[0:1], 0x48
	;;#ASMSTART
	s_waitcnt vmcnt(0)
	;;#ASMEND
	s_waitcnt lgkmcnt(0)
	s_barrier
	v_cmp_gt_u32_e32 vcc, s20, v3
	s_and_saveexec_b64 s[16:17], vcc
	s_cbranch_execz .LBB344_23
; %bb.4:
	s_mul_i32 s2, s2, s20
	v_add_lshl_u32 v50, s2, v3, 1
	v_cmp_gt_u32_e32 vcc, s7, v50
	s_and_b64 exec, exec, vcc
	s_cbranch_execz .LBB344_23
; %bb.5:
	v_mbcnt_lo_u32_b32 v0, -1, 0
	v_mbcnt_hi_u32_b32 v0, -1, v0
	v_and_b32_e32 v1, 63, v0
	v_cmp_lt_u32_e32 vcc, 43, v1
	s_cmp_lg_u32 s4, 0
	s_cselect_b64 s[2:3], -1, 0
	v_cndmask_b32_e64 v3, 20, 0, vcc
	v_add_lshl_u32 v49, v3, v0, 2
	v_cvt_f32_u32_e32 v3, s12
	v_cmp_lt_u32_e32 vcc, 23, v1
	s_add_i32 s26, s4, -16
	s_add_i32 s27, s7, -1
	v_cndmask_b32_e64 v1, 40, 0, vcc
	v_add_lshl_u32 v58, v1, v0, 2
	v_rcp_iflag_f32_e32 v0, v3
	s_mul_i32 s20, s20, s21
	s_cmp_lg_u64 s[14:15], 0
	s_load_dword s24, s[8:9], 0x0
	s_load_dword s25, s[10:11], 0x0
	s_load_dwordx2 s[16:17], s[0:1], 0x18
	s_load_dwordx2 s[18:19], s[0:1], 0x30
	v_mul_f32_e32 v0, 0x4f7ffffe, v0
	v_cvt_u32_f32_e32 v0, v0
	s_cselect_b64 s[10:11], -1, 0
	s_lshl_b32 s28, s20, 1
	s_sub_i32 s20, 0, s12
	s_abs_i32 s13, s13
	v_mul_lo_u32 v1, s20, v0
	s_sub_i32 s20, 1, s13
	s_cmp_lt_u32 s13, 2
	s_cselect_b32 s20, s20, 1
	s_sub_i32 s21, s20, s13
	v_mul_hi_u32 v1, v0, v1
	s_cmp_ge_u32 s20, s13
	v_add_u32_e32 v59, v0, v1
	s_cselect_b32 s13, s21, s20
	v_cndmask_b32_e64 v0, 0, 1, s[2:3]
	v_cmp_eq_u32_e64 s[0:1], 0, v2
	s_mov_b64 s[8:9], 0
	v_mov_b32_e32 v53, 0
	s_mul_i32 s13, s13, s12
	v_add_u32_e32 v60, s5, v48
	v_cmp_ne_u32_e64 s[2:3], 1, v0
	s_branch .LBB344_7
.LBB344_6:                              ;   in Loop: Header=BB344_7 Depth=1
	s_or_b64 exec, exec, s[20:21]
	v_add_u32_e32 v50, s28, v50
	v_cmp_le_u32_e32 vcc, s7, v50
	s_or_b64 s[8:9], vcc, s[8:9]
	s_andn2_b64 exec, exec, s[8:9]
	s_cbranch_execz .LBB344_23
.LBB344_7:                              ; =>This Loop Header: Depth=1
                                        ;     Child Loop BB344_11 Depth 2
	s_and_b64 vcc, exec, s[2:3]
	v_or_b32_e32 v61, 1, v50
	v_mov_b32_e32 v15, v53
	v_mov_b32_e32 v14, v53
	;; [unrolled: 1-line block ×4, first 2 shown]
	s_waitcnt vmcnt(2)
	v_mov_b32_e32 v11, v53
	v_mov_b32_e32 v10, v53
	s_waitcnt lgkmcnt(0)
	v_mov_b32_e32 v9, v53
	v_mov_b32_e32 v8, v53
	;; [unrolled: 1-line block ×10, first 2 shown]
	s_cbranch_vccnz .LBB344_14
; %bb.8:                                ;   in Loop: Header=BB344_7 Depth=1
	v_min_u32_e32 v0, s27, v50
	v_mul_lo_u32 v54, v0, s6
	v_or_b32_e32 v0, 1, v50
	v_min_u32_e32 v0, s27, v0
	v_mul_lo_u32 v56, v0, s6
	v_mov_b32_e32 v0, 0
	v_mov_b32_e32 v55, v53
	;; [unrolled: 1-line block ×3, first 2 shown]
	s_mov_b32 s5, 0
	v_mov_b32_e32 v1, v0
	v_mov_b32_e32 v2, v0
	v_mov_b32_e32 v3, v0
	v_mov_b32_e32 v4, v0
	v_mov_b32_e32 v5, v0
	v_mov_b32_e32 v6, v0
	v_mov_b32_e32 v7, v0
	v_mov_b32_e32 v8, v0
	v_mov_b32_e32 v9, v0
	v_mov_b32_e32 v10, v0
	v_mov_b32_e32 v11, v0
	v_mov_b32_e32 v12, v0
	v_mov_b32_e32 v13, v0
	v_mov_b32_e32 v14, v0
	v_mov_b32_e32 v15, v0
	s_branch .LBB344_11
.LBB344_9:                              ;   in Loop: Header=BB344_11 Depth=2
	s_or_b64 exec, exec, s[22:23]
.LBB344_10:                             ;   in Loop: Header=BB344_11 Depth=2
	s_or_b64 exec, exec, s[20:21]
	s_waitcnt vmcnt(3) lgkmcnt(1)
	v_mfma_f32_16x16x32_fp8_fp8 v[12:15], v[40:41], v[28:29], v[12:15]
	s_addk_i32 s5, 0x800
	s_cmp_ge_u32 s5, s4
	s_waitcnt vmcnt(2)
	v_mfma_f32_16x16x32_fp8_fp8 v[8:11], v[40:41], v[32:33], v[8:11]
	s_waitcnt lgkmcnt(0)
	v_mfma_f32_16x16x32_fp8_fp8 v[4:7], v[44:45], v[28:29], v[4:7]
	v_mfma_f32_16x16x32_fp8_fp8 v[0:3], v[44:45], v[32:33], v[0:3]
	;; [unrolled: 1-line block ×6, first 2 shown]
	s_waitcnt vmcnt(1)
	v_mfma_f32_16x16x32_fp8_fp8 v[12:15], v[36:37], v[20:21], v[12:15]
	s_waitcnt vmcnt(0)
	v_mfma_f32_16x16x32_fp8_fp8 v[8:11], v[36:37], v[16:17], v[8:11]
	v_mfma_f32_16x16x32_fp8_fp8 v[4:7], v[24:25], v[20:21], v[4:7]
	;; [unrolled: 1-line block ×7, first 2 shown]
	s_cbranch_scc1 .LBB344_14
.LBB344_11:                             ;   Parent Loop BB344_7 Depth=1
                                        ; =>  This Inner Loop Header: Depth=2
	v_add_u32_e32 v51, s5, v48
	v_min_u32_e32 v52, s26, v51
	s_waitcnt lgkmcnt(0)
	v_lshl_add_u64 v[16:17], s[16:17], 0, v[52:53]
	v_add_u32_e32 v62, 0x400, v51
	v_lshl_add_u64 v[18:19], v[16:17], 0, v[54:55]
	v_lshl_add_u64 v[16:17], v[16:17], 0, v[56:57]
	v_min_u32_e32 v52, s26, v62
	global_load_dwordx4 v[28:31], v[18:19], off nt
	global_load_dwordx4 v[32:35], v[16:17], off nt
	v_lshl_add_u64 v[16:17], s[16:17], 0, v[52:53]
	v_lshl_add_u64 v[24:25], v[16:17], 0, v[54:55]
	;; [unrolled: 1-line block ×3, first 2 shown]
	global_load_dwordx4 v[20:23], v[24:25], off nt
	global_load_dwordx4 v[16:19], v[26:27], off nt
	v_mov_b64_e32 v[40:41], 0
	v_cmp_gt_u32_e32 vcc, s4, v51
	v_mov_b64_e32 v[42:43], v[40:41]
	v_mov_b64_e32 v[36:37], v[40:41]
	;; [unrolled: 1-line block ×7, first 2 shown]
	s_and_saveexec_b64 s[20:21], vcc
	s_cbranch_execz .LBB344_10
; %bb.12:                               ;   in Loop: Header=BB344_11 Depth=2
	v_add_u32_e32 v52, s5, v60
	ds_read_b128 v[40:43], v51
	ds_read_b128 v[44:47], v52
	v_mov_b64_e32 v[26:27], 0
	v_cmp_gt_u32_e32 vcc, s4, v62
	v_mov_b64_e32 v[24:25], v[26:27]
	v_mov_b64_e32 v[38:39], v[26:27]
	;; [unrolled: 1-line block ×3, first 2 shown]
	s_and_saveexec_b64 s[22:23], vcc
	s_cbranch_execz .LBB344_9
; %bb.13:                               ;   in Loop: Header=BB344_11 Depth=2
	ds_read_b128 v[36:39], v51 offset:1024
	ds_read_b128 v[24:27], v52 offset:1024
	s_branch .LBB344_9
.LBB344_14:                             ;   in Loop: Header=BB344_7 Depth=1
	s_nop 4
	v_cvt_i32_f32_e32 v5, v5
	v_cvt_i32_f32_e32 v13, v13
	;; [unrolled: 1-line block ×10, first 2 shown]
	v_cvt_f32_i32_dpp v5, v5 row_shl:1 row_mask:0xf bank_mask:0xf bound_ctrl:1
	v_cvt_i32_f32_e32 v7, v7
	v_cvt_i32_f32_e32 v3, v3
	v_cvt_f32_i32_dpp v13, v13 row_shl:1 row_mask:0xf bank_mask:0xf bound_ctrl:1
	v_cvt_f32_i32_dpp v14, v14 row_shl:2 row_mask:0xf bank_mask:0xf bound_ctrl:1
	;; [unrolled: 1-line block ×9, first 2 shown]
	v_add_f32_e32 v4, v4, v5
	v_cvt_f32_i32_dpp v5, v7 row_shl:3 row_mask:0xf bank_mask:0xf bound_ctrl:1
	v_cvt_f32_i32_dpp v3, v3 row_shl:3 row_mask:0xf bank_mask:0xf bound_ctrl:1
	v_add_f32_e32 v12, v12, v13
	v_add_f32_e32 v12, v12, v14
	;; [unrolled: 1-line block ×11, first 2 shown]
	ds_bpermute_b32 v13, v49, v12
	ds_bpermute_b32 v11, v49, v10
	;; [unrolled: 1-line block ×4, first 2 shown]
	s_waitcnt lgkmcnt(0)
	v_add_f32_e32 v8, v12, v13
	v_add_f32_e32 v6, v10, v11
	;; [unrolled: 1-line block ×4, first 2 shown]
	ds_bpermute_b32 v9, v58, v8
	ds_bpermute_b32 v7, v58, v6
	;; [unrolled: 1-line block ×4, first 2 shown]
	s_and_saveexec_b64 s[20:21], s[0:1]
	s_cbranch_execz .LBB344_6
; %bb.15:                               ;   in Loop: Header=BB344_7 Depth=1
	s_and_b64 vcc, exec, s[10:11]
	s_cbranch_vccz .LBB344_22
; %bb.16:                               ;   in Loop: Header=BB344_7 Depth=1
	v_mul_hi_u32 v0, v50, v59
	v_mul_lo_u32 v0, v0, s12
	v_sub_u32_e32 v0, v50, v0
	v_subrev_u32_e32 v1, s12, v0
	v_cmp_le_u32_e32 vcc, s12, v0
	v_or_b32_e32 v10, 1, v50
	v_mov_b32_e32 v51, v53
	v_cndmask_b32_e32 v0, v0, v1, vcc
	v_subrev_u32_e32 v1, s12, v0
	v_cmp_le_u32_e32 vcc, s12, v0
	s_nop 1
	v_cndmask_b32_e32 v52, v0, v1, vcc
	v_mul_hi_u32 v0, v10, v59
	v_mul_lo_u32 v0, v0, s12
	v_sub_u32_e32 v0, v10, v0
	v_subrev_u32_e32 v1, s12, v0
	v_cmp_le_u32_e32 vcc, s12, v0
	v_lshl_add_u64 v[14:15], v[52:53], 1, s[14:15]
	v_add_u32_e32 v52, s13, v52
	v_cndmask_b32_e32 v0, v0, v1, vcc
	v_subrev_u32_e32 v1, s12, v0
	v_cmp_le_u32_e32 vcc, s12, v0
	v_lshl_add_u64 v[18:19], v[52:53], 1, s[14:15]
	s_nop 0
	v_cndmask_b32_e32 v0, v0, v1, vcc
	v_mov_b32_e32 v1, v53
	v_add_u32_e32 v52, s13, v0
	v_lshl_add_u64 v[16:17], v[0:1], 1, s[14:15]
	v_lshl_add_u64 v[20:21], v[52:53], 1, s[14:15]
	global_load_ushort v0, v[14:15], off
	global_load_ushort v13, v[16:17], off
	;; [unrolled: 1-line block ×4, first 2 shown]
	s_cbranch_execnz .LBB344_18
.LBB344_17:                             ;   in Loop: Header=BB344_7 Depth=1
	v_mov_b32_e32 v51, v53
	s_waitcnt vmcnt(0)
	v_mov_b32_e32 v11, 0
	v_mov_b32_e32 v10, v61
	;; [unrolled: 1-line block ×5, first 2 shown]
.LBB344_18:                             ;   in Loop: Header=BB344_7 Depth=1
	s_waitcnt lgkmcnt(3)
	v_add_f32_e32 v1, v8, v9
	v_mul_f32_e32 v1, s24, v1
	s_waitcnt vmcnt(3)
	v_fma_mixlo_f16 v8, s25, v1, v0 op_sel_hi:[0,0,1]
	v_lshl_add_u64 v[0:1], v[50:51], 1, s[18:19]
	v_cmp_gt_u32_e32 vcc, s7, v10
	global_store_short v[0:1], v8, off
	s_and_saveexec_b64 s[22:23], vcc
	s_cbranch_execz .LBB344_20
; %bb.19:                               ;   in Loop: Header=BB344_7 Depth=1
	s_waitcnt lgkmcnt(2)
	v_add_f32_e32 v6, v6, v7
	v_mul_f32_e32 v6, s24, v6
	s_waitcnt vmcnt(3)
	v_fma_mixlo_f16 v6, s25, v6, v13 op_sel_hi:[0,0,1]
	global_store_short v[0:1], v6, off offset:2
.LBB344_20:                             ;   in Loop: Header=BB344_7 Depth=1
	s_or_b64 exec, exec, s[22:23]
	s_waitcnt lgkmcnt(1)
	v_add_f32_e32 v0, v4, v5
	v_mul_f32_e32 v0, s24, v0
	v_add_u32_e32 v52, s7, v50
	s_waitcnt vmcnt(2)
	v_fma_mixlo_f16 v4, s25, v0, v12 op_sel_hi:[0,0,1]
	v_lshl_add_u64 v[0:1], v[52:53], 1, s[18:19]
	global_store_short v[0:1], v4, off
	s_and_b64 exec, exec, vcc
	s_cbranch_execz .LBB344_6
; %bb.21:                               ;   in Loop: Header=BB344_7 Depth=1
	s_waitcnt lgkmcnt(0)
	v_add_f32_e32 v0, v2, v3
	v_mul_f32_e32 v0, s24, v0
	v_add_u32_e32 v52, s7, v10
	s_waitcnt vmcnt(2)
	v_fma_mixlo_f16 v2, s25, v0, v11 op_sel_hi:[0,0,1]
	v_lshl_add_u64 v[0:1], v[52:53], 1, s[18:19]
	global_store_short v[0:1], v2, off
	s_branch .LBB344_6
.LBB344_22:                             ;   in Loop: Header=BB344_7 Depth=1
                                        ; implicit-def: $vgpr0
                                        ; implicit-def: $vgpr13
                                        ; implicit-def: $vgpr12
                                        ; implicit-def: $vgpr11
                                        ; implicit-def: $vgpr10
	s_branch .LBB344_17
.LBB344_23:
	s_endpgm
	.section	.rodata,"a",@progbits
	.p2align	6, 0x0
	.amdhsa_kernel _Z17wvSplitKQ_hf_sml_I6__halfN3c1013Float8_e4m3fnELi64ELi2ELi16ELi16ELi2ELi2EEviiiiiiPKT0_S5_PKT_PS6_PKfSB_ii
		.amdhsa_group_segment_fixed_size 65536
		.amdhsa_private_segment_fixed_size 0
		.amdhsa_kernarg_size 80
		.amdhsa_user_sgpr_count 2
		.amdhsa_user_sgpr_dispatch_ptr 0
		.amdhsa_user_sgpr_queue_ptr 0
		.amdhsa_user_sgpr_kernarg_segment_ptr 1
		.amdhsa_user_sgpr_dispatch_id 0
		.amdhsa_user_sgpr_kernarg_preload_length 0
		.amdhsa_user_sgpr_kernarg_preload_offset 0
		.amdhsa_user_sgpr_private_segment_size 0
		.amdhsa_uses_dynamic_stack 0
		.amdhsa_enable_private_segment 0
		.amdhsa_system_sgpr_workgroup_id_x 1
		.amdhsa_system_sgpr_workgroup_id_y 0
		.amdhsa_system_sgpr_workgroup_id_z 0
		.amdhsa_system_sgpr_workgroup_info 0
		.amdhsa_system_vgpr_workitem_id 1
		.amdhsa_next_free_vgpr 63
		.amdhsa_next_free_sgpr 29
		.amdhsa_accum_offset 64
		.amdhsa_reserve_vcc 1
		.amdhsa_float_round_mode_32 0
		.amdhsa_float_round_mode_16_64 0
		.amdhsa_float_denorm_mode_32 3
		.amdhsa_float_denorm_mode_16_64 3
		.amdhsa_dx10_clamp 1
		.amdhsa_ieee_mode 1
		.amdhsa_fp16_overflow 0
		.amdhsa_tg_split 0
		.amdhsa_exception_fp_ieee_invalid_op 0
		.amdhsa_exception_fp_denorm_src 0
		.amdhsa_exception_fp_ieee_div_zero 0
		.amdhsa_exception_fp_ieee_overflow 0
		.amdhsa_exception_fp_ieee_underflow 0
		.amdhsa_exception_fp_ieee_inexact 0
		.amdhsa_exception_int_div_zero 0
	.end_amdhsa_kernel
	.section	.text._Z17wvSplitKQ_hf_sml_I6__halfN3c1013Float8_e4m3fnELi64ELi2ELi16ELi16ELi2ELi2EEviiiiiiPKT0_S5_PKT_PS6_PKfSB_ii,"axG",@progbits,_Z17wvSplitKQ_hf_sml_I6__halfN3c1013Float8_e4m3fnELi64ELi2ELi16ELi16ELi2ELi2EEviiiiiiPKT0_S5_PKT_PS6_PKfSB_ii,comdat
.Lfunc_end344:
	.size	_Z17wvSplitKQ_hf_sml_I6__halfN3c1013Float8_e4m3fnELi64ELi2ELi16ELi16ELi2ELi2EEviiiiiiPKT0_S5_PKT_PS6_PKfSB_ii, .Lfunc_end344-_Z17wvSplitKQ_hf_sml_I6__halfN3c1013Float8_e4m3fnELi64ELi2ELi16ELi16ELi2ELi2EEviiiiiiPKT0_S5_PKT_PS6_PKfSB_ii
                                        ; -- End function
	.section	.AMDGPU.csdata,"",@progbits
; Kernel info:
; codeLenInByte = 1800
; NumSgprs: 35
; NumVgprs: 63
; NumAgprs: 0
; TotalNumVgprs: 63
; ScratchSize: 0
; MemoryBound: 0
; FloatMode: 240
; IeeeMode: 1
; LDSByteSize: 65536 bytes/workgroup (compile time only)
; SGPRBlocks: 4
; VGPRBlocks: 7
; NumSGPRsForWavesPerEU: 35
; NumVGPRsForWavesPerEU: 63
; AccumOffset: 64
; Occupancy: 4
; WaveLimiterHint : 0
; COMPUTE_PGM_RSRC2:SCRATCH_EN: 0
; COMPUTE_PGM_RSRC2:USER_SGPR: 2
; COMPUTE_PGM_RSRC2:TRAP_HANDLER: 0
; COMPUTE_PGM_RSRC2:TGID_X_EN: 1
; COMPUTE_PGM_RSRC2:TGID_Y_EN: 0
; COMPUTE_PGM_RSRC2:TGID_Z_EN: 0
; COMPUTE_PGM_RSRC2:TIDIG_COMP_CNT: 1
; COMPUTE_PGM_RSRC3_GFX90A:ACCUM_OFFSET: 15
; COMPUTE_PGM_RSRC3_GFX90A:TG_SPLIT: 0
	.section	.text._Z13wvSplitKQ_hf_I6__halfN3c1013Float8_e4m3fnELi64ELi2ELi16ELi16ELi2ELi2EEviiiiiiPKT0_S5_PKT_PS6_PKfSB_ii,"axG",@progbits,_Z13wvSplitKQ_hf_I6__halfN3c1013Float8_e4m3fnELi64ELi2ELi16ELi16ELi2ELi2EEviiiiiiPKT0_S5_PKT_PS6_PKfSB_ii,comdat
	.protected	_Z13wvSplitKQ_hf_I6__halfN3c1013Float8_e4m3fnELi64ELi2ELi16ELi16ELi2ELi2EEviiiiiiPKT0_S5_PKT_PS6_PKfSB_ii ; -- Begin function _Z13wvSplitKQ_hf_I6__halfN3c1013Float8_e4m3fnELi64ELi2ELi16ELi16ELi2ELi2EEviiiiiiPKT0_S5_PKT_PS6_PKfSB_ii
	.globl	_Z13wvSplitKQ_hf_I6__halfN3c1013Float8_e4m3fnELi64ELi2ELi16ELi16ELi2ELi2EEviiiiiiPKT0_S5_PKT_PS6_PKfSB_ii
	.p2align	8
	.type	_Z13wvSplitKQ_hf_I6__halfN3c1013Float8_e4m3fnELi64ELi2ELi16ELi16ELi2ELi2EEviiiiiiPKT0_S5_PKT_PS6_PKfSB_ii,@function
_Z13wvSplitKQ_hf_I6__halfN3c1013Float8_e4m3fnELi64ELi2ELi16ELi16ELi2ELi2EEviiiiiiPKT0_S5_PKT_PS6_PKfSB_ii: ; @_Z13wvSplitKQ_hf_I6__halfN3c1013Float8_e4m3fnELi64ELi2ELi16ELi16ELi2ELi2EEviiiiiiPKT0_S5_PKT_PS6_PKfSB_ii
; %bb.0:
	s_load_dwordx4 s[4:7], s[0:1], 0x0
	s_load_dwordx2 s[16:17], s[0:1], 0x10
	s_load_dwordx4 s[12:15], s[0:1], 0x38
	s_load_dwordx4 s[8:11], s[0:1], 0x20
	v_and_b32_e32 v2, 0x3ff, v0
	v_bfe_u32 v3, v0, 10, 10
	v_lshlrev_b32_e32 v48, 4, v2
	s_waitcnt lgkmcnt(0)
	s_lshl_b32 s3, s5, 1
	v_lshl_add_u32 v4, v3, 10, v48
	s_min_u32 s3, s3, 0x10000
	v_cmp_gt_u32_e32 vcc, s3, v4
	s_and_saveexec_b64 s[18:19], vcc
	s_cbranch_execz .LBB345_3
; %bb.1:
	v_mov_b32_e32 v1, 0
	v_lshlrev_b32_e32 v0, 10, v3
	v_mov_b32_e32 v49, v1
	v_lshl_add_u64 v[0:1], v[0:1], 0, v[48:49]
	v_lshl_add_u64 v[0:1], s[8:9], 0, v[0:1]
	s_mov_b64 s[20:21], 0
	s_mov_b64 s[22:23], 0x4000
.LBB345_2:                              ; =>This Inner Loop Header: Depth=1
	global_load_dwordx4 v[6:9], v[0:1], off
	v_lshl_add_u64 v[0:1], v[0:1], 0, s[22:23]
	s_waitcnt vmcnt(0)
	ds_write_b128 v4, v[6:9]
	v_add_u32_e32 v4, 0x4000, v4
	v_cmp_le_u32_e32 vcc, s3, v4
	s_or_b64 s[20:21], vcc, s[20:21]
	s_andn2_b64 exec, exec, s[20:21]
	s_cbranch_execnz .LBB345_2
.LBB345_3:
	s_or_b64 exec, exec, s[18:19]
	s_load_dwordx2 s[22:23], s[0:1], 0x48
	;;#ASMSTART
	s_waitcnt vmcnt(0)
	;;#ASMEND
	s_waitcnt lgkmcnt(0)
	s_barrier
	v_cmp_gt_u32_e32 vcc, s22, v3
	s_and_saveexec_b64 s[18:19], vcc
	s_cbranch_execz .LBB345_39
; %bb.4:
	s_mul_i32 s2, s2, s22
	v_add_lshl_u32 v50, s2, v3, 1
	v_cmp_gt_u32_e32 vcc, s7, v50
	s_and_b64 exec, exec, vcc
	s_cbranch_execz .LBB345_39
; %bb.5:
	v_mbcnt_lo_u32_b32 v0, -1, 0
	v_mbcnt_hi_u32_b32 v0, -1, v0
	v_and_b32_e32 v1, 63, v0
	v_cmp_lt_u32_e32 vcc, 43, v1
	s_cmp_lg_u32 s4, 0
	s_cselect_b64 s[2:3], -1, 0
	v_cndmask_b32_e64 v3, 20, 0, vcc
	v_add_lshl_u32 v49, v3, v0, 2
	v_cvt_f32_u32_e32 v3, s16
	v_cmp_lt_u32_e32 vcc, 23, v1
	s_add_i32 s30, s4, -16
	s_add_i32 s31, s7, -1
	v_cndmask_b32_e64 v1, 40, 0, vcc
	v_add_lshl_u32 v58, v1, v0, 2
	v_rcp_iflag_f32_e32 v0, v3
	s_mul_i32 s22, s22, s23
	s_cmp_lg_u64 s[10:11], 0
	s_load_dword s28, s[12:13], 0x0
	s_load_dword s29, s[14:15], 0x0
	s_load_dwordx2 s[18:19], s[0:1], 0x18
	s_load_dwordx2 s[20:21], s[0:1], 0x30
	v_mul_f32_e32 v0, 0x4f7ffffe, v0
	v_cvt_u32_f32_e32 v0, v0
	s_cselect_b64 s[14:15], -1, 0
	s_lshl_b32 s33, s22, 1
	s_sub_i32 s22, 0, s16
	s_abs_i32 s17, s17
	v_mul_lo_u32 v1, s22, v0
	s_sub_i32 s22, 1, s17
	s_cmp_lt_u32 s17, 2
	s_cselect_b32 s22, s22, 1
	s_sub_i32 s23, s22, s17
	v_mul_hi_u32 v1, v0, v1
	s_cmp_ge_u32 s22, s17
	v_add_u32_e32 v59, v0, v1
	s_cselect_b32 s17, s23, s22
	v_cndmask_b32_e64 v0, 0, 1, s[2:3]
	v_cmp_eq_u32_e64 s[0:1], 0, v2
	s_mov_b64 s[12:13], 0
	v_mov_b32_e32 v53, 0
	s_mul_i32 s17, s17, s16
	v_cmp_ne_u32_e64 s[2:3], 1, v0
	s_mov_b32 s34, 0xffff
	s_branch .LBB345_7
.LBB345_6:                              ;   in Loop: Header=BB345_7 Depth=1
	s_or_b64 exec, exec, s[22:23]
	v_add_u32_e32 v50, s33, v50
	v_cmp_le_u32_e32 vcc, s7, v50
	s_or_b64 s[12:13], vcc, s[12:13]
	s_andn2_b64 exec, exec, s[12:13]
	s_cbranch_execz .LBB345_39
.LBB345_7:                              ; =>This Loop Header: Depth=1
                                        ;     Child Loop BB345_12 Depth 2
	s_and_b64 vcc, exec, s[2:3]
	v_or_b32_e32 v60, 1, v50
	v_mov_b32_e32 v15, v53
	v_mov_b32_e32 v14, v53
	;; [unrolled: 1-line block ×4, first 2 shown]
	s_waitcnt vmcnt(2)
	v_mov_b32_e32 v11, v53
	v_mov_b32_e32 v10, v53
	s_waitcnt lgkmcnt(0)
	v_mov_b32_e32 v9, v53
	v_mov_b32_e32 v8, v53
	;; [unrolled: 1-line block ×10, first 2 shown]
	s_cbranch_vccnz .LBB345_30
; %bb.8:                                ;   in Loop: Header=BB345_7 Depth=1
	v_min_u32_e32 v0, s31, v50
	v_mul_lo_u32 v54, v0, s6
	v_or_b32_e32 v0, 1, v50
	v_min_u32_e32 v0, s31, v0
	v_mul_lo_u32 v56, v0, s6
	v_mov_b32_e32 v0, 0
	v_mov_b32_e32 v55, v53
	;; [unrolled: 1-line block ×3, first 2 shown]
	s_mov_b32 s35, 0
	v_mov_b32_e32 v1, v0
	v_mov_b32_e32 v2, v0
	;; [unrolled: 1-line block ×15, first 2 shown]
	s_branch .LBB345_12
.LBB345_9:                              ;   in Loop: Header=BB345_12 Depth=2
	s_or_b64 exec, exec, s[26:27]
.LBB345_10:                             ;   in Loop: Header=BB345_12 Depth=2
	s_or_b64 exec, exec, s[24:25]
.LBB345_11:                             ;   in Loop: Header=BB345_12 Depth=2
	s_or_b64 exec, exec, s[22:23]
	s_waitcnt vmcnt(0) lgkmcnt(0)
	v_mfma_f32_16x16x32_fp8_fp8 v[12:15], v[32:33], v[24:25], v[12:15]
	s_addk_i32 s35, 0x800
	s_cmp_ge_u32 s35, s4
	v_mfma_f32_16x16x32_fp8_fp8 v[8:11], v[32:33], v[28:29], v[8:11]
	v_mfma_f32_16x16x32_fp8_fp8 v[4:7], v[36:37], v[24:25], v[4:7]
	;; [unrolled: 1-line block ×15, first 2 shown]
	s_cbranch_scc1 .LBB345_30
.LBB345_12:                             ;   Parent Loop BB345_7 Depth=1
                                        ; =>  This Inner Loop Header: Depth=2
	v_add_u32_e32 v61, s35, v48
	v_min_u32_e32 v52, s30, v61
	s_waitcnt lgkmcnt(0)
	v_lshl_add_u64 v[16:17], s[18:19], 0, v[52:53]
	v_add_u32_e32 v51, 0x400, v61
	v_lshl_add_u64 v[18:19], v[16:17], 0, v[54:55]
	v_lshl_add_u64 v[16:17], v[16:17], 0, v[56:57]
	v_min_u32_e32 v52, s30, v51
	global_load_dwordx4 v[24:27], v[18:19], off nt
	global_load_dwordx4 v[28:31], v[16:17], off nt
	v_lshl_add_u64 v[16:17], s[18:19], 0, v[52:53]
	v_lshl_add_u64 v[32:33], v[16:17], 0, v[54:55]
	;; [unrolled: 1-line block ×3, first 2 shown]
	global_load_dwordx4 v[20:23], v[32:33], off nt
	global_load_dwordx4 v[16:19], v[34:35], off nt
	v_mov_b64_e32 v[46:47], 0
	v_cmp_gt_u32_e32 vcc, s4, v61
	v_mov_b64_e32 v[44:45], v[46:47]
	v_mov_b64_e32 v[38:39], v[46:47]
	;; [unrolled: 1-line block ×7, first 2 shown]
	s_and_saveexec_b64 s[22:23], vcc
	s_cbranch_execz .LBB345_11
; %bb.13:                               ;   in Loop: Header=BB345_12 Depth=2
	v_cmp_lt_u32_e32 vcc, s34, v61
                                        ; implicit-def: $vgpr34_vgpr35
	s_and_saveexec_b64 s[24:25], vcc
	s_xor_b64 s[24:25], exec, s[24:25]
	s_cbranch_execz .LBB345_15
; %bb.14:                               ;   in Loop: Header=BB345_12 Depth=2
	global_load_dwordx4 v[32:35], v61, s[8:9]
.LBB345_15:                             ;   in Loop: Header=BB345_12 Depth=2
	s_andn2_saveexec_b64 s[24:25], s[24:25]
	s_cbranch_execz .LBB345_17
; %bb.16:                               ;   in Loop: Header=BB345_12 Depth=2
	s_waitcnt vmcnt(0)
	ds_read_b128 v[32:35], v61
.LBB345_17:                             ;   in Loop: Header=BB345_12 Depth=2
	s_or_b64 exec, exec, s[24:25]
	v_add_u32_e32 v52, s5, v61
	v_cmp_lt_u32_e32 vcc, s34, v52
                                        ; implicit-def: $vgpr38_vgpr39
	s_and_saveexec_b64 s[24:25], vcc
	s_xor_b64 s[24:25], exec, s[24:25]
	s_cbranch_execz .LBB345_19
; %bb.18:                               ;   in Loop: Header=BB345_12 Depth=2
	global_load_dwordx4 v[36:39], v52, s[8:9]
.LBB345_19:                             ;   in Loop: Header=BB345_12 Depth=2
	s_andn2_saveexec_b64 s[24:25], s[24:25]
	s_cbranch_execz .LBB345_21
; %bb.20:                               ;   in Loop: Header=BB345_12 Depth=2
	s_waitcnt vmcnt(0)
	ds_read_b128 v[36:39], v52
.LBB345_21:                             ;   in Loop: Header=BB345_12 Depth=2
	s_or_b64 exec, exec, s[24:25]
	v_mov_b64_e32 v[46:47], 0
	v_cmp_gt_u32_e32 vcc, s4, v51
	v_mov_b64_e32 v[44:45], v[46:47]
	v_mov_b64_e32 v[42:43], v[46:47]
	;; [unrolled: 1-line block ×3, first 2 shown]
	s_and_saveexec_b64 s[24:25], vcc
	s_cbranch_execz .LBB345_10
; %bb.22:                               ;   in Loop: Header=BB345_12 Depth=2
	v_cmp_lt_u32_e32 vcc, s34, v51
                                        ; implicit-def: $vgpr42_vgpr43
	s_and_saveexec_b64 s[26:27], vcc
	s_xor_b64 s[26:27], exec, s[26:27]
	s_cbranch_execz .LBB345_24
; %bb.23:                               ;   in Loop: Header=BB345_12 Depth=2
	global_load_dwordx4 v[40:43], v51, s[8:9]
                                        ; implicit-def: $vgpr61
.LBB345_24:                             ;   in Loop: Header=BB345_12 Depth=2
	s_andn2_saveexec_b64 s[26:27], s[26:27]
	s_cbranch_execz .LBB345_26
; %bb.25:                               ;   in Loop: Header=BB345_12 Depth=2
	s_waitcnt vmcnt(0)
	ds_read_b128 v[40:43], v61 offset:1024
.LBB345_26:                             ;   in Loop: Header=BB345_12 Depth=2
	s_or_b64 exec, exec, s[26:27]
	v_add_u32_e32 v44, s5, v51
	v_cmp_lt_u32_e32 vcc, s34, v44
                                        ; implicit-def: $vgpr46_vgpr47
	s_and_saveexec_b64 s[26:27], vcc
	s_xor_b64 s[26:27], exec, s[26:27]
	s_cbranch_execz .LBB345_28
; %bb.27:                               ;   in Loop: Header=BB345_12 Depth=2
	global_load_dwordx4 v[44:47], v44, s[8:9]
                                        ; implicit-def: $vgpr52
.LBB345_28:                             ;   in Loop: Header=BB345_12 Depth=2
	s_andn2_saveexec_b64 s[26:27], s[26:27]
	s_cbranch_execz .LBB345_9
; %bb.29:                               ;   in Loop: Header=BB345_12 Depth=2
	s_waitcnt vmcnt(0)
	ds_read_b128 v[44:47], v52 offset:1024
	s_branch .LBB345_9
.LBB345_30:                             ;   in Loop: Header=BB345_7 Depth=1
	s_nop 4
	v_cvt_i32_f32_e32 v5, v5
	v_cvt_i32_f32_e32 v13, v13
	;; [unrolled: 1-line block ×10, first 2 shown]
	v_cvt_f32_i32_dpp v5, v5 row_shl:1 row_mask:0xf bank_mask:0xf bound_ctrl:1
	v_cvt_i32_f32_e32 v7, v7
	v_cvt_i32_f32_e32 v3, v3
	v_cvt_f32_i32_dpp v13, v13 row_shl:1 row_mask:0xf bank_mask:0xf bound_ctrl:1
	v_cvt_f32_i32_dpp v14, v14 row_shl:2 row_mask:0xf bank_mask:0xf bound_ctrl:1
	;; [unrolled: 1-line block ×9, first 2 shown]
	v_add_f32_e32 v4, v4, v5
	v_cvt_f32_i32_dpp v5, v7 row_shl:3 row_mask:0xf bank_mask:0xf bound_ctrl:1
	v_cvt_f32_i32_dpp v3, v3 row_shl:3 row_mask:0xf bank_mask:0xf bound_ctrl:1
	v_add_f32_e32 v12, v12, v13
	v_add_f32_e32 v12, v12, v14
	;; [unrolled: 1-line block ×11, first 2 shown]
	ds_bpermute_b32 v13, v49, v12
	ds_bpermute_b32 v11, v49, v10
	;; [unrolled: 1-line block ×4, first 2 shown]
	s_waitcnt lgkmcnt(0)
	v_add_f32_e32 v8, v12, v13
	v_add_f32_e32 v6, v10, v11
	v_add_f32_e32 v4, v4, v5
	v_add_f32_e32 v2, v0, v1
	ds_bpermute_b32 v9, v58, v8
	ds_bpermute_b32 v7, v58, v6
	;; [unrolled: 1-line block ×4, first 2 shown]
	s_and_saveexec_b64 s[22:23], s[0:1]
	s_cbranch_execz .LBB345_6
; %bb.31:                               ;   in Loop: Header=BB345_7 Depth=1
	s_and_b64 vcc, exec, s[14:15]
	s_cbranch_vccz .LBB345_38
; %bb.32:                               ;   in Loop: Header=BB345_7 Depth=1
	v_mul_hi_u32 v0, v50, v59
	v_mul_lo_u32 v0, v0, s16
	v_sub_u32_e32 v0, v50, v0
	v_subrev_u32_e32 v1, s16, v0
	v_cmp_le_u32_e32 vcc, s16, v0
	v_or_b32_e32 v10, 1, v50
	v_mov_b32_e32 v51, v53
	v_cndmask_b32_e32 v0, v0, v1, vcc
	v_subrev_u32_e32 v1, s16, v0
	v_cmp_le_u32_e32 vcc, s16, v0
	s_nop 1
	v_cndmask_b32_e32 v52, v0, v1, vcc
	v_mul_hi_u32 v0, v10, v59
	v_mul_lo_u32 v0, v0, s16
	v_sub_u32_e32 v0, v10, v0
	v_subrev_u32_e32 v1, s16, v0
	v_cmp_le_u32_e32 vcc, s16, v0
	v_lshl_add_u64 v[14:15], v[52:53], 1, s[10:11]
	v_add_u32_e32 v52, s17, v52
	v_cndmask_b32_e32 v0, v0, v1, vcc
	v_subrev_u32_e32 v1, s16, v0
	v_cmp_le_u32_e32 vcc, s16, v0
	v_lshl_add_u64 v[18:19], v[52:53], 1, s[10:11]
	s_nop 0
	v_cndmask_b32_e32 v0, v0, v1, vcc
	v_mov_b32_e32 v1, v53
	v_add_u32_e32 v52, s17, v0
	v_lshl_add_u64 v[16:17], v[0:1], 1, s[10:11]
	v_lshl_add_u64 v[20:21], v[52:53], 1, s[10:11]
	global_load_ushort v0, v[14:15], off
	global_load_ushort v13, v[16:17], off
	global_load_ushort v12, v[18:19], off
	global_load_ushort v11, v[20:21], off
	s_cbranch_execnz .LBB345_34
.LBB345_33:                             ;   in Loop: Header=BB345_7 Depth=1
	v_mov_b32_e32 v51, v53
	s_waitcnt vmcnt(0)
	v_mov_b32_e32 v11, 0
	v_mov_b32_e32 v10, v60
	;; [unrolled: 1-line block ×5, first 2 shown]
.LBB345_34:                             ;   in Loop: Header=BB345_7 Depth=1
	s_waitcnt lgkmcnt(3)
	v_add_f32_e32 v1, v8, v9
	v_mul_f32_e32 v1, s28, v1
	s_waitcnt vmcnt(3)
	v_fma_mixlo_f16 v8, s29, v1, v0 op_sel_hi:[0,0,1]
	v_lshl_add_u64 v[0:1], v[50:51], 1, s[20:21]
	v_cmp_gt_u32_e32 vcc, s7, v10
	global_store_short v[0:1], v8, off
	s_and_saveexec_b64 s[24:25], vcc
	s_cbranch_execz .LBB345_36
; %bb.35:                               ;   in Loop: Header=BB345_7 Depth=1
	s_waitcnt lgkmcnt(2)
	v_add_f32_e32 v6, v6, v7
	v_mul_f32_e32 v6, s28, v6
	s_waitcnt vmcnt(3)
	v_fma_mixlo_f16 v6, s29, v6, v13 op_sel_hi:[0,0,1]
	global_store_short v[0:1], v6, off offset:2
.LBB345_36:                             ;   in Loop: Header=BB345_7 Depth=1
	s_or_b64 exec, exec, s[24:25]
	s_waitcnt lgkmcnt(1)
	v_add_f32_e32 v0, v4, v5
	v_mul_f32_e32 v0, s28, v0
	v_add_u32_e32 v52, s7, v50
	s_waitcnt vmcnt(2)
	v_fma_mixlo_f16 v4, s29, v0, v12 op_sel_hi:[0,0,1]
	v_lshl_add_u64 v[0:1], v[52:53], 1, s[20:21]
	global_store_short v[0:1], v4, off
	s_and_b64 exec, exec, vcc
	s_cbranch_execz .LBB345_6
; %bb.37:                               ;   in Loop: Header=BB345_7 Depth=1
	s_waitcnt lgkmcnt(0)
	v_add_f32_e32 v0, v2, v3
	v_mul_f32_e32 v0, s28, v0
	v_add_u32_e32 v52, s7, v10
	s_waitcnt vmcnt(2)
	v_fma_mixlo_f16 v2, s29, v0, v11 op_sel_hi:[0,0,1]
	v_lshl_add_u64 v[0:1], v[52:53], 1, s[20:21]
	global_store_short v[0:1], v2, off
	s_branch .LBB345_6
.LBB345_38:                             ;   in Loop: Header=BB345_7 Depth=1
                                        ; implicit-def: $vgpr0
                                        ; implicit-def: $vgpr13
                                        ; implicit-def: $vgpr12
                                        ; implicit-def: $vgpr11
                                        ; implicit-def: $vgpr10
	s_branch .LBB345_33
.LBB345_39:
	s_endpgm
	.section	.rodata,"a",@progbits
	.p2align	6, 0x0
	.amdhsa_kernel _Z13wvSplitKQ_hf_I6__halfN3c1013Float8_e4m3fnELi64ELi2ELi16ELi16ELi2ELi2EEviiiiiiPKT0_S5_PKT_PS6_PKfSB_ii
		.amdhsa_group_segment_fixed_size 65536
		.amdhsa_private_segment_fixed_size 0
		.amdhsa_kernarg_size 80
		.amdhsa_user_sgpr_count 2
		.amdhsa_user_sgpr_dispatch_ptr 0
		.amdhsa_user_sgpr_queue_ptr 0
		.amdhsa_user_sgpr_kernarg_segment_ptr 1
		.amdhsa_user_sgpr_dispatch_id 0
		.amdhsa_user_sgpr_kernarg_preload_length 0
		.amdhsa_user_sgpr_kernarg_preload_offset 0
		.amdhsa_user_sgpr_private_segment_size 0
		.amdhsa_uses_dynamic_stack 0
		.amdhsa_enable_private_segment 0
		.amdhsa_system_sgpr_workgroup_id_x 1
		.amdhsa_system_sgpr_workgroup_id_y 0
		.amdhsa_system_sgpr_workgroup_id_z 0
		.amdhsa_system_sgpr_workgroup_info 0
		.amdhsa_system_vgpr_workitem_id 1
		.amdhsa_next_free_vgpr 62
		.amdhsa_next_free_sgpr 36
		.amdhsa_accum_offset 64
		.amdhsa_reserve_vcc 1
		.amdhsa_float_round_mode_32 0
		.amdhsa_float_round_mode_16_64 0
		.amdhsa_float_denorm_mode_32 3
		.amdhsa_float_denorm_mode_16_64 3
		.amdhsa_dx10_clamp 1
		.amdhsa_ieee_mode 1
		.amdhsa_fp16_overflow 0
		.amdhsa_tg_split 0
		.amdhsa_exception_fp_ieee_invalid_op 0
		.amdhsa_exception_fp_denorm_src 0
		.amdhsa_exception_fp_ieee_div_zero 0
		.amdhsa_exception_fp_ieee_overflow 0
		.amdhsa_exception_fp_ieee_underflow 0
		.amdhsa_exception_fp_ieee_inexact 0
		.amdhsa_exception_int_div_zero 0
	.end_amdhsa_kernel
	.section	.text._Z13wvSplitKQ_hf_I6__halfN3c1013Float8_e4m3fnELi64ELi2ELi16ELi16ELi2ELi2EEviiiiiiPKT0_S5_PKT_PS6_PKfSB_ii,"axG",@progbits,_Z13wvSplitKQ_hf_I6__halfN3c1013Float8_e4m3fnELi64ELi2ELi16ELi16ELi2ELi2EEviiiiiiPKT0_S5_PKT_PS6_PKfSB_ii,comdat
.Lfunc_end345:
	.size	_Z13wvSplitKQ_hf_I6__halfN3c1013Float8_e4m3fnELi64ELi2ELi16ELi16ELi2ELi2EEviiiiiiPKT0_S5_PKT_PS6_PKfSB_ii, .Lfunc_end345-_Z13wvSplitKQ_hf_I6__halfN3c1013Float8_e4m3fnELi64ELi2ELi16ELi16ELi2ELi2EEviiiiiiPKT0_S5_PKT_PS6_PKfSB_ii
                                        ; -- End function
	.section	.AMDGPU.csdata,"",@progbits
; Kernel info:
; codeLenInByte = 1940
; NumSgprs: 42
; NumVgprs: 62
; NumAgprs: 0
; TotalNumVgprs: 62
; ScratchSize: 0
; MemoryBound: 1
; FloatMode: 240
; IeeeMode: 1
; LDSByteSize: 65536 bytes/workgroup (compile time only)
; SGPRBlocks: 5
; VGPRBlocks: 7
; NumSGPRsForWavesPerEU: 42
; NumVGPRsForWavesPerEU: 62
; AccumOffset: 64
; Occupancy: 4
; WaveLimiterHint : 0
; COMPUTE_PGM_RSRC2:SCRATCH_EN: 0
; COMPUTE_PGM_RSRC2:USER_SGPR: 2
; COMPUTE_PGM_RSRC2:TRAP_HANDLER: 0
; COMPUTE_PGM_RSRC2:TGID_X_EN: 1
; COMPUTE_PGM_RSRC2:TGID_Y_EN: 0
; COMPUTE_PGM_RSRC2:TGID_Z_EN: 0
; COMPUTE_PGM_RSRC2:TIDIG_COMP_CNT: 1
; COMPUTE_PGM_RSRC3_GFX90A:ACCUM_OFFSET: 15
; COMPUTE_PGM_RSRC3_GFX90A:TG_SPLIT: 0
	.section	.text._Z17wvSplitKQ_hf_sml_I6__halfN3c1013Float8_e4m3fnELi32ELi2ELi16ELi16ELi1ELi3EEviiiiiiPKT0_S5_PKT_PS6_PKfSB_ii,"axG",@progbits,_Z17wvSplitKQ_hf_sml_I6__halfN3c1013Float8_e4m3fnELi32ELi2ELi16ELi16ELi1ELi3EEviiiiiiPKT0_S5_PKT_PS6_PKfSB_ii,comdat
	.protected	_Z17wvSplitKQ_hf_sml_I6__halfN3c1013Float8_e4m3fnELi32ELi2ELi16ELi16ELi1ELi3EEviiiiiiPKT0_S5_PKT_PS6_PKfSB_ii ; -- Begin function _Z17wvSplitKQ_hf_sml_I6__halfN3c1013Float8_e4m3fnELi32ELi2ELi16ELi16ELi1ELi3EEviiiiiiPKT0_S5_PKT_PS6_PKfSB_ii
	.globl	_Z17wvSplitKQ_hf_sml_I6__halfN3c1013Float8_e4m3fnELi32ELi2ELi16ELi16ELi1ELi3EEviiiiiiPKT0_S5_PKT_PS6_PKfSB_ii
	.p2align	8
	.type	_Z17wvSplitKQ_hf_sml_I6__halfN3c1013Float8_e4m3fnELi32ELi2ELi16ELi16ELi1ELi3EEviiiiiiPKT0_S5_PKT_PS6_PKfSB_ii,@function
_Z17wvSplitKQ_hf_sml_I6__halfN3c1013Float8_e4m3fnELi32ELi2ELi16ELi16ELi1ELi3EEviiiiiiPKT0_S5_PKT_PS6_PKfSB_ii: ; @_Z17wvSplitKQ_hf_sml_I6__halfN3c1013Float8_e4m3fnELi32ELi2ELi16ELi16ELi1ELi3EEviiiiiiPKT0_S5_PKT_PS6_PKfSB_ii
; %bb.0:
	s_load_dwordx4 s[12:15], s[0:1], 0x0
	v_and_b32_e32 v4, 0x3ff, v0
	v_bfe_u32 v5, v0, 10, 10
	v_lshlrev_b32_e32 v52, 4, v4
	v_lshl_add_u32 v0, v5, 9, v52
	s_waitcnt lgkmcnt(0)
	s_mul_i32 s3, s13, 3
	s_min_u32 s3, s3, 0x10000
	v_cmp_gt_u32_e32 vcc, s3, v0
	s_and_saveexec_b64 s[4:5], vcc
	s_cbranch_execz .LBB346_9
; %bb.1:
	s_load_dwordx2 s[6:7], s[0:1], 0x20
	v_add_u32_e32 v1, 0x2000, v0
	v_cmp_gt_u32_e32 vcc, s3, v1
	s_waitcnt lgkmcnt(0)
	global_load_dwordx4 v[6:9], v0, s[6:7]
	s_waitcnt vmcnt(0)
	ds_write_b128 v0, v[6:9]
	s_and_saveexec_b64 s[8:9], vcc
	s_xor_b64 s[8:9], exec, s[8:9]
	s_cbranch_execz .LBB346_9
; %bb.2:
	v_mov_b32_e32 v1, 0
	v_lshl_add_u64 v[2:3], s[6:7], 0, v[0:1]
	v_add_co_u32_e32 v6, vcc, 0x2000, v2
	v_add_u32_e32 v1, 0x4000, v0
	s_nop 0
	v_addc_co_u32_e32 v7, vcc, 0, v3, vcc
	global_load_dwordx4 v[6:9], v[6:7], off
	v_cmp_gt_u32_e32 vcc, s3, v1
	s_waitcnt vmcnt(0)
	ds_write_b128 v0, v[6:9] offset:8192
	s_and_saveexec_b64 s[6:7], vcc
	s_xor_b64 s[6:7], exec, s[6:7]
	s_cbranch_execz .LBB346_9
; %bb.3:
	v_add_co_u32_e32 v6, vcc, 0x4000, v2
	v_add_u32_e32 v1, 0x6000, v0
	s_nop 0
	v_addc_co_u32_e32 v7, vcc, 0, v3, vcc
	global_load_dwordx4 v[6:9], v[6:7], off
	v_cmp_gt_u32_e32 vcc, s3, v1
	s_waitcnt vmcnt(0)
	ds_write_b128 v0, v[6:9] offset:16384
	s_and_saveexec_b64 s[6:7], vcc
	s_xor_b64 s[6:7], exec, s[6:7]
	s_cbranch_execz .LBB346_9
; %bb.4:
	;; [unrolled: 12-line block ×6, first 2 shown]
	v_add_co_u32_e32 v2, vcc, 0xe000, v2
	s_nop 1
	v_addc_co_u32_e32 v3, vcc, 0, v3, vcc
	global_load_dwordx4 v[6:9], v[2:3], off
	s_waitcnt vmcnt(0)
	ds_write_b128 v0, v[6:9] offset:57344
.LBB346_9:
	s_or_b64 exec, exec, s[4:5]
	s_load_dwordx2 s[20:21], s[0:1], 0x48
	;;#ASMSTART
	s_waitcnt vmcnt(0)
	;;#ASMEND
	s_waitcnt lgkmcnt(0)
	s_barrier
	v_cmp_gt_u32_e32 vcc, s20, v5
	s_and_saveexec_b64 s[4:5], vcc
	s_cbranch_execz .LBB346_29
; %bb.10:
	s_load_dwordx2 s[16:17], s[0:1], 0x10
	s_mul_i32 s2, s2, s20
	v_add_lshl_u32 v44, s2, v5, 1
	v_cmp_gt_u32_e32 vcc, s15, v44
	s_and_b64 exec, exec, vcc
	s_cbranch_execz .LBB346_29
; %bb.11:
	s_load_dwordx8 s[4:11], s[0:1], 0x28
	s_load_dwordx2 s[18:19], s[0:1], 0x18
	v_mbcnt_lo_u32_b32 v0, -1, 0
	v_mbcnt_hi_u32_b32 v0, -1, v0
	s_cmp_lg_u32 s12, 0
	v_and_b32_e32 v1, 63, v0
	s_cselect_b64 s[2:3], -1, 0
	s_add_i32 s26, s12, -16
	s_add_i32 s27, s15, -1
	v_cmp_lt_u32_e32 vcc, 43, v1
	s_mul_i32 s20, s20, s21
	s_waitcnt lgkmcnt(0)
	s_cmp_lg_u64 s[4:5], 0
	v_cndmask_b32_e64 v2, 20, 0, vcc
	v_cmp_lt_u32_e32 vcc, 23, v1
	s_load_dword s24, s[8:9], 0x0
	s_load_dword s25, s[10:11], 0x0
	v_cndmask_b32_e64 v1, 40, 0, vcc
	s_cselect_b64 s[10:11], -1, 0
	s_lshl_b32 s28, s20, 1
	s_abs_i32 s20, s17
	v_add_lshl_u32 v53, v2, v0, 2
	v_add_lshl_u32 v54, v1, v0, 2
	v_cvt_f32_u32_e32 v0, s16
	v_cvt_f32_u32_e32 v1, s20
	s_sub_i32 s21, 0, s16
	s_lshl_b32 s17, s15, 1
	v_rcp_iflag_f32_e32 v0, v0
	v_rcp_iflag_f32_e32 v1, v1
	v_cmp_eq_u32_e64 s[0:1], 0, v4
	s_mov_b64 s[8:9], 0
	v_mul_f32_e32 v0, 0x4f7ffffe, v0
	v_mul_f32_e32 v1, 0x4f7ffffe, v1
	v_cvt_u32_f32_e32 v0, v0
	v_cvt_u32_f32_e32 v1, v1
	v_mov_b32_e32 v47, 0
	v_lshl_add_u32 v56, s13, 1, v52
	v_mul_lo_u32 v2, s21, v0
	s_sub_i32 s21, 0, s20
	v_readfirstlane_b32 s22, v1
	s_mul_i32 s21, s21, s22
	s_mul_hi_u32 s21, s22, s21
	s_add_i32 s22, s22, s21
	s_sub_i32 s21, 1, s20
	s_cmp_lt_u32 s20, 2
	s_cselect_b32 s21, s21, 1
	s_sub_i32 s23, s21, s20
	s_cmp_ge_u32 s21, s20
	s_cselect_b32 s29, s23, s21
	s_lshr_b32 s21, s22, 31
	s_mul_i32 s21, s21, s20
	s_sub_i32 s21, 2, s21
	s_sub_i32 s22, s21, s20
	s_cmp_ge_u32 s21, s20
	s_cselect_b32 s21, s22, s21
	s_sub_i32 s22, s21, s20
	v_mul_hi_u32 v2, v0, v2
	s_cmp_ge_u32 s21, s20
	v_add_u32_e32 v55, v0, v2
	s_cselect_b32 s30, s22, s21
	v_cndmask_b32_e64 v0, 0, 1, s[2:3]
	s_mul_i32 s29, s29, s16
	s_mul_i32 s30, s30, s16
	v_add_u32_e32 v57, s13, v52
	v_cmp_ne_u32_e64 s[2:3], 1, v0
	s_branch .LBB346_13
.LBB346_12:                             ;   in Loop: Header=BB346_13 Depth=1
	s_or_b64 exec, exec, s[20:21]
	v_add_u32_e32 v44, s28, v44
	v_cmp_le_u32_e32 vcc, s15, v44
	s_or_b64 s[8:9], vcc, s[8:9]
	s_andn2_b64 exec, exec, s[8:9]
	s_cbranch_execz .LBB346_29
.LBB346_13:                             ; =>This Loop Header: Depth=1
                                        ;     Child Loop BB346_16 Depth 2
	s_and_b64 vcc, exec, s[2:3]
	v_or_b32_e32 v58, 1, v44
	v_mov_b32_e32 v23, v47
	v_mov_b32_e32 v22, v47
	;; [unrolled: 1-line block ×9, first 2 shown]
	s_waitcnt lgkmcnt(0)
	v_mov_b32_e32 v14, v47
	v_mov_b32_e32 v13, v47
	;; [unrolled: 1-line block ×3, first 2 shown]
	s_waitcnt vmcnt(3)
	v_mov_b32_e32 v11, v47
	v_mov_b32_e32 v10, v47
	;; [unrolled: 1-line block ×12, first 2 shown]
	s_cbranch_vccnz .LBB346_18
; %bb.14:                               ;   in Loop: Header=BB346_13 Depth=1
	v_min_u32_e32 v0, s27, v44
	v_mul_lo_u32 v48, v0, s14
	v_or_b32_e32 v0, 1, v44
	v_min_u32_e32 v0, s27, v0
	v_mov_b32_e32 v4, 0
	v_mov_b32_e32 v49, v47
	v_mul_lo_u32 v50, v0, s14
	v_mov_b32_e32 v51, v47
	s_mov_b32 s13, 0
	v_mov_b32_e32 v5, v4
	v_mov_b32_e32 v6, v4
	;; [unrolled: 1-line block ×23, first 2 shown]
	s_branch .LBB346_16
.LBB346_15:                             ;   in Loop: Header=BB346_16 Depth=2
	s_or_b64 exec, exec, s[20:21]
	s_waitcnt vmcnt(1) lgkmcnt(0)
	v_mfma_f32_16x16x32_fp8_fp8 v[20:23], v[36:37], v[28:29], v[20:23]
	s_addk_i32 s13, 0x200
	s_cmp_ge_u32 s13, s12
	s_waitcnt vmcnt(0)
	v_mfma_f32_16x16x32_fp8_fp8 v[16:19], v[36:37], v[24:25], v[16:19]
	v_mfma_f32_16x16x32_fp8_fp8 v[12:15], v[40:41], v[28:29], v[12:15]
	;; [unrolled: 1-line block ×11, first 2 shown]
	s_cbranch_scc1 .LBB346_18
.LBB346_16:                             ;   Parent Loop BB346_13 Depth=1
                                        ; =>  This Inner Loop Header: Depth=2
	v_add_u32_e32 v45, s13, v52
	v_min_u32_e32 v46, s26, v45
	v_lshl_add_u64 v[24:25], s[18:19], 0, v[46:47]
	v_lshl_add_u64 v[32:33], v[24:25], 0, v[48:49]
	;; [unrolled: 1-line block ×3, first 2 shown]
	global_load_dwordx4 v[28:31], v[32:33], off nt
	global_load_dwordx4 v[24:27], v[34:35], off nt
	v_mov_b64_e32 v[36:37], 0
	v_cmp_gt_u32_e32 vcc, s12, v45
	v_mov_b64_e32 v[38:39], v[36:37]
	v_mov_b64_e32 v[40:41], v[36:37]
	;; [unrolled: 1-line block ×5, first 2 shown]
	s_and_saveexec_b64 s[20:21], vcc
	s_cbranch_execz .LBB346_15
; %bb.17:                               ;   in Loop: Header=BB346_16 Depth=2
	v_add_u32_e32 v32, s13, v57
	ds_read_b128 v[36:39], v45
	ds_read_b128 v[40:43], v32
	v_add_u32_e32 v32, s13, v56
	ds_read_b128 v[32:35], v32
	s_branch .LBB346_15
.LBB346_18:                             ;   in Loop: Header=BB346_13 Depth=1
	s_nop 0
	v_cvt_i32_f32_e32 v21, v21
	v_cvt_i32_f32_e32 v22, v22
	;; [unrolled: 1-line block ×5, first 2 shown]
	v_cvt_f32_i32_dpp v21, v21 row_shl:1 row_mask:0xf bank_mask:0xf bound_ctrl:1
	v_cvt_i32_f32_e32 v13, v13
	v_cvt_f32_i32_dpp v22, v22 row_shl:2 row_mask:0xf bank_mask:0xf bound_ctrl:1
	v_cvt_f32_i32_dpp v17, v17 row_shl:1 row_mask:0xf bank_mask:0xf bound_ctrl:1
	v_cvt_i32_f32_e32 v14, v14
	v_cvt_f32_i32_dpp v23, v23 row_shl:3 row_mask:0xf bank_mask:0xf bound_ctrl:1
	v_cvt_f32_i32_dpp v18, v18 row_shl:2 row_mask:0xf bank_mask:0xf bound_ctrl:1
	v_cvt_i32_f32_e32 v19, v19
	v_cvt_i32_f32_e32 v15, v15
	v_add_f32_e32 v20, v20, v21
	v_cvt_f32_i32_dpp v13, v13 row_shl:1 row_mask:0xf bank_mask:0xf bound_ctrl:1
	v_add_f32_e32 v20, v20, v22
	v_add_f32_e32 v17, v16, v17
	v_cvt_f32_i32_dpp v14, v14 row_shl:2 row_mask:0xf bank_mask:0xf bound_ctrl:1
	v_add_f32_e32 v20, v20, v23
	v_add_f32_e32 v17, v17, v18
	v_cvt_f32_i32_dpp v18, v19 row_shl:3 row_mask:0xf bank_mask:0xf bound_ctrl:1
	v_cvt_f32_i32_dpp v15, v15 row_shl:3 row_mask:0xf bank_mask:0xf bound_ctrl:1
	v_cvt_i32_f32_e32 v1, v1
	ds_bpermute_b32 v21, v53, v20
	v_cvt_i32_f32_e32 v2, v2
	v_add_f32_e32 v12, v12, v13
	v_add_f32_e32 v12, v12, v14
	;; [unrolled: 1-line block ×4, first 2 shown]
	v_cvt_f32_i32_dpp v1, v1 row_shl:1 row_mask:0xf bank_mask:0xf bound_ctrl:1
	ds_bpermute_b32 v18, v53, v17
	ds_bpermute_b32 v19, v53, v15
	v_cvt_f32_i32_dpp v2, v2 row_shl:2 row_mask:0xf bank_mask:0xf bound_ctrl:1
	v_cvt_i32_f32_e32 v3, v3
	s_waitcnt lgkmcnt(0)
	v_add_f32_e32 v16, v20, v21
	v_cvt_i32_f32_e32 v20, v9
	v_add_f32_e32 v0, v0, v1
	v_add_f32_e32 v0, v0, v2
	v_cvt_f32_i32_dpp v1, v3 row_shl:3 row_mask:0xf bank_mask:0xf bound_ctrl:1
	v_cvt_i32_f32_e32 v2, v5
	v_add_f32_e32 v12, v17, v18
	v_add_f32_e32 v9, v15, v19
	v_cvt_f32_i32_dpp v15, v20 row_shl:1 row_mask:0xf bank_mask:0xf bound_ctrl:1
	v_cvt_i32_f32_e32 v17, v10
	v_cvt_i32_f32_e32 v3, v6
	;; [unrolled: 1-line block ×4, first 2 shown]
	v_add_f32_e32 v0, v0, v1
	v_cvt_f32_i32_dpp v1, v2 row_shl:1 row_mask:0xf bank_mask:0xf bound_ctrl:1
	v_add_f32_e32 v8, v8, v15
	v_cvt_f32_i32_dpp v15, v17 row_shl:2 row_mask:0xf bank_mask:0xf bound_ctrl:1
	v_cvt_f32_i32_dpp v2, v3 row_shl:2 row_mask:0xf bank_mask:0xf bound_ctrl:1
	;; [unrolled: 1-line block ×4, first 2 shown]
	v_add_f32_e32 v1, v4, v1
	v_add_f32_e32 v8, v8, v15
	v_add_f32_e32 v1, v1, v2
	v_add_f32_e32 v8, v8, v11
	v_add_f32_e32 v1, v1, v3
	ds_bpermute_b32 v11, v53, v8
	ds_bpermute_b32 v5, v53, v0
	;; [unrolled: 1-line block ×5, first 2 shown]
	s_waitcnt lgkmcnt(4)
	v_add_f32_e32 v6, v8, v11
	s_waitcnt lgkmcnt(3)
	v_add_f32_e32 v4, v0, v5
	;; [unrolled: 2-line block ×3, first 2 shown]
	ds_bpermute_b32 v10, v54, v9
	ds_bpermute_b32 v7, v54, v6
	;; [unrolled: 1-line block ×4, first 2 shown]
	s_and_saveexec_b64 s[20:21], s[0:1]
	s_cbranch_execz .LBB346_12
; %bb.19:                               ;   in Loop: Header=BB346_13 Depth=1
	s_and_b64 vcc, exec, s[10:11]
	s_cbranch_vccz .LBB346_28
; %bb.20:                               ;   in Loop: Header=BB346_13 Depth=1
	v_mul_hi_u32 v0, v44, v55
	v_mul_lo_u32 v0, v0, s16
	v_sub_u32_e32 v0, v44, v0
	v_subrev_u32_e32 v1, s16, v0
	v_cmp_le_u32_e32 vcc, s16, v0
	v_or_b32_e32 v8, 1, v44
	v_mov_b32_e32 v19, v47
	v_cndmask_b32_e32 v0, v0, v1, vcc
	v_subrev_u32_e32 v1, s16, v0
	v_cmp_le_u32_e32 vcc, s16, v0
	v_mov_b32_e32 v45, v47
	s_nop 0
	v_cndmask_b32_e32 v46, v0, v1, vcc
	v_mul_hi_u32 v0, v8, v55
	v_mul_lo_u32 v0, v0, s16
	v_sub_u32_e32 v0, v8, v0
	v_subrev_u32_e32 v1, s16, v0
	v_cmp_le_u32_e32 vcc, s16, v0
	v_lshl_add_u64 v[20:21], v[46:47], 1, s[4:5]
	v_add_u32_e32 v18, s29, v46
	v_cndmask_b32_e32 v0, v0, v1, vcc
	v_subrev_u32_e32 v1, s16, v0
	v_cmp_le_u32_e32 vcc, s16, v0
	v_add_u32_e32 v46, s30, v46
	v_lshl_add_u64 v[24:25], v[18:19], 1, s[4:5]
	v_cndmask_b32_e32 v0, v0, v1, vcc
	v_mov_b32_e32 v1, v47
	v_add_u32_e32 v18, s29, v0
	v_lshl_add_u64 v[28:29], v[46:47], 1, s[4:5]
	v_add_u32_e32 v46, s30, v0
	v_lshl_add_u64 v[22:23], v[0:1], 1, s[4:5]
	v_lshl_add_u64 v[26:27], v[18:19], 1, s[4:5]
	;; [unrolled: 1-line block ×3, first 2 shown]
	global_load_ushort v0, v[20:21], off
	global_load_ushort v19, v[22:23], off
	;; [unrolled: 1-line block ×6, first 2 shown]
	s_cbranch_execnz .LBB346_22
.LBB346_21:                             ;   in Loop: Header=BB346_13 Depth=1
	v_mov_b32_e32 v45, v47
	s_waitcnt vmcnt(5)
	v_mov_b32_e32 v0, 0
	v_mov_b32_e32 v8, v58
	s_waitcnt vmcnt(4)
	v_mov_b32_e32 v19, 0
	s_waitcnt vmcnt(3)
	;; [unrolled: 2-line block ×5, first 2 shown]
	v_mov_b32_e32 v11, 0
.LBB346_22:                             ;   in Loop: Header=BB346_13 Depth=1
	s_waitcnt lgkmcnt(5)
	v_add_f32_e32 v1, v16, v14
	v_mul_f32_e32 v1, s24, v1
	s_waitcnt vmcnt(5)
	v_fma_mixlo_f16 v14, s25, v1, v0 op_sel_hi:[0,0,1]
	v_lshl_add_u64 v[0:1], v[44:45], 1, s[6:7]
	v_cmp_gt_u32_e32 vcc, s15, v8
	global_store_short v[0:1], v14, off
	s_and_saveexec_b64 s[22:23], vcc
	s_cbranch_execz .LBB346_24
; %bb.23:                               ;   in Loop: Header=BB346_13 Depth=1
	s_waitcnt lgkmcnt(4)
	v_add_f32_e32 v12, v12, v13
	v_mul_f32_e32 v12, s24, v12
	s_waitcnt vmcnt(5)
	v_fma_mixlo_f16 v12, s25, v12, v19 op_sel_hi:[0,0,1]
	global_store_short v[0:1], v12, off offset:2
.LBB346_24:                             ;   in Loop: Header=BB346_13 Depth=1
	s_or_b64 exec, exec, s[22:23]
	s_waitcnt lgkmcnt(3)
	v_add_f32_e32 v0, v9, v10
	v_mul_f32_e32 v0, s24, v0
	v_add_u32_e32 v46, s15, v44
	s_waitcnt vmcnt(4)
	v_fma_mixlo_f16 v9, s25, v0, v18 op_sel_hi:[0,0,1]
	v_lshl_add_u64 v[0:1], v[46:47], 1, s[6:7]
	global_store_short v[0:1], v9, off
	s_and_saveexec_b64 s[22:23], vcc
	s_cbranch_execz .LBB346_26
; %bb.25:                               ;   in Loop: Header=BB346_13 Depth=1
	s_waitcnt lgkmcnt(2)
	v_add_f32_e32 v0, v6, v7
	v_mul_f32_e32 v0, s24, v0
	s_waitcnt vmcnt(4)
	v_fma_mixlo_f16 v6, s25, v0, v17 op_sel_hi:[0,0,1]
	v_add_u32_e32 v0, s15, v8
	v_mov_b32_e32 v1, v47
	v_lshl_add_u64 v[0:1], v[0:1], 1, s[6:7]
	global_store_short v[0:1], v6, off
.LBB346_26:                             ;   in Loop: Header=BB346_13 Depth=1
	s_or_b64 exec, exec, s[22:23]
	s_waitcnt lgkmcnt(1)
	v_add_f32_e32 v0, v4, v5
	v_mul_f32_e32 v0, s24, v0
	v_add_u32_e32 v46, s15, v46
	s_waitcnt vmcnt(3)
	v_fma_mixlo_f16 v4, s25, v0, v15 op_sel_hi:[0,0,1]
	v_lshl_add_u64 v[0:1], v[46:47], 1, s[6:7]
	global_store_short v[0:1], v4, off
	s_and_b64 exec, exec, vcc
	s_cbranch_execz .LBB346_12
; %bb.27:                               ;   in Loop: Header=BB346_13 Depth=1
	s_waitcnt lgkmcnt(0)
	v_add_f32_e32 v0, v2, v3
	v_mul_f32_e32 v0, s24, v0
	v_add_u32_e32 v46, s17, v8
	s_waitcnt vmcnt(3)
	v_fma_mixlo_f16 v2, s25, v0, v11 op_sel_hi:[0,0,1]
	v_lshl_add_u64 v[0:1], v[46:47], 1, s[6:7]
	global_store_short v[0:1], v2, off
	s_branch .LBB346_12
.LBB346_28:                             ;   in Loop: Header=BB346_13 Depth=1
                                        ; implicit-def: $vgpr11
                                        ; implicit-def: $vgpr15
                                        ; implicit-def: $vgpr17
                                        ; implicit-def: $vgpr18
                                        ; implicit-def: $vgpr19
                                        ; implicit-def: $vgpr0
                                        ; implicit-def: $vgpr8
	s_branch .LBB346_21
.LBB346_29:
	s_endpgm
	.section	.rodata,"a",@progbits
	.p2align	6, 0x0
	.amdhsa_kernel _Z17wvSplitKQ_hf_sml_I6__halfN3c1013Float8_e4m3fnELi32ELi2ELi16ELi16ELi1ELi3EEviiiiiiPKT0_S5_PKT_PS6_PKfSB_ii
		.amdhsa_group_segment_fixed_size 65536
		.amdhsa_private_segment_fixed_size 0
		.amdhsa_kernarg_size 80
		.amdhsa_user_sgpr_count 2
		.amdhsa_user_sgpr_dispatch_ptr 0
		.amdhsa_user_sgpr_queue_ptr 0
		.amdhsa_user_sgpr_kernarg_segment_ptr 1
		.amdhsa_user_sgpr_dispatch_id 0
		.amdhsa_user_sgpr_kernarg_preload_length 0
		.amdhsa_user_sgpr_kernarg_preload_offset 0
		.amdhsa_user_sgpr_private_segment_size 0
		.amdhsa_uses_dynamic_stack 0
		.amdhsa_enable_private_segment 0
		.amdhsa_system_sgpr_workgroup_id_x 1
		.amdhsa_system_sgpr_workgroup_id_y 0
		.amdhsa_system_sgpr_workgroup_id_z 0
		.amdhsa_system_sgpr_workgroup_info 0
		.amdhsa_system_vgpr_workitem_id 1
		.amdhsa_next_free_vgpr 59
		.amdhsa_next_free_sgpr 31
		.amdhsa_accum_offset 60
		.amdhsa_reserve_vcc 1
		.amdhsa_float_round_mode_32 0
		.amdhsa_float_round_mode_16_64 0
		.amdhsa_float_denorm_mode_32 3
		.amdhsa_float_denorm_mode_16_64 3
		.amdhsa_dx10_clamp 1
		.amdhsa_ieee_mode 1
		.amdhsa_fp16_overflow 0
		.amdhsa_tg_split 0
		.amdhsa_exception_fp_ieee_invalid_op 0
		.amdhsa_exception_fp_denorm_src 0
		.amdhsa_exception_fp_ieee_div_zero 0
		.amdhsa_exception_fp_ieee_overflow 0
		.amdhsa_exception_fp_ieee_underflow 0
		.amdhsa_exception_fp_ieee_inexact 0
		.amdhsa_exception_int_div_zero 0
	.end_amdhsa_kernel
	.section	.text._Z17wvSplitKQ_hf_sml_I6__halfN3c1013Float8_e4m3fnELi32ELi2ELi16ELi16ELi1ELi3EEviiiiiiPKT0_S5_PKT_PS6_PKfSB_ii,"axG",@progbits,_Z17wvSplitKQ_hf_sml_I6__halfN3c1013Float8_e4m3fnELi32ELi2ELi16ELi16ELi1ELi3EEviiiiiiPKT0_S5_PKT_PS6_PKfSB_ii,comdat
.Lfunc_end346:
	.size	_Z17wvSplitKQ_hf_sml_I6__halfN3c1013Float8_e4m3fnELi32ELi2ELi16ELi16ELi1ELi3EEviiiiiiPKT0_S5_PKT_PS6_PKfSB_ii, .Lfunc_end346-_Z17wvSplitKQ_hf_sml_I6__halfN3c1013Float8_e4m3fnELi32ELi2ELi16ELi16ELi1ELi3EEviiiiiiPKT0_S5_PKT_PS6_PKfSB_ii
                                        ; -- End function
	.section	.AMDGPU.csdata,"",@progbits
; Kernel info:
; codeLenInByte = 2480
; NumSgprs: 37
; NumVgprs: 59
; NumAgprs: 0
; TotalNumVgprs: 59
; ScratchSize: 0
; MemoryBound: 0
; FloatMode: 240
; IeeeMode: 1
; LDSByteSize: 65536 bytes/workgroup (compile time only)
; SGPRBlocks: 4
; VGPRBlocks: 7
; NumSGPRsForWavesPerEU: 37
; NumVGPRsForWavesPerEU: 59
; AccumOffset: 60
; Occupancy: 2
; WaveLimiterHint : 0
; COMPUTE_PGM_RSRC2:SCRATCH_EN: 0
; COMPUTE_PGM_RSRC2:USER_SGPR: 2
; COMPUTE_PGM_RSRC2:TRAP_HANDLER: 0
; COMPUTE_PGM_RSRC2:TGID_X_EN: 1
; COMPUTE_PGM_RSRC2:TGID_Y_EN: 0
; COMPUTE_PGM_RSRC2:TGID_Z_EN: 0
; COMPUTE_PGM_RSRC2:TIDIG_COMP_CNT: 1
; COMPUTE_PGM_RSRC3_GFX90A:ACCUM_OFFSET: 14
; COMPUTE_PGM_RSRC3_GFX90A:TG_SPLIT: 0
	.section	.text._Z13wvSplitKQ_hf_I6__halfN3c1013Float8_e4m3fnELi32ELi2ELi16ELi16ELi1ELi3EEviiiiiiPKT0_S5_PKT_PS6_PKfSB_ii,"axG",@progbits,_Z13wvSplitKQ_hf_I6__halfN3c1013Float8_e4m3fnELi32ELi2ELi16ELi16ELi1ELi3EEviiiiiiPKT0_S5_PKT_PS6_PKfSB_ii,comdat
	.protected	_Z13wvSplitKQ_hf_I6__halfN3c1013Float8_e4m3fnELi32ELi2ELi16ELi16ELi1ELi3EEviiiiiiPKT0_S5_PKT_PS6_PKfSB_ii ; -- Begin function _Z13wvSplitKQ_hf_I6__halfN3c1013Float8_e4m3fnELi32ELi2ELi16ELi16ELi1ELi3EEviiiiiiPKT0_S5_PKT_PS6_PKfSB_ii
	.globl	_Z13wvSplitKQ_hf_I6__halfN3c1013Float8_e4m3fnELi32ELi2ELi16ELi16ELi1ELi3EEviiiiiiPKT0_S5_PKT_PS6_PKfSB_ii
	.p2align	8
	.type	_Z13wvSplitKQ_hf_I6__halfN3c1013Float8_e4m3fnELi32ELi2ELi16ELi16ELi1ELi3EEviiiiiiPKT0_S5_PKT_PS6_PKfSB_ii,@function
_Z13wvSplitKQ_hf_I6__halfN3c1013Float8_e4m3fnELi32ELi2ELi16ELi16ELi1ELi3EEviiiiiiPKT0_S5_PKT_PS6_PKfSB_ii: ; @_Z13wvSplitKQ_hf_I6__halfN3c1013Float8_e4m3fnELi32ELi2ELi16ELi16ELi1ELi3EEviiiiiiPKT0_S5_PKT_PS6_PKfSB_ii
; %bb.0:
	s_load_dwordx4 s[12:15], s[0:1], 0x0
	s_load_dwordx2 s[16:17], s[0:1], 0x20
	v_and_b32_e32 v4, 0x3ff, v0
	v_bfe_u32 v5, v0, 10, 10
	v_lshlrev_b32_e32 v52, 4, v4
	s_waitcnt lgkmcnt(0)
	s_mul_i32 s3, s13, 3
	v_lshl_add_u32 v0, v5, 9, v52
	s_min_u32 s3, s3, 0x10000
	v_cmp_gt_u32_e32 vcc, s3, v0
	s_and_saveexec_b64 s[4:5], vcc
	s_cbranch_execz .LBB347_9
; %bb.1:
	global_load_dwordx4 v[6:9], v0, s[16:17]
	v_add_u32_e32 v1, 0x2000, v0
	v_cmp_gt_u32_e32 vcc, s3, v1
	s_waitcnt vmcnt(0)
	ds_write_b128 v0, v[6:9]
	s_and_saveexec_b64 s[6:7], vcc
	s_xor_b64 s[6:7], exec, s[6:7]
	s_cbranch_execz .LBB347_9
; %bb.2:
	v_mov_b32_e32 v1, 0
	v_lshl_add_u64 v[2:3], s[16:17], 0, v[0:1]
	v_add_co_u32_e32 v6, vcc, 0x2000, v2
	v_add_u32_e32 v1, 0x4000, v0
	s_nop 0
	v_addc_co_u32_e32 v7, vcc, 0, v3, vcc
	global_load_dwordx4 v[6:9], v[6:7], off
	v_cmp_gt_u32_e32 vcc, s3, v1
	s_waitcnt vmcnt(0)
	ds_write_b128 v0, v[6:9] offset:8192
	s_and_saveexec_b64 s[6:7], vcc
	s_xor_b64 s[6:7], exec, s[6:7]
	s_cbranch_execz .LBB347_9
; %bb.3:
	v_add_co_u32_e32 v6, vcc, 0x4000, v2
	v_add_u32_e32 v1, 0x6000, v0
	s_nop 0
	v_addc_co_u32_e32 v7, vcc, 0, v3, vcc
	global_load_dwordx4 v[6:9], v[6:7], off
	v_cmp_gt_u32_e32 vcc, s3, v1
	s_waitcnt vmcnt(0)
	ds_write_b128 v0, v[6:9] offset:16384
	s_and_saveexec_b64 s[6:7], vcc
	s_xor_b64 s[6:7], exec, s[6:7]
	s_cbranch_execz .LBB347_9
; %bb.4:
	;; [unrolled: 12-line block ×6, first 2 shown]
	v_add_co_u32_e32 v2, vcc, 0xe000, v2
	s_nop 1
	v_addc_co_u32_e32 v3, vcc, 0, v3, vcc
	global_load_dwordx4 v[6:9], v[2:3], off
	s_waitcnt vmcnt(0)
	ds_write_b128 v0, v[6:9] offset:57344
.LBB347_9:
	s_or_b64 exec, exec, s[4:5]
	s_load_dwordx2 s[22:23], s[0:1], 0x48
	;;#ASMSTART
	s_waitcnt vmcnt(0)
	;;#ASMEND
	s_waitcnt lgkmcnt(0)
	s_barrier
	v_cmp_gt_u32_e32 vcc, s22, v5
	s_and_saveexec_b64 s[4:5], vcc
	s_cbranch_execz .LBB347_41
; %bb.10:
	s_load_dwordx2 s[18:19], s[0:1], 0x10
	s_mul_i32 s2, s2, s22
	v_add_lshl_u32 v44, s2, v5, 1
	v_cmp_gt_u32_e32 vcc, s15, v44
	s_and_b64 exec, exec, vcc
	s_cbranch_execz .LBB347_41
; %bb.11:
	s_load_dwordx8 s[4:11], s[0:1], 0x28
	s_load_dwordx2 s[20:21], s[0:1], 0x18
	v_mbcnt_lo_u32_b32 v0, -1, 0
	v_mbcnt_hi_u32_b32 v0, -1, v0
	s_cmp_lg_u32 s12, 0
	v_and_b32_e32 v1, 63, v0
	s_cselect_b64 s[2:3], -1, 0
	s_add_i32 s28, s12, -16
	s_add_i32 s29, s15, -1
	v_cmp_lt_u32_e32 vcc, 43, v1
	s_mul_i32 s22, s22, s23
	s_waitcnt lgkmcnt(0)
	s_cmp_lg_u64 s[4:5], 0
	v_cndmask_b32_e64 v2, 20, 0, vcc
	v_cmp_lt_u32_e32 vcc, 23, v1
	s_load_dword s26, s[8:9], 0x0
	s_load_dword s27, s[10:11], 0x0
	v_cndmask_b32_e64 v1, 40, 0, vcc
	s_cselect_b64 s[10:11], -1, 0
	s_lshl_b32 s30, s22, 1
	s_abs_i32 s22, s19
	v_add_lshl_u32 v53, v2, v0, 2
	v_add_lshl_u32 v54, v1, v0, 2
	v_cvt_f32_u32_e32 v0, s18
	v_cvt_f32_u32_e32 v1, s22
	s_sub_i32 s23, 0, s18
	s_lshl_b32 s19, s15, 1
	v_rcp_iflag_f32_e32 v0, v0
	v_rcp_iflag_f32_e32 v1, v1
	v_cmp_eq_u32_e64 s[0:1], 0, v4
	s_mov_b64 s[8:9], 0
	v_mul_f32_e32 v0, 0x4f7ffffe, v0
	v_mul_f32_e32 v1, 0x4f7ffffe, v1
	v_cvt_u32_f32_e32 v0, v0
	v_cvt_u32_f32_e32 v1, v1
	v_mov_b32_e32 v47, 0
	v_lshl_add_u32 v56, s13, 1, v52
	v_mul_lo_u32 v2, s23, v0
	s_sub_i32 s23, 0, s22
	v_readfirstlane_b32 s24, v1
	s_mul_i32 s23, s23, s24
	s_mul_hi_u32 s23, s24, s23
	s_add_i32 s24, s24, s23
	s_sub_i32 s23, 1, s22
	s_cmp_lt_u32 s22, 2
	s_cselect_b32 s23, s23, 1
	s_sub_i32 s25, s23, s22
	s_cmp_ge_u32 s23, s22
	s_cselect_b32 s31, s25, s23
	s_lshr_b32 s23, s24, 31
	s_mul_i32 s23, s23, s22
	s_sub_i32 s23, 2, s23
	s_sub_i32 s24, s23, s22
	s_cmp_ge_u32 s23, s22
	s_cselect_b32 s23, s24, s23
	s_sub_i32 s24, s23, s22
	v_mul_hi_u32 v2, v0, v2
	s_cmp_ge_u32 s23, s22
	v_add_u32_e32 v55, v0, v2
	s_cselect_b32 s33, s24, s23
	v_cndmask_b32_e64 v0, 0, 1, s[2:3]
	s_mul_i32 s31, s31, s18
	s_mul_i32 s33, s33, s18
	v_add_u32_e32 v57, s13, v52
	v_cmp_ne_u32_e64 s[2:3], 1, v0
	s_mov_b32 s13, 0xffff
	s_branch .LBB347_13
.LBB347_12:                             ;   in Loop: Header=BB347_13 Depth=1
	s_or_b64 exec, exec, s[22:23]
	v_add_u32_e32 v44, s30, v44
	v_cmp_le_u32_e32 vcc, s15, v44
	s_or_b64 s[8:9], vcc, s[8:9]
	s_andn2_b64 exec, exec, s[8:9]
	s_cbranch_execz .LBB347_41
.LBB347_13:                             ; =>This Loop Header: Depth=1
                                        ;     Child Loop BB347_17 Depth 2
	s_and_b64 vcc, exec, s[2:3]
	v_or_b32_e32 v58, 1, v44
	v_mov_b32_e32 v23, v47
	v_mov_b32_e32 v22, v47
	;; [unrolled: 1-line block ×9, first 2 shown]
	s_waitcnt lgkmcnt(0)
	v_mov_b32_e32 v14, v47
	v_mov_b32_e32 v13, v47
	;; [unrolled: 1-line block ×3, first 2 shown]
	s_waitcnt vmcnt(3)
	v_mov_b32_e32 v11, v47
	v_mov_b32_e32 v10, v47
	;; [unrolled: 1-line block ×12, first 2 shown]
	s_cbranch_vccnz .LBB347_30
; %bb.14:                               ;   in Loop: Header=BB347_13 Depth=1
	v_min_u32_e32 v0, s29, v44
	v_mul_lo_u32 v48, v0, s14
	v_or_b32_e32 v0, 1, v44
	v_min_u32_e32 v0, s29, v0
	v_mov_b32_e32 v4, 0
	v_mov_b32_e32 v49, v47
	v_mul_lo_u32 v50, v0, s14
	v_mov_b32_e32 v51, v47
	s_mov_b32 s34, 0
	v_mov_b32_e32 v5, v4
	v_mov_b32_e32 v6, v4
	;; [unrolled: 1-line block ×23, first 2 shown]
	s_branch .LBB347_17
.LBB347_15:                             ;   in Loop: Header=BB347_17 Depth=2
	s_or_b64 exec, exec, s[24:25]
.LBB347_16:                             ;   in Loop: Header=BB347_17 Depth=2
	s_or_b64 exec, exec, s[22:23]
	s_waitcnt vmcnt(0) lgkmcnt(0)
	v_mfma_f32_16x16x32_fp8_fp8 v[20:23], v[32:33], v[28:29], v[20:23]
	s_addk_i32 s34, 0x200
	s_cmp_ge_u32 s34, s12
	v_mfma_f32_16x16x32_fp8_fp8 v[16:19], v[32:33], v[24:25], v[16:19]
	v_mfma_f32_16x16x32_fp8_fp8 v[12:15], v[36:37], v[28:29], v[12:15]
	;; [unrolled: 1-line block ×11, first 2 shown]
	s_cbranch_scc1 .LBB347_30
.LBB347_17:                             ;   Parent Loop BB347_13 Depth=1
                                        ; =>  This Inner Loop Header: Depth=2
	v_add_u32_e32 v45, s34, v52
	v_min_u32_e32 v46, s28, v45
	v_lshl_add_u64 v[24:25], s[20:21], 0, v[46:47]
	v_lshl_add_u64 v[32:33], v[24:25], 0, v[48:49]
	;; [unrolled: 1-line block ×3, first 2 shown]
	global_load_dwordx4 v[28:31], v[32:33], off nt
	global_load_dwordx4 v[24:27], v[34:35], off nt
	v_mov_b64_e32 v[42:43], 0
	v_cmp_gt_u32_e32 vcc, s12, v45
	v_mov_b64_e32 v[40:41], v[42:43]
	v_mov_b64_e32 v[38:39], v[42:43]
	;; [unrolled: 1-line block ×5, first 2 shown]
	s_and_saveexec_b64 s[22:23], vcc
	s_cbranch_execz .LBB347_16
; %bb.18:                               ;   in Loop: Header=BB347_17 Depth=2
	v_cmp_lt_u32_e32 vcc, s13, v45
                                        ; implicit-def: $vgpr34_vgpr35
	s_and_saveexec_b64 s[24:25], vcc
	s_xor_b64 s[24:25], exec, s[24:25]
	s_cbranch_execz .LBB347_20
; %bb.19:                               ;   in Loop: Header=BB347_17 Depth=2
	global_load_dwordx4 v[32:35], v45, s[16:17]
                                        ; implicit-def: $vgpr45
.LBB347_20:                             ;   in Loop: Header=BB347_17 Depth=2
	s_andn2_saveexec_b64 s[24:25], s[24:25]
	s_cbranch_execz .LBB347_22
; %bb.21:                               ;   in Loop: Header=BB347_17 Depth=2
	s_waitcnt vmcnt(0)
	ds_read_b128 v[32:35], v45
.LBB347_22:                             ;   in Loop: Header=BB347_17 Depth=2
	s_or_b64 exec, exec, s[24:25]
	v_add_u32_e32 v40, s34, v57
	v_cmp_lt_u32_e32 vcc, s13, v40
                                        ; implicit-def: $vgpr38_vgpr39
	s_and_saveexec_b64 s[24:25], vcc
	s_xor_b64 s[24:25], exec, s[24:25]
	s_cbranch_execz .LBB347_24
; %bb.23:                               ;   in Loop: Header=BB347_17 Depth=2
	global_load_dwordx4 v[36:39], v40, s[16:17]
                                        ; implicit-def: $vgpr40
.LBB347_24:                             ;   in Loop: Header=BB347_17 Depth=2
	s_andn2_saveexec_b64 s[24:25], s[24:25]
	s_cbranch_execz .LBB347_26
; %bb.25:                               ;   in Loop: Header=BB347_17 Depth=2
	s_waitcnt vmcnt(0)
	ds_read_b128 v[36:39], v40
.LBB347_26:                             ;   in Loop: Header=BB347_17 Depth=2
	s_or_b64 exec, exec, s[24:25]
	v_add_u32_e32 v45, s34, v56
	v_cmp_lt_u32_e32 vcc, s13, v45
                                        ; implicit-def: $vgpr42_vgpr43
	s_and_saveexec_b64 s[24:25], vcc
	s_xor_b64 s[24:25], exec, s[24:25]
	s_cbranch_execz .LBB347_28
; %bb.27:                               ;   in Loop: Header=BB347_17 Depth=2
	global_load_dwordx4 v[40:43], v45, s[16:17]
                                        ; implicit-def: $vgpr45
.LBB347_28:                             ;   in Loop: Header=BB347_17 Depth=2
	s_andn2_saveexec_b64 s[24:25], s[24:25]
	s_cbranch_execz .LBB347_15
; %bb.29:                               ;   in Loop: Header=BB347_17 Depth=2
	s_waitcnt vmcnt(0)
	ds_read_b128 v[40:43], v45
	s_branch .LBB347_15
.LBB347_30:                             ;   in Loop: Header=BB347_13 Depth=1
	s_nop 0
	v_cvt_i32_f32_e32 v21, v21
	v_cvt_i32_f32_e32 v22, v22
	;; [unrolled: 1-line block ×5, first 2 shown]
	v_cvt_f32_i32_dpp v21, v21 row_shl:1 row_mask:0xf bank_mask:0xf bound_ctrl:1
	v_cvt_i32_f32_e32 v13, v13
	v_cvt_f32_i32_dpp v22, v22 row_shl:2 row_mask:0xf bank_mask:0xf bound_ctrl:1
	v_cvt_f32_i32_dpp v17, v17 row_shl:1 row_mask:0xf bank_mask:0xf bound_ctrl:1
	v_cvt_i32_f32_e32 v14, v14
	v_cvt_f32_i32_dpp v23, v23 row_shl:3 row_mask:0xf bank_mask:0xf bound_ctrl:1
	v_cvt_f32_i32_dpp v18, v18 row_shl:2 row_mask:0xf bank_mask:0xf bound_ctrl:1
	v_cvt_i32_f32_e32 v19, v19
	v_cvt_i32_f32_e32 v15, v15
	v_add_f32_e32 v20, v20, v21
	v_cvt_f32_i32_dpp v13, v13 row_shl:1 row_mask:0xf bank_mask:0xf bound_ctrl:1
	v_add_f32_e32 v20, v20, v22
	v_add_f32_e32 v17, v16, v17
	v_cvt_f32_i32_dpp v14, v14 row_shl:2 row_mask:0xf bank_mask:0xf bound_ctrl:1
	v_add_f32_e32 v20, v20, v23
	v_add_f32_e32 v17, v17, v18
	v_cvt_f32_i32_dpp v18, v19 row_shl:3 row_mask:0xf bank_mask:0xf bound_ctrl:1
	v_cvt_f32_i32_dpp v15, v15 row_shl:3 row_mask:0xf bank_mask:0xf bound_ctrl:1
	v_cvt_i32_f32_e32 v1, v1
	ds_bpermute_b32 v21, v53, v20
	v_cvt_i32_f32_e32 v2, v2
	v_add_f32_e32 v12, v12, v13
	v_add_f32_e32 v12, v12, v14
	;; [unrolled: 1-line block ×4, first 2 shown]
	v_cvt_f32_i32_dpp v1, v1 row_shl:1 row_mask:0xf bank_mask:0xf bound_ctrl:1
	ds_bpermute_b32 v18, v53, v17
	ds_bpermute_b32 v19, v53, v15
	v_cvt_f32_i32_dpp v2, v2 row_shl:2 row_mask:0xf bank_mask:0xf bound_ctrl:1
	v_cvt_i32_f32_e32 v3, v3
	s_waitcnt lgkmcnt(0)
	v_add_f32_e32 v16, v20, v21
	v_cvt_i32_f32_e32 v20, v9
	v_add_f32_e32 v0, v0, v1
	v_add_f32_e32 v0, v0, v2
	v_cvt_f32_i32_dpp v1, v3 row_shl:3 row_mask:0xf bank_mask:0xf bound_ctrl:1
	v_cvt_i32_f32_e32 v2, v5
	v_add_f32_e32 v12, v17, v18
	v_add_f32_e32 v9, v15, v19
	v_cvt_f32_i32_dpp v15, v20 row_shl:1 row_mask:0xf bank_mask:0xf bound_ctrl:1
	v_cvt_i32_f32_e32 v17, v10
	v_cvt_i32_f32_e32 v3, v6
	;; [unrolled: 1-line block ×4, first 2 shown]
	v_add_f32_e32 v0, v0, v1
	v_cvt_f32_i32_dpp v1, v2 row_shl:1 row_mask:0xf bank_mask:0xf bound_ctrl:1
	v_add_f32_e32 v8, v8, v15
	v_cvt_f32_i32_dpp v15, v17 row_shl:2 row_mask:0xf bank_mask:0xf bound_ctrl:1
	v_cvt_f32_i32_dpp v2, v3 row_shl:2 row_mask:0xf bank_mask:0xf bound_ctrl:1
	;; [unrolled: 1-line block ×4, first 2 shown]
	v_add_f32_e32 v1, v4, v1
	v_add_f32_e32 v8, v8, v15
	;; [unrolled: 1-line block ×5, first 2 shown]
	ds_bpermute_b32 v11, v53, v8
	ds_bpermute_b32 v5, v53, v0
	;; [unrolled: 1-line block ×5, first 2 shown]
	s_waitcnt lgkmcnt(4)
	v_add_f32_e32 v6, v8, v11
	s_waitcnt lgkmcnt(3)
	v_add_f32_e32 v4, v0, v5
	;; [unrolled: 2-line block ×3, first 2 shown]
	ds_bpermute_b32 v10, v54, v9
	ds_bpermute_b32 v7, v54, v6
	;; [unrolled: 1-line block ×4, first 2 shown]
	s_and_saveexec_b64 s[22:23], s[0:1]
	s_cbranch_execz .LBB347_12
; %bb.31:                               ;   in Loop: Header=BB347_13 Depth=1
	s_and_b64 vcc, exec, s[10:11]
	s_cbranch_vccz .LBB347_40
; %bb.32:                               ;   in Loop: Header=BB347_13 Depth=1
	v_mul_hi_u32 v0, v44, v55
	v_mul_lo_u32 v0, v0, s18
	v_sub_u32_e32 v0, v44, v0
	v_subrev_u32_e32 v1, s18, v0
	v_cmp_le_u32_e32 vcc, s18, v0
	v_or_b32_e32 v8, 1, v44
	v_mov_b32_e32 v19, v47
	v_cndmask_b32_e32 v0, v0, v1, vcc
	v_subrev_u32_e32 v1, s18, v0
	v_cmp_le_u32_e32 vcc, s18, v0
	v_mov_b32_e32 v45, v47
	s_nop 0
	v_cndmask_b32_e32 v46, v0, v1, vcc
	v_mul_hi_u32 v0, v8, v55
	v_mul_lo_u32 v0, v0, s18
	v_sub_u32_e32 v0, v8, v0
	v_subrev_u32_e32 v1, s18, v0
	v_cmp_le_u32_e32 vcc, s18, v0
	v_lshl_add_u64 v[20:21], v[46:47], 1, s[4:5]
	v_add_u32_e32 v18, s31, v46
	v_cndmask_b32_e32 v0, v0, v1, vcc
	v_subrev_u32_e32 v1, s18, v0
	v_cmp_le_u32_e32 vcc, s18, v0
	v_add_u32_e32 v46, s33, v46
	v_lshl_add_u64 v[24:25], v[18:19], 1, s[4:5]
	v_cndmask_b32_e32 v0, v0, v1, vcc
	v_mov_b32_e32 v1, v47
	v_add_u32_e32 v18, s31, v0
	v_lshl_add_u64 v[28:29], v[46:47], 1, s[4:5]
	v_add_u32_e32 v46, s33, v0
	v_lshl_add_u64 v[22:23], v[0:1], 1, s[4:5]
	v_lshl_add_u64 v[26:27], v[18:19], 1, s[4:5]
	;; [unrolled: 1-line block ×3, first 2 shown]
	global_load_ushort v0, v[20:21], off
	global_load_ushort v19, v[22:23], off
	global_load_ushort v18, v[24:25], off
	global_load_ushort v17, v[26:27], off
	global_load_ushort v15, v[28:29], off
	global_load_ushort v11, v[30:31], off
	s_cbranch_execnz .LBB347_34
.LBB347_33:                             ;   in Loop: Header=BB347_13 Depth=1
	v_mov_b32_e32 v45, v47
	s_waitcnt vmcnt(5)
	v_mov_b32_e32 v0, 0
	v_mov_b32_e32 v8, v58
	s_waitcnt vmcnt(4)
	v_mov_b32_e32 v19, 0
	s_waitcnt vmcnt(3)
	;; [unrolled: 2-line block ×5, first 2 shown]
	v_mov_b32_e32 v11, 0
.LBB347_34:                             ;   in Loop: Header=BB347_13 Depth=1
	s_waitcnt lgkmcnt(5)
	v_add_f32_e32 v1, v16, v14
	v_mul_f32_e32 v1, s26, v1
	s_waitcnt vmcnt(5)
	v_fma_mixlo_f16 v14, s27, v1, v0 op_sel_hi:[0,0,1]
	v_lshl_add_u64 v[0:1], v[44:45], 1, s[6:7]
	v_cmp_gt_u32_e32 vcc, s15, v8
	global_store_short v[0:1], v14, off
	s_and_saveexec_b64 s[24:25], vcc
	s_cbranch_execz .LBB347_36
; %bb.35:                               ;   in Loop: Header=BB347_13 Depth=1
	s_waitcnt lgkmcnt(4)
	v_add_f32_e32 v12, v12, v13
	v_mul_f32_e32 v12, s26, v12
	s_waitcnt vmcnt(5)
	v_fma_mixlo_f16 v12, s27, v12, v19 op_sel_hi:[0,0,1]
	global_store_short v[0:1], v12, off offset:2
.LBB347_36:                             ;   in Loop: Header=BB347_13 Depth=1
	s_or_b64 exec, exec, s[24:25]
	s_waitcnt lgkmcnt(3)
	v_add_f32_e32 v0, v9, v10
	v_mul_f32_e32 v0, s26, v0
	v_add_u32_e32 v46, s15, v44
	s_waitcnt vmcnt(4)
	v_fma_mixlo_f16 v9, s27, v0, v18 op_sel_hi:[0,0,1]
	v_lshl_add_u64 v[0:1], v[46:47], 1, s[6:7]
	global_store_short v[0:1], v9, off
	s_and_saveexec_b64 s[24:25], vcc
	s_cbranch_execz .LBB347_38
; %bb.37:                               ;   in Loop: Header=BB347_13 Depth=1
	s_waitcnt lgkmcnt(2)
	v_add_f32_e32 v0, v6, v7
	v_mul_f32_e32 v0, s26, v0
	s_waitcnt vmcnt(4)
	v_fma_mixlo_f16 v6, s27, v0, v17 op_sel_hi:[0,0,1]
	v_add_u32_e32 v0, s15, v8
	v_mov_b32_e32 v1, v47
	v_lshl_add_u64 v[0:1], v[0:1], 1, s[6:7]
	global_store_short v[0:1], v6, off
.LBB347_38:                             ;   in Loop: Header=BB347_13 Depth=1
	s_or_b64 exec, exec, s[24:25]
	s_waitcnt lgkmcnt(1)
	v_add_f32_e32 v0, v4, v5
	v_mul_f32_e32 v0, s26, v0
	v_add_u32_e32 v46, s15, v46
	s_waitcnt vmcnt(3)
	v_fma_mixlo_f16 v4, s27, v0, v15 op_sel_hi:[0,0,1]
	v_lshl_add_u64 v[0:1], v[46:47], 1, s[6:7]
	global_store_short v[0:1], v4, off
	s_and_b64 exec, exec, vcc
	s_cbranch_execz .LBB347_12
; %bb.39:                               ;   in Loop: Header=BB347_13 Depth=1
	s_waitcnt lgkmcnt(0)
	v_add_f32_e32 v0, v2, v3
	v_mul_f32_e32 v0, s26, v0
	v_add_u32_e32 v46, s19, v8
	s_waitcnt vmcnt(3)
	v_fma_mixlo_f16 v2, s27, v0, v11 op_sel_hi:[0,0,1]
	v_lshl_add_u64 v[0:1], v[46:47], 1, s[6:7]
	global_store_short v[0:1], v2, off
	s_branch .LBB347_12
.LBB347_40:                             ;   in Loop: Header=BB347_13 Depth=1
                                        ; implicit-def: $vgpr11
                                        ; implicit-def: $vgpr15
                                        ; implicit-def: $vgpr17
                                        ; implicit-def: $vgpr18
                                        ; implicit-def: $vgpr19
                                        ; implicit-def: $vgpr0
                                        ; implicit-def: $vgpr8
	s_branch .LBB347_33
.LBB347_41:
	s_endpgm
	.section	.rodata,"a",@progbits
	.p2align	6, 0x0
	.amdhsa_kernel _Z13wvSplitKQ_hf_I6__halfN3c1013Float8_e4m3fnELi32ELi2ELi16ELi16ELi1ELi3EEviiiiiiPKT0_S5_PKT_PS6_PKfSB_ii
		.amdhsa_group_segment_fixed_size 65536
		.amdhsa_private_segment_fixed_size 0
		.amdhsa_kernarg_size 80
		.amdhsa_user_sgpr_count 2
		.amdhsa_user_sgpr_dispatch_ptr 0
		.amdhsa_user_sgpr_queue_ptr 0
		.amdhsa_user_sgpr_kernarg_segment_ptr 1
		.amdhsa_user_sgpr_dispatch_id 0
		.amdhsa_user_sgpr_kernarg_preload_length 0
		.amdhsa_user_sgpr_kernarg_preload_offset 0
		.amdhsa_user_sgpr_private_segment_size 0
		.amdhsa_uses_dynamic_stack 0
		.amdhsa_enable_private_segment 0
		.amdhsa_system_sgpr_workgroup_id_x 1
		.amdhsa_system_sgpr_workgroup_id_y 0
		.amdhsa_system_sgpr_workgroup_id_z 0
		.amdhsa_system_sgpr_workgroup_info 0
		.amdhsa_system_vgpr_workitem_id 1
		.amdhsa_next_free_vgpr 59
		.amdhsa_next_free_sgpr 35
		.amdhsa_accum_offset 60
		.amdhsa_reserve_vcc 1
		.amdhsa_float_round_mode_32 0
		.amdhsa_float_round_mode_16_64 0
		.amdhsa_float_denorm_mode_32 3
		.amdhsa_float_denorm_mode_16_64 3
		.amdhsa_dx10_clamp 1
		.amdhsa_ieee_mode 1
		.amdhsa_fp16_overflow 0
		.amdhsa_tg_split 0
		.amdhsa_exception_fp_ieee_invalid_op 0
		.amdhsa_exception_fp_denorm_src 0
		.amdhsa_exception_fp_ieee_div_zero 0
		.amdhsa_exception_fp_ieee_overflow 0
		.amdhsa_exception_fp_ieee_underflow 0
		.amdhsa_exception_fp_ieee_inexact 0
		.amdhsa_exception_int_div_zero 0
	.end_amdhsa_kernel
	.section	.text._Z13wvSplitKQ_hf_I6__halfN3c1013Float8_e4m3fnELi32ELi2ELi16ELi16ELi1ELi3EEviiiiiiPKT0_S5_PKT_PS6_PKfSB_ii,"axG",@progbits,_Z13wvSplitKQ_hf_I6__halfN3c1013Float8_e4m3fnELi32ELi2ELi16ELi16ELi1ELi3EEviiiiiiPKT0_S5_PKT_PS6_PKfSB_ii,comdat
.Lfunc_end347:
	.size	_Z13wvSplitKQ_hf_I6__halfN3c1013Float8_e4m3fnELi32ELi2ELi16ELi16ELi1ELi3EEviiiiiiPKT0_S5_PKT_PS6_PKfSB_ii, .Lfunc_end347-_Z13wvSplitKQ_hf_I6__halfN3c1013Float8_e4m3fnELi32ELi2ELi16ELi16ELi1ELi3EEviiiiiiPKT0_S5_PKT_PS6_PKfSB_ii
                                        ; -- End function
	.section	.AMDGPU.csdata,"",@progbits
; Kernel info:
; codeLenInByte = 2600
; NumSgprs: 41
; NumVgprs: 59
; NumAgprs: 0
; TotalNumVgprs: 59
; ScratchSize: 0
; MemoryBound: 1
; FloatMode: 240
; IeeeMode: 1
; LDSByteSize: 65536 bytes/workgroup (compile time only)
; SGPRBlocks: 5
; VGPRBlocks: 7
; NumSGPRsForWavesPerEU: 41
; NumVGPRsForWavesPerEU: 59
; AccumOffset: 60
; Occupancy: 2
; WaveLimiterHint : 0
; COMPUTE_PGM_RSRC2:SCRATCH_EN: 0
; COMPUTE_PGM_RSRC2:USER_SGPR: 2
; COMPUTE_PGM_RSRC2:TRAP_HANDLER: 0
; COMPUTE_PGM_RSRC2:TGID_X_EN: 1
; COMPUTE_PGM_RSRC2:TGID_Y_EN: 0
; COMPUTE_PGM_RSRC2:TGID_Z_EN: 0
; COMPUTE_PGM_RSRC2:TIDIG_COMP_CNT: 1
; COMPUTE_PGM_RSRC3_GFX90A:ACCUM_OFFSET: 14
; COMPUTE_PGM_RSRC3_GFX90A:TG_SPLIT: 0
	.section	.text._Z17wvSplitKQ_hf_sml_I6__halfN3c1013Float8_e4m3fnELi64ELi2ELi16ELi16ELi1ELi3EEviiiiiiPKT0_S5_PKT_PS6_PKfSB_ii,"axG",@progbits,_Z17wvSplitKQ_hf_sml_I6__halfN3c1013Float8_e4m3fnELi64ELi2ELi16ELi16ELi1ELi3EEviiiiiiPKT0_S5_PKT_PS6_PKfSB_ii,comdat
	.protected	_Z17wvSplitKQ_hf_sml_I6__halfN3c1013Float8_e4m3fnELi64ELi2ELi16ELi16ELi1ELi3EEviiiiiiPKT0_S5_PKT_PS6_PKfSB_ii ; -- Begin function _Z17wvSplitKQ_hf_sml_I6__halfN3c1013Float8_e4m3fnELi64ELi2ELi16ELi16ELi1ELi3EEviiiiiiPKT0_S5_PKT_PS6_PKfSB_ii
	.globl	_Z17wvSplitKQ_hf_sml_I6__halfN3c1013Float8_e4m3fnELi64ELi2ELi16ELi16ELi1ELi3EEviiiiiiPKT0_S5_PKT_PS6_PKfSB_ii
	.p2align	8
	.type	_Z17wvSplitKQ_hf_sml_I6__halfN3c1013Float8_e4m3fnELi64ELi2ELi16ELi16ELi1ELi3EEviiiiiiPKT0_S5_PKT_PS6_PKfSB_ii,@function
_Z17wvSplitKQ_hf_sml_I6__halfN3c1013Float8_e4m3fnELi64ELi2ELi16ELi16ELi1ELi3EEviiiiiiPKT0_S5_PKT_PS6_PKfSB_ii: ; @_Z17wvSplitKQ_hf_sml_I6__halfN3c1013Float8_e4m3fnELi64ELi2ELi16ELi16ELi1ELi3EEviiiiiiPKT0_S5_PKT_PS6_PKfSB_ii
; %bb.0:
	s_load_dwordx4 s[4:7], s[0:1], 0x0
	s_load_dwordx2 s[12:13], s[0:1], 0x10
	s_load_dwordx4 s[8:11], s[0:1], 0x38
	s_load_dwordx2 s[14:15], s[0:1], 0x28
	v_and_b32_e32 v2, 0x3ff, v0
	v_bfe_u32 v3, v0, 10, 10
	v_lshlrev_b32_e32 v44, 4, v2
	s_waitcnt lgkmcnt(0)
	s_mul_i32 s3, s5, 3
	v_lshl_add_u32 v4, v3, 10, v44
	s_min_u32 s3, s3, 0x10000
	v_cmp_gt_u32_e32 vcc, s3, v4
	s_and_saveexec_b64 s[16:17], vcc
	s_cbranch_execz .LBB348_3
; %bb.1:
	s_load_dwordx2 s[18:19], s[0:1], 0x20
	v_mov_b32_e32 v1, 0
	v_lshlrev_b32_e32 v0, 10, v3
	v_mov_b32_e32 v45, v1
	v_lshl_add_u64 v[0:1], v[0:1], 0, v[44:45]
	s_waitcnt lgkmcnt(0)
	v_lshl_add_u64 v[0:1], s[18:19], 0, v[0:1]
	s_mov_b64 s[18:19], 0
	s_mov_b64 s[20:21], 0x4000
.LBB348_2:                              ; =>This Inner Loop Header: Depth=1
	global_load_dwordx4 v[6:9], v[0:1], off
	v_lshl_add_u64 v[0:1], v[0:1], 0, s[20:21]
	s_waitcnt vmcnt(0)
	ds_write_b128 v4, v[6:9]
	v_add_u32_e32 v4, 0x4000, v4
	v_cmp_le_u32_e32 vcc, s3, v4
	s_or_b64 s[18:19], vcc, s[18:19]
	s_andn2_b64 exec, exec, s[18:19]
	s_cbranch_execnz .LBB348_2
.LBB348_3:
	s_or_b64 exec, exec, s[16:17]
	s_load_dwordx2 s[20:21], s[0:1], 0x48
	;;#ASMSTART
	s_waitcnt vmcnt(0)
	;;#ASMEND
	s_waitcnt lgkmcnt(0)
	s_barrier
	v_cmp_gt_u32_e32 vcc, s20, v3
	s_and_saveexec_b64 s[16:17], vcc
	s_cbranch_execz .LBB348_23
; %bb.4:
	s_mul_i32 s2, s2, s20
	v_add_lshl_u32 v46, s2, v3, 1
	v_cmp_gt_u32_e32 vcc, s7, v46
	s_and_b64 exec, exec, vcc
	s_cbranch_execz .LBB348_23
; %bb.5:
	v_mbcnt_lo_u32_b32 v0, -1, 0
	v_mbcnt_hi_u32_b32 v0, -1, v0
	s_cmp_lg_u32 s4, 0
	v_and_b32_e32 v1, 63, v0
	s_cselect_b64 s[2:3], -1, 0
	s_add_i32 s26, s4, -16
	s_add_i32 s27, s7, -1
	v_cmp_lt_u32_e32 vcc, 43, v1
	s_mul_i32 s20, s20, s21
	s_cmp_lg_u64 s[14:15], 0
	v_cndmask_b32_e64 v3, 20, 0, vcc
	v_cmp_lt_u32_e32 vcc, 23, v1
	s_load_dword s24, s[8:9], 0x0
	s_load_dword s25, s[10:11], 0x0
	s_load_dwordx2 s[16:17], s[0:1], 0x18
	s_load_dwordx2 s[18:19], s[0:1], 0x30
	v_cndmask_b32_e64 v1, 40, 0, vcc
	s_cselect_b64 s[10:11], -1, 0
	s_lshl_b32 s28, s20, 1
	s_abs_i32 s20, s13
	v_add_lshl_u32 v45, v3, v0, 2
	v_add_lshl_u32 v54, v1, v0, 2
	v_cvt_f32_u32_e32 v0, s12
	v_cvt_f32_u32_e32 v1, s20
	s_sub_i32 s21, 0, s12
	v_cmp_eq_u32_e64 s[0:1], 0, v2
	v_rcp_iflag_f32_e32 v0, v0
	v_rcp_iflag_f32_e32 v1, v1
	s_lshl_b32 s13, s7, 1
	s_mov_b64 s[8:9], 0
	v_mul_f32_e32 v0, 0x4f7ffffe, v0
	v_mul_f32_e32 v1, 0x4f7ffffe, v1
	v_cvt_u32_f32_e32 v0, v0
	v_cvt_u32_f32_e32 v1, v1
	v_mov_b32_e32 v49, 0
	v_lshl_add_u32 v56, s5, 1, v44
	v_mul_lo_u32 v2, s21, v0
	s_sub_i32 s21, 0, s20
	v_readfirstlane_b32 s22, v1
	s_mul_i32 s21, s21, s22
	s_mul_hi_u32 s21, s22, s21
	s_add_i32 s22, s22, s21
	s_sub_i32 s21, 1, s20
	s_cmp_lt_u32 s20, 2
	s_cselect_b32 s21, s21, 1
	s_sub_i32 s23, s21, s20
	s_cmp_ge_u32 s21, s20
	s_cselect_b32 s29, s23, s21
	s_lshr_b32 s21, s22, 31
	s_mul_i32 s21, s21, s20
	s_sub_i32 s21, 2, s21
	s_sub_i32 s22, s21, s20
	s_cmp_ge_u32 s21, s20
	s_cselect_b32 s21, s22, s21
	s_sub_i32 s22, s21, s20
	v_mul_hi_u32 v2, v0, v2
	s_cmp_ge_u32 s21, s20
	v_add_u32_e32 v55, v0, v2
	s_cselect_b32 s30, s22, s21
	v_cndmask_b32_e64 v0, 0, 1, s[2:3]
	s_mul_i32 s29, s29, s12
	s_mul_i32 s30, s30, s12
	v_add_u32_e32 v57, s5, v44
	v_cmp_ne_u32_e64 s[2:3], 1, v0
	s_branch .LBB348_7
.LBB348_6:                              ;   in Loop: Header=BB348_7 Depth=1
	s_or_b64 exec, exec, s[20:21]
	v_add_u32_e32 v46, s28, v46
	v_cmp_le_u32_e32 vcc, s7, v46
	s_or_b64 s[8:9], vcc, s[8:9]
	s_andn2_b64 exec, exec, s[8:9]
	s_cbranch_execz .LBB348_23
.LBB348_7:                              ; =>This Loop Header: Depth=1
                                        ;     Child Loop BB348_10 Depth 2
	s_and_b64 vcc, exec, s[2:3]
	v_or_b32_e32 v58, 1, v46
	v_mov_b32_e32 v23, v49
	v_mov_b32_e32 v22, v49
	;; [unrolled: 1-line block ×9, first 2 shown]
	s_waitcnt lgkmcnt(0)
	v_mov_b32_e32 v14, v49
	v_mov_b32_e32 v13, v49
	;; [unrolled: 1-line block ×3, first 2 shown]
	s_waitcnt vmcnt(3)
	v_mov_b32_e32 v11, v49
	v_mov_b32_e32 v10, v49
	;; [unrolled: 1-line block ×12, first 2 shown]
	s_cbranch_vccnz .LBB348_12
; %bb.8:                                ;   in Loop: Header=BB348_7 Depth=1
	v_min_u32_e32 v0, s27, v46
	v_mul_lo_u32 v50, v0, s6
	v_or_b32_e32 v0, 1, v46
	v_min_u32_e32 v0, s27, v0
	v_mov_b32_e32 v4, 0
	v_mov_b32_e32 v51, v49
	v_mul_lo_u32 v52, v0, s6
	v_mov_b32_e32 v53, v49
	s_mov_b32 s5, 0
	v_mov_b32_e32 v5, v4
	v_mov_b32_e32 v6, v4
	;; [unrolled: 1-line block ×23, first 2 shown]
	s_branch .LBB348_10
.LBB348_9:                              ;   in Loop: Header=BB348_10 Depth=2
	s_or_b64 exec, exec, s[20:21]
	s_waitcnt vmcnt(1) lgkmcnt(2)
	v_mfma_f32_16x16x32_fp8_fp8 v[20:23], v[36:37], v[28:29], v[20:23]
	s_addk_i32 s5, 0x400
	s_cmp_ge_u32 s5, s4
	s_waitcnt vmcnt(0)
	v_mfma_f32_16x16x32_fp8_fp8 v[16:19], v[36:37], v[24:25], v[16:19]
	s_waitcnt lgkmcnt(1)
	v_mfma_f32_16x16x32_fp8_fp8 v[12:15], v[40:41], v[28:29], v[12:15]
	v_mfma_f32_16x16x32_fp8_fp8 v[8:11], v[40:41], v[24:25], v[8:11]
	s_waitcnt lgkmcnt(0)
	v_mfma_f32_16x16x32_fp8_fp8 v[0:3], v[32:33], v[28:29], v[0:3]
	v_mfma_f32_16x16x32_fp8_fp8 v[4:7], v[32:33], v[24:25], v[4:7]
	;; [unrolled: 1-line block ×8, first 2 shown]
	s_cbranch_scc1 .LBB348_12
.LBB348_10:                             ;   Parent Loop BB348_7 Depth=1
                                        ; =>  This Inner Loop Header: Depth=2
	v_add_u32_e32 v47, s5, v44
	v_min_u32_e32 v48, s26, v47
	s_waitcnt lgkmcnt(0)
	v_lshl_add_u64 v[24:25], s[16:17], 0, v[48:49]
	v_lshl_add_u64 v[32:33], v[24:25], 0, v[50:51]
	;; [unrolled: 1-line block ×3, first 2 shown]
	global_load_dwordx4 v[28:31], v[32:33], off nt
	global_load_dwordx4 v[24:27], v[34:35], off nt
	v_mov_b64_e32 v[36:37], 0
	v_cmp_gt_u32_e32 vcc, s4, v47
	v_mov_b64_e32 v[38:39], v[36:37]
	v_mov_b64_e32 v[40:41], v[36:37]
	;; [unrolled: 1-line block ×5, first 2 shown]
	s_and_saveexec_b64 s[20:21], vcc
	s_cbranch_execz .LBB348_9
; %bb.11:                               ;   in Loop: Header=BB348_10 Depth=2
	v_add_u32_e32 v32, s5, v57
	ds_read_b128 v[36:39], v47
	ds_read_b128 v[40:43], v32
	v_add_u32_e32 v32, s5, v56
	ds_read_b128 v[32:35], v32
	s_branch .LBB348_9
.LBB348_12:                             ;   in Loop: Header=BB348_7 Depth=1
	s_nop 0
	v_cvt_i32_f32_e32 v21, v21
	v_cvt_i32_f32_e32 v22, v22
	;; [unrolled: 1-line block ×5, first 2 shown]
	v_cvt_f32_i32_dpp v21, v21 row_shl:1 row_mask:0xf bank_mask:0xf bound_ctrl:1
	v_cvt_i32_f32_e32 v13, v13
	v_cvt_f32_i32_dpp v22, v22 row_shl:2 row_mask:0xf bank_mask:0xf bound_ctrl:1
	v_cvt_f32_i32_dpp v17, v17 row_shl:1 row_mask:0xf bank_mask:0xf bound_ctrl:1
	v_cvt_i32_f32_e32 v14, v14
	v_cvt_f32_i32_dpp v23, v23 row_shl:3 row_mask:0xf bank_mask:0xf bound_ctrl:1
	v_cvt_f32_i32_dpp v18, v18 row_shl:2 row_mask:0xf bank_mask:0xf bound_ctrl:1
	v_cvt_i32_f32_e32 v19, v19
	v_cvt_i32_f32_e32 v15, v15
	v_add_f32_e32 v20, v20, v21
	v_cvt_f32_i32_dpp v13, v13 row_shl:1 row_mask:0xf bank_mask:0xf bound_ctrl:1
	v_add_f32_e32 v20, v20, v22
	v_add_f32_e32 v17, v16, v17
	v_cvt_f32_i32_dpp v14, v14 row_shl:2 row_mask:0xf bank_mask:0xf bound_ctrl:1
	v_add_f32_e32 v20, v20, v23
	v_add_f32_e32 v17, v17, v18
	v_cvt_f32_i32_dpp v18, v19 row_shl:3 row_mask:0xf bank_mask:0xf bound_ctrl:1
	v_cvt_f32_i32_dpp v15, v15 row_shl:3 row_mask:0xf bank_mask:0xf bound_ctrl:1
	v_cvt_i32_f32_e32 v1, v1
	ds_bpermute_b32 v21, v45, v20
	v_cvt_i32_f32_e32 v2, v2
	v_add_f32_e32 v12, v12, v13
	v_add_f32_e32 v12, v12, v14
	;; [unrolled: 1-line block ×4, first 2 shown]
	v_cvt_f32_i32_dpp v1, v1 row_shl:1 row_mask:0xf bank_mask:0xf bound_ctrl:1
	ds_bpermute_b32 v18, v45, v17
	ds_bpermute_b32 v19, v45, v15
	v_cvt_f32_i32_dpp v2, v2 row_shl:2 row_mask:0xf bank_mask:0xf bound_ctrl:1
	v_cvt_i32_f32_e32 v3, v3
	s_waitcnt lgkmcnt(0)
	v_add_f32_e32 v16, v20, v21
	v_cvt_i32_f32_e32 v20, v9
	v_add_f32_e32 v0, v0, v1
	v_add_f32_e32 v0, v0, v2
	v_cvt_f32_i32_dpp v1, v3 row_shl:3 row_mask:0xf bank_mask:0xf bound_ctrl:1
	v_cvt_i32_f32_e32 v2, v5
	v_add_f32_e32 v12, v17, v18
	v_add_f32_e32 v9, v15, v19
	v_cvt_f32_i32_dpp v15, v20 row_shl:1 row_mask:0xf bank_mask:0xf bound_ctrl:1
	v_cvt_i32_f32_e32 v17, v10
	v_cvt_i32_f32_e32 v3, v6
	;; [unrolled: 1-line block ×4, first 2 shown]
	v_add_f32_e32 v0, v0, v1
	v_cvt_f32_i32_dpp v1, v2 row_shl:1 row_mask:0xf bank_mask:0xf bound_ctrl:1
	v_add_f32_e32 v8, v8, v15
	v_cvt_f32_i32_dpp v15, v17 row_shl:2 row_mask:0xf bank_mask:0xf bound_ctrl:1
	v_cvt_f32_i32_dpp v2, v3 row_shl:2 row_mask:0xf bank_mask:0xf bound_ctrl:1
	;; [unrolled: 1-line block ×4, first 2 shown]
	v_add_f32_e32 v1, v4, v1
	v_add_f32_e32 v8, v8, v15
	;; [unrolled: 1-line block ×5, first 2 shown]
	ds_bpermute_b32 v11, v45, v8
	ds_bpermute_b32 v5, v45, v0
	;; [unrolled: 1-line block ×5, first 2 shown]
	s_waitcnt lgkmcnt(4)
	v_add_f32_e32 v6, v8, v11
	s_waitcnt lgkmcnt(3)
	v_add_f32_e32 v4, v0, v5
	;; [unrolled: 2-line block ×3, first 2 shown]
	ds_bpermute_b32 v10, v54, v9
	ds_bpermute_b32 v7, v54, v6
	;; [unrolled: 1-line block ×4, first 2 shown]
	s_and_saveexec_b64 s[20:21], s[0:1]
	s_cbranch_execz .LBB348_6
; %bb.13:                               ;   in Loop: Header=BB348_7 Depth=1
	s_and_b64 vcc, exec, s[10:11]
	s_cbranch_vccz .LBB348_22
; %bb.14:                               ;   in Loop: Header=BB348_7 Depth=1
	v_mul_hi_u32 v0, v46, v55
	v_mul_lo_u32 v0, v0, s12
	v_sub_u32_e32 v0, v46, v0
	v_subrev_u32_e32 v1, s12, v0
	v_cmp_le_u32_e32 vcc, s12, v0
	v_or_b32_e32 v8, 1, v46
	v_mov_b32_e32 v19, v49
	v_cndmask_b32_e32 v0, v0, v1, vcc
	v_subrev_u32_e32 v1, s12, v0
	v_cmp_le_u32_e32 vcc, s12, v0
	v_mov_b32_e32 v47, v49
	s_nop 0
	v_cndmask_b32_e32 v48, v0, v1, vcc
	v_mul_hi_u32 v0, v8, v55
	v_mul_lo_u32 v0, v0, s12
	v_sub_u32_e32 v0, v8, v0
	v_subrev_u32_e32 v1, s12, v0
	v_cmp_le_u32_e32 vcc, s12, v0
	v_lshl_add_u64 v[20:21], v[48:49], 1, s[14:15]
	v_add_u32_e32 v18, s29, v48
	v_cndmask_b32_e32 v0, v0, v1, vcc
	v_subrev_u32_e32 v1, s12, v0
	v_cmp_le_u32_e32 vcc, s12, v0
	v_add_u32_e32 v48, s30, v48
	v_lshl_add_u64 v[24:25], v[18:19], 1, s[14:15]
	v_cndmask_b32_e32 v0, v0, v1, vcc
	v_mov_b32_e32 v1, v49
	v_add_u32_e32 v18, s29, v0
	v_lshl_add_u64 v[28:29], v[48:49], 1, s[14:15]
	v_add_u32_e32 v48, s30, v0
	v_lshl_add_u64 v[22:23], v[0:1], 1, s[14:15]
	v_lshl_add_u64 v[26:27], v[18:19], 1, s[14:15]
	;; [unrolled: 1-line block ×3, first 2 shown]
	global_load_ushort v0, v[20:21], off
	global_load_ushort v19, v[22:23], off
	;; [unrolled: 1-line block ×6, first 2 shown]
	s_cbranch_execnz .LBB348_16
.LBB348_15:                             ;   in Loop: Header=BB348_7 Depth=1
	v_mov_b32_e32 v47, v49
	s_waitcnt vmcnt(5)
	v_mov_b32_e32 v0, 0
	v_mov_b32_e32 v8, v58
	s_waitcnt vmcnt(4)
	v_mov_b32_e32 v19, 0
	s_waitcnt vmcnt(3)
	;; [unrolled: 2-line block ×5, first 2 shown]
	v_mov_b32_e32 v11, 0
.LBB348_16:                             ;   in Loop: Header=BB348_7 Depth=1
	s_waitcnt lgkmcnt(5)
	v_add_f32_e32 v1, v16, v14
	v_mul_f32_e32 v1, s24, v1
	s_waitcnt vmcnt(5)
	v_fma_mixlo_f16 v14, s25, v1, v0 op_sel_hi:[0,0,1]
	v_lshl_add_u64 v[0:1], v[46:47], 1, s[18:19]
	v_cmp_gt_u32_e32 vcc, s7, v8
	global_store_short v[0:1], v14, off
	s_and_saveexec_b64 s[22:23], vcc
	s_cbranch_execz .LBB348_18
; %bb.17:                               ;   in Loop: Header=BB348_7 Depth=1
	s_waitcnt lgkmcnt(4)
	v_add_f32_e32 v12, v12, v13
	v_mul_f32_e32 v12, s24, v12
	s_waitcnt vmcnt(5)
	v_fma_mixlo_f16 v12, s25, v12, v19 op_sel_hi:[0,0,1]
	global_store_short v[0:1], v12, off offset:2
.LBB348_18:                             ;   in Loop: Header=BB348_7 Depth=1
	s_or_b64 exec, exec, s[22:23]
	s_waitcnt lgkmcnt(3)
	v_add_f32_e32 v0, v9, v10
	v_mul_f32_e32 v0, s24, v0
	v_add_u32_e32 v48, s7, v46
	s_waitcnt vmcnt(4)
	v_fma_mixlo_f16 v9, s25, v0, v18 op_sel_hi:[0,0,1]
	v_lshl_add_u64 v[0:1], v[48:49], 1, s[18:19]
	global_store_short v[0:1], v9, off
	s_and_saveexec_b64 s[22:23], vcc
	s_cbranch_execz .LBB348_20
; %bb.19:                               ;   in Loop: Header=BB348_7 Depth=1
	s_waitcnt lgkmcnt(2)
	v_add_f32_e32 v0, v6, v7
	v_mul_f32_e32 v0, s24, v0
	s_waitcnt vmcnt(4)
	v_fma_mixlo_f16 v6, s25, v0, v17 op_sel_hi:[0,0,1]
	v_add_u32_e32 v0, s7, v8
	v_mov_b32_e32 v1, v49
	v_lshl_add_u64 v[0:1], v[0:1], 1, s[18:19]
	global_store_short v[0:1], v6, off
.LBB348_20:                             ;   in Loop: Header=BB348_7 Depth=1
	s_or_b64 exec, exec, s[22:23]
	s_waitcnt lgkmcnt(1)
	v_add_f32_e32 v0, v4, v5
	v_mul_f32_e32 v0, s24, v0
	v_add_u32_e32 v48, s7, v48
	s_waitcnt vmcnt(3)
	v_fma_mixlo_f16 v4, s25, v0, v15 op_sel_hi:[0,0,1]
	v_lshl_add_u64 v[0:1], v[48:49], 1, s[18:19]
	global_store_short v[0:1], v4, off
	s_and_b64 exec, exec, vcc
	s_cbranch_execz .LBB348_6
; %bb.21:                               ;   in Loop: Header=BB348_7 Depth=1
	s_waitcnt lgkmcnt(0)
	v_add_f32_e32 v0, v2, v3
	v_mul_f32_e32 v0, s24, v0
	v_add_u32_e32 v48, s13, v8
	s_waitcnt vmcnt(3)
	v_fma_mixlo_f16 v2, s25, v0, v11 op_sel_hi:[0,0,1]
	v_lshl_add_u64 v[0:1], v[48:49], 1, s[18:19]
	global_store_short v[0:1], v2, off
	s_branch .LBB348_6
.LBB348_22:                             ;   in Loop: Header=BB348_7 Depth=1
                                        ; implicit-def: $vgpr11
                                        ; implicit-def: $vgpr15
                                        ; implicit-def: $vgpr17
                                        ; implicit-def: $vgpr18
                                        ; implicit-def: $vgpr19
                                        ; implicit-def: $vgpr0
                                        ; implicit-def: $vgpr8
	s_branch .LBB348_15
.LBB348_23:
	s_endpgm
	.section	.rodata,"a",@progbits
	.p2align	6, 0x0
	.amdhsa_kernel _Z17wvSplitKQ_hf_sml_I6__halfN3c1013Float8_e4m3fnELi64ELi2ELi16ELi16ELi1ELi3EEviiiiiiPKT0_S5_PKT_PS6_PKfSB_ii
		.amdhsa_group_segment_fixed_size 65536
		.amdhsa_private_segment_fixed_size 0
		.amdhsa_kernarg_size 80
		.amdhsa_user_sgpr_count 2
		.amdhsa_user_sgpr_dispatch_ptr 0
		.amdhsa_user_sgpr_queue_ptr 0
		.amdhsa_user_sgpr_kernarg_segment_ptr 1
		.amdhsa_user_sgpr_dispatch_id 0
		.amdhsa_user_sgpr_kernarg_preload_length 0
		.amdhsa_user_sgpr_kernarg_preload_offset 0
		.amdhsa_user_sgpr_private_segment_size 0
		.amdhsa_uses_dynamic_stack 0
		.amdhsa_enable_private_segment 0
		.amdhsa_system_sgpr_workgroup_id_x 1
		.amdhsa_system_sgpr_workgroup_id_y 0
		.amdhsa_system_sgpr_workgroup_id_z 0
		.amdhsa_system_sgpr_workgroup_info 0
		.amdhsa_system_vgpr_workitem_id 1
		.amdhsa_next_free_vgpr 59
		.amdhsa_next_free_sgpr 31
		.amdhsa_accum_offset 60
		.amdhsa_reserve_vcc 1
		.amdhsa_float_round_mode_32 0
		.amdhsa_float_round_mode_16_64 0
		.amdhsa_float_denorm_mode_32 3
		.amdhsa_float_denorm_mode_16_64 3
		.amdhsa_dx10_clamp 1
		.amdhsa_ieee_mode 1
		.amdhsa_fp16_overflow 0
		.amdhsa_tg_split 0
		.amdhsa_exception_fp_ieee_invalid_op 0
		.amdhsa_exception_fp_denorm_src 0
		.amdhsa_exception_fp_ieee_div_zero 0
		.amdhsa_exception_fp_ieee_overflow 0
		.amdhsa_exception_fp_ieee_underflow 0
		.amdhsa_exception_fp_ieee_inexact 0
		.amdhsa_exception_int_div_zero 0
	.end_amdhsa_kernel
	.section	.text._Z17wvSplitKQ_hf_sml_I6__halfN3c1013Float8_e4m3fnELi64ELi2ELi16ELi16ELi1ELi3EEviiiiiiPKT0_S5_PKT_PS6_PKfSB_ii,"axG",@progbits,_Z17wvSplitKQ_hf_sml_I6__halfN3c1013Float8_e4m3fnELi64ELi2ELi16ELi16ELi1ELi3EEviiiiiiPKT0_S5_PKT_PS6_PKfSB_ii,comdat
.Lfunc_end348:
	.size	_Z17wvSplitKQ_hf_sml_I6__halfN3c1013Float8_e4m3fnELi64ELi2ELi16ELi16ELi1ELi3EEviiiiiiPKT0_S5_PKT_PS6_PKfSB_ii, .Lfunc_end348-_Z17wvSplitKQ_hf_sml_I6__halfN3c1013Float8_e4m3fnELi64ELi2ELi16ELi16ELi1ELi3EEviiiiiiPKT0_S5_PKT_PS6_PKfSB_ii
                                        ; -- End function
	.section	.AMDGPU.csdata,"",@progbits
; Kernel info:
; codeLenInByte = 2144
; NumSgprs: 37
; NumVgprs: 59
; NumAgprs: 0
; TotalNumVgprs: 59
; ScratchSize: 0
; MemoryBound: 0
; FloatMode: 240
; IeeeMode: 1
; LDSByteSize: 65536 bytes/workgroup (compile time only)
; SGPRBlocks: 4
; VGPRBlocks: 7
; NumSGPRsForWavesPerEU: 37
; NumVGPRsForWavesPerEU: 59
; AccumOffset: 60
; Occupancy: 4
; WaveLimiterHint : 0
; COMPUTE_PGM_RSRC2:SCRATCH_EN: 0
; COMPUTE_PGM_RSRC2:USER_SGPR: 2
; COMPUTE_PGM_RSRC2:TRAP_HANDLER: 0
; COMPUTE_PGM_RSRC2:TGID_X_EN: 1
; COMPUTE_PGM_RSRC2:TGID_Y_EN: 0
; COMPUTE_PGM_RSRC2:TGID_Z_EN: 0
; COMPUTE_PGM_RSRC2:TIDIG_COMP_CNT: 1
; COMPUTE_PGM_RSRC3_GFX90A:ACCUM_OFFSET: 14
; COMPUTE_PGM_RSRC3_GFX90A:TG_SPLIT: 0
	.section	.text._Z13wvSplitKQ_hf_I6__halfN3c1013Float8_e4m3fnELi64ELi2ELi16ELi16ELi1ELi3EEviiiiiiPKT0_S5_PKT_PS6_PKfSB_ii,"axG",@progbits,_Z13wvSplitKQ_hf_I6__halfN3c1013Float8_e4m3fnELi64ELi2ELi16ELi16ELi1ELi3EEviiiiiiPKT0_S5_PKT_PS6_PKfSB_ii,comdat
	.protected	_Z13wvSplitKQ_hf_I6__halfN3c1013Float8_e4m3fnELi64ELi2ELi16ELi16ELi1ELi3EEviiiiiiPKT0_S5_PKT_PS6_PKfSB_ii ; -- Begin function _Z13wvSplitKQ_hf_I6__halfN3c1013Float8_e4m3fnELi64ELi2ELi16ELi16ELi1ELi3EEviiiiiiPKT0_S5_PKT_PS6_PKfSB_ii
	.globl	_Z13wvSplitKQ_hf_I6__halfN3c1013Float8_e4m3fnELi64ELi2ELi16ELi16ELi1ELi3EEviiiiiiPKT0_S5_PKT_PS6_PKfSB_ii
	.p2align	8
	.type	_Z13wvSplitKQ_hf_I6__halfN3c1013Float8_e4m3fnELi64ELi2ELi16ELi16ELi1ELi3EEviiiiiiPKT0_S5_PKT_PS6_PKfSB_ii,@function
_Z13wvSplitKQ_hf_I6__halfN3c1013Float8_e4m3fnELi64ELi2ELi16ELi16ELi1ELi3EEviiiiiiPKT0_S5_PKT_PS6_PKfSB_ii: ; @_Z13wvSplitKQ_hf_I6__halfN3c1013Float8_e4m3fnELi64ELi2ELi16ELi16ELi1ELi3EEviiiiiiPKT0_S5_PKT_PS6_PKfSB_ii
; %bb.0:
	s_load_dwordx4 s[4:7], s[0:1], 0x0
	s_load_dwordx2 s[16:17], s[0:1], 0x10
	s_load_dwordx4 s[12:15], s[0:1], 0x38
	s_load_dwordx4 s[8:11], s[0:1], 0x20
	v_and_b32_e32 v2, 0x3ff, v0
	v_bfe_u32 v3, v0, 10, 10
	v_lshlrev_b32_e32 v44, 4, v2
	s_waitcnt lgkmcnt(0)
	s_mul_i32 s3, s5, 3
	v_lshl_add_u32 v4, v3, 10, v44
	s_min_u32 s3, s3, 0x10000
	v_cmp_gt_u32_e32 vcc, s3, v4
	s_and_saveexec_b64 s[18:19], vcc
	s_cbranch_execz .LBB349_3
; %bb.1:
	v_mov_b32_e32 v1, 0
	v_lshlrev_b32_e32 v0, 10, v3
	v_mov_b32_e32 v45, v1
	v_lshl_add_u64 v[0:1], v[0:1], 0, v[44:45]
	v_lshl_add_u64 v[0:1], s[8:9], 0, v[0:1]
	s_mov_b64 s[20:21], 0
	s_mov_b64 s[22:23], 0x4000
.LBB349_2:                              ; =>This Inner Loop Header: Depth=1
	global_load_dwordx4 v[6:9], v[0:1], off
	v_lshl_add_u64 v[0:1], v[0:1], 0, s[22:23]
	s_waitcnt vmcnt(0)
	ds_write_b128 v4, v[6:9]
	v_add_u32_e32 v4, 0x4000, v4
	v_cmp_le_u32_e32 vcc, s3, v4
	s_or_b64 s[20:21], vcc, s[20:21]
	s_andn2_b64 exec, exec, s[20:21]
	s_cbranch_execnz .LBB349_2
.LBB349_3:
	s_or_b64 exec, exec, s[18:19]
	s_load_dwordx2 s[22:23], s[0:1], 0x48
	;;#ASMSTART
	s_waitcnt vmcnt(0)
	;;#ASMEND
	s_waitcnt lgkmcnt(0)
	s_barrier
	v_cmp_gt_u32_e32 vcc, s22, v3
	s_and_saveexec_b64 s[18:19], vcc
	s_cbranch_execz .LBB349_35
; %bb.4:
	s_mul_i32 s2, s2, s22
	v_add_lshl_u32 v46, s2, v3, 1
	v_cmp_gt_u32_e32 vcc, s7, v46
	s_and_b64 exec, exec, vcc
	s_cbranch_execz .LBB349_35
; %bb.5:
	v_mbcnt_lo_u32_b32 v0, -1, 0
	v_mbcnt_hi_u32_b32 v0, -1, v0
	s_cmp_lg_u32 s4, 0
	v_and_b32_e32 v1, 63, v0
	s_cselect_b64 s[2:3], -1, 0
	s_add_i32 s28, s4, -16
	s_add_i32 s29, s7, -1
	v_cmp_lt_u32_e32 vcc, 43, v1
	s_mul_i32 s22, s22, s23
	s_cmp_lg_u64 s[10:11], 0
	v_cndmask_b32_e64 v3, 20, 0, vcc
	v_cmp_lt_u32_e32 vcc, 23, v1
	s_load_dword s26, s[12:13], 0x0
	s_load_dword s27, s[14:15], 0x0
	s_load_dwordx2 s[18:19], s[0:1], 0x18
	s_load_dwordx2 s[20:21], s[0:1], 0x30
	v_cndmask_b32_e64 v1, 40, 0, vcc
	s_cselect_b64 s[14:15], -1, 0
	s_lshl_b32 s30, s22, 1
	s_abs_i32 s22, s17
	v_add_lshl_u32 v45, v3, v0, 2
	v_add_lshl_u32 v54, v1, v0, 2
	v_cvt_f32_u32_e32 v0, s16
	v_cvt_f32_u32_e32 v1, s22
	s_sub_i32 s23, 0, s16
	v_cmp_eq_u32_e64 s[0:1], 0, v2
	v_rcp_iflag_f32_e32 v0, v0
	v_rcp_iflag_f32_e32 v1, v1
	s_lshl_b32 s17, s7, 1
	s_mov_b64 s[12:13], 0
	v_mul_f32_e32 v0, 0x4f7ffffe, v0
	v_mul_f32_e32 v1, 0x4f7ffffe, v1
	v_cvt_u32_f32_e32 v0, v0
	v_cvt_u32_f32_e32 v1, v1
	v_mov_b32_e32 v49, 0
	v_lshl_add_u32 v56, s5, 1, v44
	v_mul_lo_u32 v2, s23, v0
	s_sub_i32 s23, 0, s22
	v_readfirstlane_b32 s24, v1
	s_mul_i32 s23, s23, s24
	s_mul_hi_u32 s23, s24, s23
	s_add_i32 s24, s24, s23
	s_sub_i32 s23, 1, s22
	s_cmp_lt_u32 s22, 2
	s_cselect_b32 s23, s23, 1
	s_sub_i32 s25, s23, s22
	s_cmp_ge_u32 s23, s22
	s_cselect_b32 s31, s25, s23
	s_lshr_b32 s23, s24, 31
	s_mul_i32 s23, s23, s22
	s_sub_i32 s23, 2, s23
	s_sub_i32 s24, s23, s22
	s_cmp_ge_u32 s23, s22
	s_cselect_b32 s23, s24, s23
	s_sub_i32 s24, s23, s22
	v_mul_hi_u32 v2, v0, v2
	s_cmp_ge_u32 s23, s22
	v_add_u32_e32 v55, v0, v2
	s_cselect_b32 s33, s24, s23
	v_cndmask_b32_e64 v0, 0, 1, s[2:3]
	s_mul_i32 s31, s31, s16
	s_mul_i32 s33, s33, s16
	v_add_u32_e32 v57, s5, v44
	v_cmp_ne_u32_e64 s[2:3], 1, v0
	s_mov_b32 s5, 0xffff
	s_branch .LBB349_7
.LBB349_6:                              ;   in Loop: Header=BB349_7 Depth=1
	s_or_b64 exec, exec, s[22:23]
	v_add_u32_e32 v46, s30, v46
	v_cmp_le_u32_e32 vcc, s7, v46
	s_or_b64 s[12:13], vcc, s[12:13]
	s_andn2_b64 exec, exec, s[12:13]
	s_cbranch_execz .LBB349_35
.LBB349_7:                              ; =>This Loop Header: Depth=1
                                        ;     Child Loop BB349_11 Depth 2
	s_and_b64 vcc, exec, s[2:3]
	v_or_b32_e32 v58, 1, v46
	v_mov_b32_e32 v23, v49
	v_mov_b32_e32 v22, v49
	;; [unrolled: 1-line block ×9, first 2 shown]
	s_waitcnt lgkmcnt(0)
	v_mov_b32_e32 v14, v49
	v_mov_b32_e32 v13, v49
	;; [unrolled: 1-line block ×3, first 2 shown]
	s_waitcnt vmcnt(3)
	v_mov_b32_e32 v11, v49
	v_mov_b32_e32 v10, v49
	;; [unrolled: 1-line block ×12, first 2 shown]
	s_cbranch_vccnz .LBB349_24
; %bb.8:                                ;   in Loop: Header=BB349_7 Depth=1
	v_min_u32_e32 v0, s29, v46
	v_mul_lo_u32 v50, v0, s6
	v_or_b32_e32 v0, 1, v46
	v_min_u32_e32 v0, s29, v0
	v_mov_b32_e32 v4, 0
	v_mov_b32_e32 v51, v49
	v_mul_lo_u32 v52, v0, s6
	v_mov_b32_e32 v53, v49
	s_mov_b32 s34, 0
	v_mov_b32_e32 v5, v4
	v_mov_b32_e32 v6, v4
	;; [unrolled: 1-line block ×23, first 2 shown]
	s_branch .LBB349_11
.LBB349_9:                              ;   in Loop: Header=BB349_11 Depth=2
	s_or_b64 exec, exec, s[24:25]
.LBB349_10:                             ;   in Loop: Header=BB349_11 Depth=2
	s_or_b64 exec, exec, s[22:23]
	s_waitcnt vmcnt(0) lgkmcnt(0)
	v_mfma_f32_16x16x32_fp8_fp8 v[20:23], v[32:33], v[28:29], v[20:23]
	s_addk_i32 s34, 0x400
	s_cmp_ge_u32 s34, s4
	v_mfma_f32_16x16x32_fp8_fp8 v[16:19], v[32:33], v[24:25], v[16:19]
	v_mfma_f32_16x16x32_fp8_fp8 v[12:15], v[36:37], v[28:29], v[12:15]
	;; [unrolled: 1-line block ×11, first 2 shown]
	s_cbranch_scc1 .LBB349_24
.LBB349_11:                             ;   Parent Loop BB349_7 Depth=1
                                        ; =>  This Inner Loop Header: Depth=2
	v_add_u32_e32 v47, s34, v44
	v_min_u32_e32 v48, s28, v47
	s_waitcnt lgkmcnt(0)
	v_lshl_add_u64 v[24:25], s[18:19], 0, v[48:49]
	v_lshl_add_u64 v[32:33], v[24:25], 0, v[50:51]
	;; [unrolled: 1-line block ×3, first 2 shown]
	global_load_dwordx4 v[28:31], v[32:33], off nt
	global_load_dwordx4 v[24:27], v[34:35], off nt
	v_mov_b64_e32 v[42:43], 0
	v_cmp_gt_u32_e32 vcc, s4, v47
	v_mov_b64_e32 v[40:41], v[42:43]
	v_mov_b64_e32 v[38:39], v[42:43]
	;; [unrolled: 1-line block ×5, first 2 shown]
	s_and_saveexec_b64 s[22:23], vcc
	s_cbranch_execz .LBB349_10
; %bb.12:                               ;   in Loop: Header=BB349_11 Depth=2
	v_cmp_lt_u32_e32 vcc, s5, v47
                                        ; implicit-def: $vgpr34_vgpr35
	s_and_saveexec_b64 s[24:25], vcc
	s_xor_b64 s[24:25], exec, s[24:25]
	s_cbranch_execz .LBB349_14
; %bb.13:                               ;   in Loop: Header=BB349_11 Depth=2
	global_load_dwordx4 v[32:35], v47, s[8:9]
                                        ; implicit-def: $vgpr47
.LBB349_14:                             ;   in Loop: Header=BB349_11 Depth=2
	s_andn2_saveexec_b64 s[24:25], s[24:25]
	s_cbranch_execz .LBB349_16
; %bb.15:                               ;   in Loop: Header=BB349_11 Depth=2
	s_waitcnt vmcnt(0)
	ds_read_b128 v[32:35], v47
.LBB349_16:                             ;   in Loop: Header=BB349_11 Depth=2
	s_or_b64 exec, exec, s[24:25]
	v_add_u32_e32 v40, s34, v57
	v_cmp_lt_u32_e32 vcc, s5, v40
                                        ; implicit-def: $vgpr38_vgpr39
	s_and_saveexec_b64 s[24:25], vcc
	s_xor_b64 s[24:25], exec, s[24:25]
	s_cbranch_execz .LBB349_18
; %bb.17:                               ;   in Loop: Header=BB349_11 Depth=2
	global_load_dwordx4 v[36:39], v40, s[8:9]
                                        ; implicit-def: $vgpr40
.LBB349_18:                             ;   in Loop: Header=BB349_11 Depth=2
	s_andn2_saveexec_b64 s[24:25], s[24:25]
	s_cbranch_execz .LBB349_20
; %bb.19:                               ;   in Loop: Header=BB349_11 Depth=2
	s_waitcnt vmcnt(0)
	ds_read_b128 v[36:39], v40
.LBB349_20:                             ;   in Loop: Header=BB349_11 Depth=2
	s_or_b64 exec, exec, s[24:25]
	v_add_u32_e32 v47, s34, v56
	v_cmp_lt_u32_e32 vcc, s5, v47
                                        ; implicit-def: $vgpr42_vgpr43
	s_and_saveexec_b64 s[24:25], vcc
	s_xor_b64 s[24:25], exec, s[24:25]
	s_cbranch_execz .LBB349_22
; %bb.21:                               ;   in Loop: Header=BB349_11 Depth=2
	global_load_dwordx4 v[40:43], v47, s[8:9]
                                        ; implicit-def: $vgpr47
.LBB349_22:                             ;   in Loop: Header=BB349_11 Depth=2
	s_andn2_saveexec_b64 s[24:25], s[24:25]
	s_cbranch_execz .LBB349_9
; %bb.23:                               ;   in Loop: Header=BB349_11 Depth=2
	s_waitcnt vmcnt(0)
	ds_read_b128 v[40:43], v47
	s_branch .LBB349_9
.LBB349_24:                             ;   in Loop: Header=BB349_7 Depth=1
	s_nop 0
	v_cvt_i32_f32_e32 v21, v21
	v_cvt_i32_f32_e32 v22, v22
	;; [unrolled: 1-line block ×5, first 2 shown]
	v_cvt_f32_i32_dpp v21, v21 row_shl:1 row_mask:0xf bank_mask:0xf bound_ctrl:1
	v_cvt_i32_f32_e32 v13, v13
	v_cvt_f32_i32_dpp v22, v22 row_shl:2 row_mask:0xf bank_mask:0xf bound_ctrl:1
	v_cvt_f32_i32_dpp v17, v17 row_shl:1 row_mask:0xf bank_mask:0xf bound_ctrl:1
	v_cvt_i32_f32_e32 v14, v14
	v_cvt_f32_i32_dpp v23, v23 row_shl:3 row_mask:0xf bank_mask:0xf bound_ctrl:1
	v_cvt_f32_i32_dpp v18, v18 row_shl:2 row_mask:0xf bank_mask:0xf bound_ctrl:1
	v_cvt_i32_f32_e32 v19, v19
	v_cvt_i32_f32_e32 v15, v15
	v_add_f32_e32 v20, v20, v21
	v_cvt_f32_i32_dpp v13, v13 row_shl:1 row_mask:0xf bank_mask:0xf bound_ctrl:1
	v_add_f32_e32 v20, v20, v22
	v_add_f32_e32 v17, v16, v17
	v_cvt_f32_i32_dpp v14, v14 row_shl:2 row_mask:0xf bank_mask:0xf bound_ctrl:1
	v_add_f32_e32 v20, v20, v23
	v_add_f32_e32 v17, v17, v18
	v_cvt_f32_i32_dpp v18, v19 row_shl:3 row_mask:0xf bank_mask:0xf bound_ctrl:1
	v_cvt_f32_i32_dpp v15, v15 row_shl:3 row_mask:0xf bank_mask:0xf bound_ctrl:1
	v_cvt_i32_f32_e32 v1, v1
	ds_bpermute_b32 v21, v45, v20
	v_cvt_i32_f32_e32 v2, v2
	v_add_f32_e32 v12, v12, v13
	v_add_f32_e32 v12, v12, v14
	;; [unrolled: 1-line block ×4, first 2 shown]
	v_cvt_f32_i32_dpp v1, v1 row_shl:1 row_mask:0xf bank_mask:0xf bound_ctrl:1
	ds_bpermute_b32 v18, v45, v17
	ds_bpermute_b32 v19, v45, v15
	v_cvt_f32_i32_dpp v2, v2 row_shl:2 row_mask:0xf bank_mask:0xf bound_ctrl:1
	v_cvt_i32_f32_e32 v3, v3
	s_waitcnt lgkmcnt(0)
	v_add_f32_e32 v16, v20, v21
	v_cvt_i32_f32_e32 v20, v9
	v_add_f32_e32 v0, v0, v1
	v_add_f32_e32 v0, v0, v2
	v_cvt_f32_i32_dpp v1, v3 row_shl:3 row_mask:0xf bank_mask:0xf bound_ctrl:1
	v_cvt_i32_f32_e32 v2, v5
	v_add_f32_e32 v12, v17, v18
	v_add_f32_e32 v9, v15, v19
	v_cvt_f32_i32_dpp v15, v20 row_shl:1 row_mask:0xf bank_mask:0xf bound_ctrl:1
	v_cvt_i32_f32_e32 v17, v10
	v_cvt_i32_f32_e32 v3, v6
	;; [unrolled: 1-line block ×4, first 2 shown]
	v_add_f32_e32 v0, v0, v1
	v_cvt_f32_i32_dpp v1, v2 row_shl:1 row_mask:0xf bank_mask:0xf bound_ctrl:1
	v_add_f32_e32 v8, v8, v15
	v_cvt_f32_i32_dpp v15, v17 row_shl:2 row_mask:0xf bank_mask:0xf bound_ctrl:1
	v_cvt_f32_i32_dpp v2, v3 row_shl:2 row_mask:0xf bank_mask:0xf bound_ctrl:1
	;; [unrolled: 1-line block ×4, first 2 shown]
	v_add_f32_e32 v1, v4, v1
	v_add_f32_e32 v8, v8, v15
	;; [unrolled: 1-line block ×5, first 2 shown]
	ds_bpermute_b32 v11, v45, v8
	ds_bpermute_b32 v5, v45, v0
	ds_bpermute_b32 v2, v45, v1
	ds_bpermute_b32 v14, v54, v16
	ds_bpermute_b32 v13, v54, v12
	s_waitcnt lgkmcnt(4)
	v_add_f32_e32 v6, v8, v11
	s_waitcnt lgkmcnt(3)
	v_add_f32_e32 v4, v0, v5
	;; [unrolled: 2-line block ×3, first 2 shown]
	ds_bpermute_b32 v10, v54, v9
	ds_bpermute_b32 v7, v54, v6
	ds_bpermute_b32 v5, v54, v4
	ds_bpermute_b32 v3, v54, v2
	s_and_saveexec_b64 s[22:23], s[0:1]
	s_cbranch_execz .LBB349_6
; %bb.25:                               ;   in Loop: Header=BB349_7 Depth=1
	s_and_b64 vcc, exec, s[14:15]
	s_cbranch_vccz .LBB349_34
; %bb.26:                               ;   in Loop: Header=BB349_7 Depth=1
	v_mul_hi_u32 v0, v46, v55
	v_mul_lo_u32 v0, v0, s16
	v_sub_u32_e32 v0, v46, v0
	v_subrev_u32_e32 v1, s16, v0
	v_cmp_le_u32_e32 vcc, s16, v0
	v_or_b32_e32 v8, 1, v46
	v_mov_b32_e32 v19, v49
	v_cndmask_b32_e32 v0, v0, v1, vcc
	v_subrev_u32_e32 v1, s16, v0
	v_cmp_le_u32_e32 vcc, s16, v0
	v_mov_b32_e32 v47, v49
	s_nop 0
	v_cndmask_b32_e32 v48, v0, v1, vcc
	v_mul_hi_u32 v0, v8, v55
	v_mul_lo_u32 v0, v0, s16
	v_sub_u32_e32 v0, v8, v0
	v_subrev_u32_e32 v1, s16, v0
	v_cmp_le_u32_e32 vcc, s16, v0
	v_lshl_add_u64 v[20:21], v[48:49], 1, s[10:11]
	v_add_u32_e32 v18, s31, v48
	v_cndmask_b32_e32 v0, v0, v1, vcc
	v_subrev_u32_e32 v1, s16, v0
	v_cmp_le_u32_e32 vcc, s16, v0
	v_add_u32_e32 v48, s33, v48
	v_lshl_add_u64 v[24:25], v[18:19], 1, s[10:11]
	v_cndmask_b32_e32 v0, v0, v1, vcc
	v_mov_b32_e32 v1, v49
	v_add_u32_e32 v18, s31, v0
	v_lshl_add_u64 v[28:29], v[48:49], 1, s[10:11]
	v_add_u32_e32 v48, s33, v0
	v_lshl_add_u64 v[22:23], v[0:1], 1, s[10:11]
	v_lshl_add_u64 v[26:27], v[18:19], 1, s[10:11]
	v_lshl_add_u64 v[30:31], v[48:49], 1, s[10:11]
	global_load_ushort v0, v[20:21], off
	global_load_ushort v19, v[22:23], off
	;; [unrolled: 1-line block ×6, first 2 shown]
	s_cbranch_execnz .LBB349_28
.LBB349_27:                             ;   in Loop: Header=BB349_7 Depth=1
	v_mov_b32_e32 v47, v49
	s_waitcnt vmcnt(5)
	v_mov_b32_e32 v0, 0
	v_mov_b32_e32 v8, v58
	s_waitcnt vmcnt(4)
	v_mov_b32_e32 v19, 0
	s_waitcnt vmcnt(3)
	v_mov_b32_e32 v18, 0
	s_waitcnt vmcnt(2)
	v_mov_b32_e32 v17, 0
	s_waitcnt vmcnt(1)
	v_mov_b32_e32 v15, 0
	s_waitcnt vmcnt(0)
	v_mov_b32_e32 v11, 0
.LBB349_28:                             ;   in Loop: Header=BB349_7 Depth=1
	s_waitcnt lgkmcnt(5)
	v_add_f32_e32 v1, v16, v14
	v_mul_f32_e32 v1, s26, v1
	s_waitcnt vmcnt(5)
	v_fma_mixlo_f16 v14, s27, v1, v0 op_sel_hi:[0,0,1]
	v_lshl_add_u64 v[0:1], v[46:47], 1, s[20:21]
	v_cmp_gt_u32_e32 vcc, s7, v8
	global_store_short v[0:1], v14, off
	s_and_saveexec_b64 s[24:25], vcc
	s_cbranch_execz .LBB349_30
; %bb.29:                               ;   in Loop: Header=BB349_7 Depth=1
	s_waitcnt lgkmcnt(4)
	v_add_f32_e32 v12, v12, v13
	v_mul_f32_e32 v12, s26, v12
	s_waitcnt vmcnt(5)
	v_fma_mixlo_f16 v12, s27, v12, v19 op_sel_hi:[0,0,1]
	global_store_short v[0:1], v12, off offset:2
.LBB349_30:                             ;   in Loop: Header=BB349_7 Depth=1
	s_or_b64 exec, exec, s[24:25]
	s_waitcnt lgkmcnt(3)
	v_add_f32_e32 v0, v9, v10
	v_mul_f32_e32 v0, s26, v0
	v_add_u32_e32 v48, s7, v46
	s_waitcnt vmcnt(4)
	v_fma_mixlo_f16 v9, s27, v0, v18 op_sel_hi:[0,0,1]
	v_lshl_add_u64 v[0:1], v[48:49], 1, s[20:21]
	global_store_short v[0:1], v9, off
	s_and_saveexec_b64 s[24:25], vcc
	s_cbranch_execz .LBB349_32
; %bb.31:                               ;   in Loop: Header=BB349_7 Depth=1
	s_waitcnt lgkmcnt(2)
	v_add_f32_e32 v0, v6, v7
	v_mul_f32_e32 v0, s26, v0
	s_waitcnt vmcnt(4)
	v_fma_mixlo_f16 v6, s27, v0, v17 op_sel_hi:[0,0,1]
	v_add_u32_e32 v0, s7, v8
	v_mov_b32_e32 v1, v49
	v_lshl_add_u64 v[0:1], v[0:1], 1, s[20:21]
	global_store_short v[0:1], v6, off
.LBB349_32:                             ;   in Loop: Header=BB349_7 Depth=1
	s_or_b64 exec, exec, s[24:25]
	s_waitcnt lgkmcnt(1)
	v_add_f32_e32 v0, v4, v5
	v_mul_f32_e32 v0, s26, v0
	v_add_u32_e32 v48, s7, v48
	s_waitcnt vmcnt(3)
	v_fma_mixlo_f16 v4, s27, v0, v15 op_sel_hi:[0,0,1]
	v_lshl_add_u64 v[0:1], v[48:49], 1, s[20:21]
	global_store_short v[0:1], v4, off
	s_and_b64 exec, exec, vcc
	s_cbranch_execz .LBB349_6
; %bb.33:                               ;   in Loop: Header=BB349_7 Depth=1
	s_waitcnt lgkmcnt(0)
	v_add_f32_e32 v0, v2, v3
	v_mul_f32_e32 v0, s26, v0
	v_add_u32_e32 v48, s17, v8
	s_waitcnt vmcnt(3)
	v_fma_mixlo_f16 v2, s27, v0, v11 op_sel_hi:[0,0,1]
	v_lshl_add_u64 v[0:1], v[48:49], 1, s[20:21]
	global_store_short v[0:1], v2, off
	s_branch .LBB349_6
.LBB349_34:                             ;   in Loop: Header=BB349_7 Depth=1
                                        ; implicit-def: $vgpr11
                                        ; implicit-def: $vgpr15
                                        ; implicit-def: $vgpr17
                                        ; implicit-def: $vgpr18
                                        ; implicit-def: $vgpr19
                                        ; implicit-def: $vgpr0
                                        ; implicit-def: $vgpr8
	s_branch .LBB349_27
.LBB349_35:
	s_endpgm
	.section	.rodata,"a",@progbits
	.p2align	6, 0x0
	.amdhsa_kernel _Z13wvSplitKQ_hf_I6__halfN3c1013Float8_e4m3fnELi64ELi2ELi16ELi16ELi1ELi3EEviiiiiiPKT0_S5_PKT_PS6_PKfSB_ii
		.amdhsa_group_segment_fixed_size 65536
		.amdhsa_private_segment_fixed_size 0
		.amdhsa_kernarg_size 80
		.amdhsa_user_sgpr_count 2
		.amdhsa_user_sgpr_dispatch_ptr 0
		.amdhsa_user_sgpr_queue_ptr 0
		.amdhsa_user_sgpr_kernarg_segment_ptr 1
		.amdhsa_user_sgpr_dispatch_id 0
		.amdhsa_user_sgpr_kernarg_preload_length 0
		.amdhsa_user_sgpr_kernarg_preload_offset 0
		.amdhsa_user_sgpr_private_segment_size 0
		.amdhsa_uses_dynamic_stack 0
		.amdhsa_enable_private_segment 0
		.amdhsa_system_sgpr_workgroup_id_x 1
		.amdhsa_system_sgpr_workgroup_id_y 0
		.amdhsa_system_sgpr_workgroup_id_z 0
		.amdhsa_system_sgpr_workgroup_info 0
		.amdhsa_system_vgpr_workitem_id 1
		.amdhsa_next_free_vgpr 59
		.amdhsa_next_free_sgpr 35
		.amdhsa_accum_offset 60
		.amdhsa_reserve_vcc 1
		.amdhsa_float_round_mode_32 0
		.amdhsa_float_round_mode_16_64 0
		.amdhsa_float_denorm_mode_32 3
		.amdhsa_float_denorm_mode_16_64 3
		.amdhsa_dx10_clamp 1
		.amdhsa_ieee_mode 1
		.amdhsa_fp16_overflow 0
		.amdhsa_tg_split 0
		.amdhsa_exception_fp_ieee_invalid_op 0
		.amdhsa_exception_fp_denorm_src 0
		.amdhsa_exception_fp_ieee_div_zero 0
		.amdhsa_exception_fp_ieee_overflow 0
		.amdhsa_exception_fp_ieee_underflow 0
		.amdhsa_exception_fp_ieee_inexact 0
		.amdhsa_exception_int_div_zero 0
	.end_amdhsa_kernel
	.section	.text._Z13wvSplitKQ_hf_I6__halfN3c1013Float8_e4m3fnELi64ELi2ELi16ELi16ELi1ELi3EEviiiiiiPKT0_S5_PKT_PS6_PKfSB_ii,"axG",@progbits,_Z13wvSplitKQ_hf_I6__halfN3c1013Float8_e4m3fnELi64ELi2ELi16ELi16ELi1ELi3EEviiiiiiPKT0_S5_PKT_PS6_PKfSB_ii,comdat
.Lfunc_end349:
	.size	_Z13wvSplitKQ_hf_I6__halfN3c1013Float8_e4m3fnELi64ELi2ELi16ELi16ELi1ELi3EEviiiiiiPKT0_S5_PKT_PS6_PKfSB_ii, .Lfunc_end349-_Z13wvSplitKQ_hf_I6__halfN3c1013Float8_e4m3fnELi64ELi2ELi16ELi16ELi1ELi3EEviiiiiiPKT0_S5_PKT_PS6_PKfSB_ii
                                        ; -- End function
	.section	.AMDGPU.csdata,"",@progbits
; Kernel info:
; codeLenInByte = 2248
; NumSgprs: 41
; NumVgprs: 59
; NumAgprs: 0
; TotalNumVgprs: 59
; ScratchSize: 0
; MemoryBound: 1
; FloatMode: 240
; IeeeMode: 1
; LDSByteSize: 65536 bytes/workgroup (compile time only)
; SGPRBlocks: 5
; VGPRBlocks: 7
; NumSGPRsForWavesPerEU: 41
; NumVGPRsForWavesPerEU: 59
; AccumOffset: 60
; Occupancy: 4
; WaveLimiterHint : 0
; COMPUTE_PGM_RSRC2:SCRATCH_EN: 0
; COMPUTE_PGM_RSRC2:USER_SGPR: 2
; COMPUTE_PGM_RSRC2:TRAP_HANDLER: 0
; COMPUTE_PGM_RSRC2:TGID_X_EN: 1
; COMPUTE_PGM_RSRC2:TGID_Y_EN: 0
; COMPUTE_PGM_RSRC2:TGID_Z_EN: 0
; COMPUTE_PGM_RSRC2:TIDIG_COMP_CNT: 1
; COMPUTE_PGM_RSRC3_GFX90A:ACCUM_OFFSET: 14
; COMPUTE_PGM_RSRC3_GFX90A:TG_SPLIT: 0
	.section	.text._Z17wvSplitKQ_hf_sml_I6__halfN3c1013Float8_e4m3fnELi32ELi2ELi16ELi16ELi1ELi4EEviiiiiiPKT0_S5_PKT_PS6_PKfSB_ii,"axG",@progbits,_Z17wvSplitKQ_hf_sml_I6__halfN3c1013Float8_e4m3fnELi32ELi2ELi16ELi16ELi1ELi4EEviiiiiiPKT0_S5_PKT_PS6_PKfSB_ii,comdat
	.protected	_Z17wvSplitKQ_hf_sml_I6__halfN3c1013Float8_e4m3fnELi32ELi2ELi16ELi16ELi1ELi4EEviiiiiiPKT0_S5_PKT_PS6_PKfSB_ii ; -- Begin function _Z17wvSplitKQ_hf_sml_I6__halfN3c1013Float8_e4m3fnELi32ELi2ELi16ELi16ELi1ELi4EEviiiiiiPKT0_S5_PKT_PS6_PKfSB_ii
	.globl	_Z17wvSplitKQ_hf_sml_I6__halfN3c1013Float8_e4m3fnELi32ELi2ELi16ELi16ELi1ELi4EEviiiiiiPKT0_S5_PKT_PS6_PKfSB_ii
	.p2align	8
	.type	_Z17wvSplitKQ_hf_sml_I6__halfN3c1013Float8_e4m3fnELi32ELi2ELi16ELi16ELi1ELi4EEviiiiiiPKT0_S5_PKT_PS6_PKfSB_ii,@function
_Z17wvSplitKQ_hf_sml_I6__halfN3c1013Float8_e4m3fnELi32ELi2ELi16ELi16ELi1ELi4EEviiiiiiPKT0_S5_PKT_PS6_PKfSB_ii: ; @_Z17wvSplitKQ_hf_sml_I6__halfN3c1013Float8_e4m3fnELi32ELi2ELi16ELi16ELi1ELi4EEviiiiiiPKT0_S5_PKT_PS6_PKfSB_ii
; %bb.0:
	s_load_dwordx4 s[12:15], s[0:1], 0x0
	v_and_b32_e32 v4, 0x3ff, v0
	v_bfe_u32 v5, v0, 10, 10
	v_lshlrev_b32_e32 v56, 4, v4
	v_lshl_add_u32 v0, v5, 9, v56
	s_waitcnt lgkmcnt(0)
	s_lshl_b32 s3, s13, 2
	s_min_u32 s3, s3, 0x10000
	v_cmp_gt_u32_e32 vcc, s3, v0
	s_and_saveexec_b64 s[4:5], vcc
	s_cbranch_execz .LBB350_9
; %bb.1:
	s_load_dwordx2 s[6:7], s[0:1], 0x20
	v_add_u32_e32 v1, 0x2000, v0
	v_cmp_gt_u32_e32 vcc, s3, v1
	s_waitcnt lgkmcnt(0)
	global_load_dwordx4 v[6:9], v0, s[6:7]
	s_waitcnt vmcnt(0)
	ds_write_b128 v0, v[6:9]
	s_and_saveexec_b64 s[8:9], vcc
	s_xor_b64 s[8:9], exec, s[8:9]
	s_cbranch_execz .LBB350_9
; %bb.2:
	v_mov_b32_e32 v1, 0
	v_lshl_add_u64 v[2:3], s[6:7], 0, v[0:1]
	v_add_co_u32_e32 v6, vcc, 0x2000, v2
	v_add_u32_e32 v1, 0x4000, v0
	s_nop 0
	v_addc_co_u32_e32 v7, vcc, 0, v3, vcc
	global_load_dwordx4 v[6:9], v[6:7], off
	v_cmp_gt_u32_e32 vcc, s3, v1
	s_waitcnt vmcnt(0)
	ds_write_b128 v0, v[6:9] offset:8192
	s_and_saveexec_b64 s[6:7], vcc
	s_xor_b64 s[6:7], exec, s[6:7]
	s_cbranch_execz .LBB350_9
; %bb.3:
	v_add_co_u32_e32 v6, vcc, 0x4000, v2
	v_add_u32_e32 v1, 0x6000, v0
	s_nop 0
	v_addc_co_u32_e32 v7, vcc, 0, v3, vcc
	global_load_dwordx4 v[6:9], v[6:7], off
	v_cmp_gt_u32_e32 vcc, s3, v1
	s_waitcnt vmcnt(0)
	ds_write_b128 v0, v[6:9] offset:16384
	s_and_saveexec_b64 s[6:7], vcc
	s_xor_b64 s[6:7], exec, s[6:7]
	s_cbranch_execz .LBB350_9
; %bb.4:
	;; [unrolled: 12-line block ×6, first 2 shown]
	v_add_co_u32_e32 v2, vcc, 0xe000, v2
	s_nop 1
	v_addc_co_u32_e32 v3, vcc, 0, v3, vcc
	global_load_dwordx4 v[6:9], v[2:3], off
	s_waitcnt vmcnt(0)
	ds_write_b128 v0, v[6:9] offset:57344
.LBB350_9:
	s_or_b64 exec, exec, s[4:5]
	s_load_dwordx2 s[20:21], s[0:1], 0x48
	;;#ASMSTART
	s_waitcnt vmcnt(0)
	;;#ASMEND
	s_waitcnt lgkmcnt(0)
	s_barrier
	v_cmp_gt_u32_e32 vcc, s20, v5
	s_and_saveexec_b64 s[4:5], vcc
	s_cbranch_execz .LBB350_31
; %bb.10:
	s_load_dwordx2 s[16:17], s[0:1], 0x10
	s_mul_i32 s2, s2, s20
	v_add_lshl_u32 v58, s2, v5, 1
	v_cmp_gt_u32_e32 vcc, s15, v58
	s_and_b64 exec, exec, vcc
	s_cbranch_execz .LBB350_31
; %bb.11:
	s_load_dwordx8 s[4:11], s[0:1], 0x28
	s_load_dwordx2 s[18:19], s[0:1], 0x18
	v_mbcnt_lo_u32_b32 v0, -1, 0
	v_mbcnt_hi_u32_b32 v0, -1, v0
	s_cmp_lg_u32 s12, 0
	v_and_b32_e32 v1, 63, v0
	s_cselect_b64 s[2:3], -1, 0
	s_add_i32 s26, s12, -16
	s_add_i32 s27, s15, -1
	v_cmp_lt_u32_e32 vcc, 43, v1
	s_mul_i32 s20, s20, s21
	s_waitcnt lgkmcnt(0)
	s_cmp_lg_u64 s[4:5], 0
	v_cndmask_b32_e64 v2, 20, 0, vcc
	v_cmp_lt_u32_e32 vcc, 23, v1
	s_load_dword s24, s[8:9], 0x0
	s_load_dword s25, s[10:11], 0x0
	v_cndmask_b32_e64 v1, 40, 0, vcc
	s_cselect_b64 s[10:11], -1, 0
	s_lshl_b32 s28, s20, 1
	s_abs_i32 s20, s17
	v_add_lshl_u32 v57, v2, v0, 2
	v_add_lshl_u32 v68, v1, v0, 2
	v_cvt_f32_u32_e32 v0, s16
	v_cvt_f32_u32_e32 v1, s20
	s_sub_i32 s21, 0, s16
	s_lshl_b32 s29, s15, 1
	v_rcp_iflag_f32_e32 v0, v0
	v_rcp_iflag_f32_e32 v1, v1
	v_cmp_eq_u32_e64 s[0:1], 0, v4
	s_mov_b64 s[8:9], 0
	v_mul_f32_e32 v0, 0x4f7ffffe, v0
	v_mul_f32_e32 v1, 0x4f7ffffe, v1
	v_cvt_u32_f32_e32 v0, v0
	v_cvt_u32_f32_e32 v1, v1
	s_mul_i32 s17, s15, 3
	v_mov_b32_e32 v61, 0
	v_mul_lo_u32 v2, s21, v0
	s_sub_i32 s21, 0, s20
	v_readfirstlane_b32 s22, v1
	s_mul_i32 s21, s21, s22
	s_mul_hi_u32 s21, s22, s21
	s_add_i32 s22, s22, s21
	s_sub_i32 s21, 1, s20
	s_cmp_lt_u32 s20, 2
	s_cselect_b32 s21, s21, 1
	s_sub_i32 s23, s21, s20
	s_cmp_ge_u32 s21, s20
	s_cselect_b32 s30, s23, s21
	s_lshr_b32 s21, s22, 31
	s_mul_i32 s21, s21, s20
	s_sub_i32 s21, 2, s21
	s_sub_i32 s23, s21, s20
	s_cmp_ge_u32 s21, s20
	s_cselect_b32 s21, s23, s21
	s_sub_i32 s23, s21, s20
	s_cmp_ge_u32 s21, s20
	s_cselect_b32 s31, s23, s21
	s_mul_hi_u32 s21, s22, 3
	s_mul_i32 s21, s21, s20
	s_sub_i32 s21, 3, s21
	s_sub_i32 s22, s21, s20
	s_cmp_ge_u32 s21, s20
	s_cselect_b32 s21, s22, s21
	s_sub_i32 s22, s21, s20
	v_mul_hi_u32 v2, v0, v2
	s_cmp_ge_u32 s21, s20
	v_add_u32_e32 v69, v0, v2
	s_cselect_b32 s33, s22, s21
	v_mad_u64_u32 v[62:63], s[20:21], s13, 3, v[56:57]
	v_cndmask_b32_e64 v0, 0, 1, s[2:3]
	s_mul_i32 s30, s30, s16
	s_mul_i32 s31, s31, s16
	;; [unrolled: 1-line block ×3, first 2 shown]
	v_lshl_add_u32 v63, s13, 1, v56
	v_add_u32_e32 v70, s13, v56
	v_cmp_ne_u32_e64 s[2:3], 1, v0
	s_branch .LBB350_13
.LBB350_12:                             ;   in Loop: Header=BB350_13 Depth=1
	s_or_b64 exec, exec, s[20:21]
	v_add_u32_e32 v58, s28, v58
	v_cmp_le_u32_e32 vcc, s15, v58
	s_or_b64 s[8:9], vcc, s[8:9]
	s_andn2_b64 exec, exec, s[8:9]
	s_cbranch_execz .LBB350_31
.LBB350_13:                             ; =>This Loop Header: Depth=1
                                        ;     Child Loop BB350_16 Depth 2
	s_and_b64 vcc, exec, s[2:3]
	v_or_b32_e32 v71, 1, v58
	v_mov_b32_e32 v31, v61
	v_mov_b32_e32 v30, v61
	;; [unrolled: 1-line block ×9, first 2 shown]
	s_waitcnt lgkmcnt(0)
	v_mov_b32_e32 v22, v61
	v_mov_b32_e32 v21, v61
	;; [unrolled: 1-line block ×11, first 2 shown]
	s_waitcnt vmcnt(4)
	v_mov_b32_e32 v11, v61
	v_mov_b32_e32 v10, v61
	;; [unrolled: 1-line block ×12, first 2 shown]
	s_cbranch_vccnz .LBB350_18
; %bb.14:                               ;   in Loop: Header=BB350_13 Depth=1
	v_min_u32_e32 v0, s27, v58
	v_mul_lo_u32 v64, v0, s14
	v_or_b32_e32 v0, 1, v58
	v_min_u32_e32 v0, s27, v0
	v_mov_b32_e32 v4, 0
	v_mov_b32_e32 v65, v61
	v_mul_lo_u32 v66, v0, s14
	v_mov_b32_e32 v67, v61
	s_mov_b32 s13, 0
	v_mov_b32_e32 v5, v4
	v_mov_b32_e32 v6, v4
	v_mov_b32_e32 v7, v4
	v_mov_b32_e32 v0, v4
	v_mov_b32_e32 v1, v4
	v_mov_b32_e32 v2, v4
	v_mov_b32_e32 v3, v4
	v_mov_b32_e32 v8, v4
	v_mov_b32_e32 v9, v4
	v_mov_b32_e32 v10, v4
	v_mov_b32_e32 v11, v4
	v_mov_b32_e32 v12, v4
	v_mov_b32_e32 v13, v4
	v_mov_b32_e32 v14, v4
	v_mov_b32_e32 v15, v4
	v_mov_b32_e32 v16, v4
	v_mov_b32_e32 v17, v4
	v_mov_b32_e32 v18, v4
	v_mov_b32_e32 v19, v4
	v_mov_b32_e32 v20, v4
	v_mov_b32_e32 v21, v4
	v_mov_b32_e32 v22, v4
	v_mov_b32_e32 v23, v4
	v_mov_b32_e32 v24, v4
	v_mov_b32_e32 v25, v4
	v_mov_b32_e32 v26, v4
	v_mov_b32_e32 v27, v4
	v_mov_b32_e32 v28, v4
	v_mov_b32_e32 v29, v4
	v_mov_b32_e32 v30, v4
	v_mov_b32_e32 v31, v4
	s_branch .LBB350_16
.LBB350_15:                             ;   in Loop: Header=BB350_16 Depth=2
	s_or_b64 exec, exec, s[20:21]
	s_waitcnt vmcnt(1) lgkmcnt(0)
	v_mfma_f32_16x16x32_fp8_fp8 v[28:31], v[44:45], v[36:37], v[28:31]
	s_addk_i32 s13, 0x200
	s_cmp_ge_u32 s13, s12
	s_waitcnt vmcnt(0)
	v_mfma_f32_16x16x32_fp8_fp8 v[24:27], v[44:45], v[32:33], v[24:27]
	v_mfma_f32_16x16x32_fp8_fp8 v[20:23], v[48:49], v[36:37], v[20:23]
	;; [unrolled: 1-line block ×15, first 2 shown]
	s_cbranch_scc1 .LBB350_18
.LBB350_16:                             ;   Parent Loop BB350_13 Depth=1
                                        ; =>  This Inner Loop Header: Depth=2
	v_add_u32_e32 v59, s13, v56
	v_min_u32_e32 v60, s26, v59
	v_lshl_add_u64 v[32:33], s[18:19], 0, v[60:61]
	v_lshl_add_u64 v[40:41], v[32:33], 0, v[64:65]
	;; [unrolled: 1-line block ×3, first 2 shown]
	global_load_dwordx4 v[36:39], v[40:41], off nt
	global_load_dwordx4 v[32:35], v[42:43], off nt
	v_mov_b64_e32 v[44:45], 0
	v_cmp_gt_u32_e32 vcc, s12, v59
	v_mov_b64_e32 v[46:47], v[44:45]
	v_mov_b64_e32 v[48:49], v[44:45]
	;; [unrolled: 1-line block ×7, first 2 shown]
	s_and_saveexec_b64 s[20:21], vcc
	s_cbranch_execz .LBB350_15
; %bb.17:                               ;   in Loop: Header=BB350_16 Depth=2
	v_add_u32_e32 v40, s13, v70
	ds_read_b128 v[44:47], v59
	ds_read_b128 v[48:51], v40
	v_add_u32_e32 v40, s13, v63
	v_add_u32_e32 v41, s13, v62
	ds_read_b128 v[52:55], v40
	ds_read_b128 v[40:43], v41
	s_branch .LBB350_15
.LBB350_18:                             ;   in Loop: Header=BB350_13 Depth=1
	v_cvt_i32_f32_e32 v29, v29
	v_cvt_i32_f32_e32 v30, v30
	;; [unrolled: 1-line block ×4, first 2 shown]
	v_cvt_f32_i32_dpp v29, v29 row_shl:1 row_mask:0xf bank_mask:0xf bound_ctrl:1
	v_cvt_f32_i32_dpp v30, v30 row_shl:2 row_mask:0xf bank_mask:0xf bound_ctrl:1
	v_cvt_i32_f32_e32 v26, v26
	v_cvt_i32_f32_e32 v27, v27
	v_cvt_f32_i32_dpp v31, v31 row_shl:3 row_mask:0xf bank_mask:0xf bound_ctrl:1
	v_add_f32_e32 v28, v28, v29
	v_add_f32_e32 v28, v28, v30
	v_cvt_f32_i32_dpp v30, v25 row_shl:1 row_mask:0xf bank_mask:0xf bound_ctrl:1
	v_cvt_f32_i32_dpp v26, v26 row_shl:2 row_mask:0xf bank_mask:0xf bound_ctrl:1
	;; [unrolled: 1-line block ×3, first 2 shown]
	v_add_f32_e32 v28, v28, v31
	ds_bpermute_b32 v29, v57, v28
	v_add_f32_e32 v24, v24, v30
	v_add_f32_e32 v24, v24, v26
	v_cvt_i32_f32_e32 v21, v21
	v_add_f32_e32 v24, v24, v27
	v_cvt_i32_f32_e32 v27, v22
	v_cvt_i32_f32_e32 v23, v23
	s_waitcnt lgkmcnt(0)
	v_add_f32_e32 v25, v28, v29
	v_cvt_f32_i32_dpp v28, v21 row_shl:1 row_mask:0xf bank_mask:0xf bound_ctrl:1
	v_cvt_f32_i32_dpp v27, v27 row_shl:2 row_mask:0xf bank_mask:0xf bound_ctrl:1
	;; [unrolled: 1-line block ×3, first 2 shown]
	ds_bpermute_b32 v26, v57, v24
	v_add_f32_e32 v20, v20, v28
	v_add_f32_e32 v20, v20, v27
	v_cvt_i32_f32_e32 v17, v17
	v_cvt_i32_f32_e32 v13, v13
	v_add_f32_e32 v20, v20, v23
	v_cvt_i32_f32_e32 v23, v18
	v_cvt_i32_f32_e32 v14, v14
	;; [unrolled: 1-line block ×4, first 2 shown]
	s_waitcnt lgkmcnt(0)
	v_add_f32_e32 v21, v24, v26
	v_cvt_f32_i32_dpp v26, v17 row_shl:1 row_mask:0xf bank_mask:0xf bound_ctrl:1
	v_cvt_f32_i32_dpp v13, v13 row_shl:1 row_mask:0xf bank_mask:0xf bound_ctrl:1
	;; [unrolled: 1-line block ×4, first 2 shown]
	ds_bpermute_b32 v24, v57, v20
	v_cvt_f32_i32_dpp v19, v19 row_shl:3 row_mask:0xf bank_mask:0xf bound_ctrl:1
	v_cvt_f32_i32_dpp v15, v15 row_shl:3 row_mask:0xf bank_mask:0xf bound_ctrl:1
	v_cvt_i32_f32_e32 v1, v1
	v_cvt_i32_f32_e32 v2, v2
	v_add_f32_e32 v16, v16, v26
	v_add_f32_e32 v12, v12, v13
	;; [unrolled: 1-line block ×6, first 2 shown]
	v_cvt_f32_i32_dpp v1, v1 row_shl:1 row_mask:0xf bank_mask:0xf bound_ctrl:1
	s_waitcnt lgkmcnt(0)
	v_add_f32_e32 v17, v20, v24
	ds_bpermute_b32 v19, v57, v16
	ds_bpermute_b32 v20, v57, v15
	v_cvt_f32_i32_dpp v2, v2 row_shl:2 row_mask:0xf bank_mask:0xf bound_ctrl:1
	v_cvt_i32_f32_e32 v3, v3
	v_cvt_i32_f32_e32 v23, v9
	v_add_f32_e32 v0, v0, v1
	v_add_f32_e32 v0, v0, v2
	v_cvt_f32_i32_dpp v1, v3 row_shl:3 row_mask:0xf bank_mask:0xf bound_ctrl:1
	v_cvt_i32_f32_e32 v2, v5
	s_waitcnt lgkmcnt(1)
	v_add_f32_e32 v12, v16, v19
	s_waitcnt lgkmcnt(0)
	v_add_f32_e32 v9, v15, v20
	v_cvt_f32_i32_dpp v15, v23 row_shl:1 row_mask:0xf bank_mask:0xf bound_ctrl:1
	v_cvt_i32_f32_e32 v16, v10
	v_cvt_i32_f32_e32 v3, v6
	;; [unrolled: 1-line block ×4, first 2 shown]
	v_add_f32_e32 v0, v0, v1
	v_cvt_f32_i32_dpp v1, v2 row_shl:1 row_mask:0xf bank_mask:0xf bound_ctrl:1
	v_add_f32_e32 v8, v8, v15
	v_cvt_f32_i32_dpp v15, v16 row_shl:2 row_mask:0xf bank_mask:0xf bound_ctrl:1
	v_cvt_f32_i32_dpp v2, v3 row_shl:2 row_mask:0xf bank_mask:0xf bound_ctrl:1
	;; [unrolled: 1-line block ×4, first 2 shown]
	v_add_f32_e32 v1, v4, v1
	v_add_f32_e32 v8, v8, v15
	;; [unrolled: 1-line block ×5, first 2 shown]
	ds_bpermute_b32 v11, v57, v8
	ds_bpermute_b32 v5, v57, v0
	;; [unrolled: 1-line block ×5, first 2 shown]
	s_waitcnt lgkmcnt(4)
	v_add_f32_e32 v6, v8, v11
	s_waitcnt lgkmcnt(3)
	v_add_f32_e32 v4, v0, v5
	;; [unrolled: 2-line block ×3, first 2 shown]
	ds_bpermute_b32 v14, v68, v17
	ds_bpermute_b32 v13, v68, v12
	;; [unrolled: 1-line block ×6, first 2 shown]
	s_and_saveexec_b64 s[20:21], s[0:1]
	s_cbranch_execz .LBB350_12
; %bb.19:                               ;   in Loop: Header=BB350_13 Depth=1
	s_and_b64 vcc, exec, s[10:11]
	s_cbranch_vccz .LBB350_30
; %bb.20:                               ;   in Loop: Header=BB350_13 Depth=1
	v_mul_hi_u32 v0, v58, v69
	v_mul_lo_u32 v0, v0, s16
	v_sub_u32_e32 v0, v58, v0
	v_subrev_u32_e32 v1, s16, v0
	v_cmp_le_u32_e32 vcc, s16, v0
	v_or_b32_e32 v8, 1, v58
	v_mov_b32_e32 v31, v61
	v_cndmask_b32_e32 v0, v0, v1, vcc
	v_subrev_u32_e32 v1, s16, v0
	v_cmp_le_u32_e32 vcc, s16, v0
	v_mov_b32_e32 v33, v61
	v_mov_b32_e32 v35, v61
	v_cndmask_b32_e32 v60, v0, v1, vcc
	v_mul_hi_u32 v0, v8, v69
	v_mul_lo_u32 v0, v0, s16
	v_sub_u32_e32 v0, v8, v0
	v_subrev_u32_e32 v1, s16, v0
	v_cmp_le_u32_e32 vcc, s16, v0
	v_lshl_add_u64 v[26:27], v[60:61], 1, s[4:5]
	v_add_u32_e32 v30, s30, v60
	v_cndmask_b32_e32 v0, v0, v1, vcc
	v_subrev_u32_e32 v1, s16, v0
	v_cmp_le_u32_e32 vcc, s16, v0
	v_add_u32_e32 v34, s31, v60
	v_add_u32_e32 v60, s33, v60
	v_cndmask_b32_e32 v0, v0, v1, vcc
	v_mov_b32_e32 v1, v61
	v_add_u32_e32 v32, s30, v0
	v_add_u32_e32 v36, s31, v0
	v_mov_b32_e32 v37, v61
	v_lshl_add_u64 v[38:39], v[60:61], 1, s[4:5]
	v_add_u32_e32 v60, s33, v0
	v_lshl_add_u64 v[28:29], v[0:1], 1, s[4:5]
	v_lshl_add_u64 v[30:31], v[30:31], 1, s[4:5]
	;; [unrolled: 1-line block ×6, first 2 shown]
	global_load_ushort v0, v[26:27], off
	global_load_ushort v24, v[28:29], off
	global_load_ushort v23, v[30:31], off
	global_load_ushort v20, v[32:33], off
	global_load_ushort v19, v[34:35], off
	global_load_ushort v16, v[36:37], off
	global_load_ushort v15, v[38:39], off
	global_load_ushort v11, v[40:41], off
	v_mov_b32_e32 v59, v61
	s_cbranch_execnz .LBB350_22
.LBB350_21:                             ;   in Loop: Header=BB350_13 Depth=1
	v_mov_b32_e32 v59, v61
	s_waitcnt vmcnt(7)
	v_mov_b32_e32 v0, 0
	v_mov_b32_e32 v8, v71
	s_waitcnt vmcnt(6)
	v_mov_b32_e32 v24, 0
	s_waitcnt vmcnt(5)
	;; [unrolled: 2-line block ×7, first 2 shown]
	v_mov_b32_e32 v11, 0
.LBB350_22:                             ;   in Loop: Header=BB350_13 Depth=1
	s_waitcnt lgkmcnt(7)
	v_add_f32_e32 v1, v25, v22
	v_mul_f32_e32 v1, s24, v1
	s_waitcnt vmcnt(7)
	v_fma_mixlo_f16 v22, s25, v1, v0 op_sel_hi:[0,0,1]
	v_lshl_add_u64 v[0:1], v[58:59], 1, s[6:7]
	v_cmp_gt_u32_e32 vcc, s15, v8
	global_store_short v[0:1], v22, off
	s_and_saveexec_b64 s[22:23], vcc
	s_cbranch_execz .LBB350_24
; %bb.23:                               ;   in Loop: Header=BB350_13 Depth=1
	s_waitcnt lgkmcnt(6)
	v_add_f32_e32 v18, v21, v18
	v_mul_f32_e32 v18, s24, v18
	s_waitcnt vmcnt(7)
	v_fma_mixlo_f16 v18, s25, v18, v24 op_sel_hi:[0,0,1]
	global_store_short v[0:1], v18, off offset:2
.LBB350_24:                             ;   in Loop: Header=BB350_13 Depth=1
	s_or_b64 exec, exec, s[22:23]
	s_waitcnt lgkmcnt(5)
	v_add_f32_e32 v0, v17, v14
	v_mul_f32_e32 v0, s24, v0
	v_add_u32_e32 v60, s15, v58
	s_waitcnt vmcnt(6)
	v_fma_mixlo_f16 v14, s25, v0, v23 op_sel_hi:[0,0,1]
	v_lshl_add_u64 v[0:1], v[60:61], 1, s[6:7]
	global_store_short v[0:1], v14, off
	s_and_saveexec_b64 s[22:23], vcc
	s_cbranch_execz .LBB350_26
; %bb.25:                               ;   in Loop: Header=BB350_13 Depth=1
	s_waitcnt lgkmcnt(4)
	v_add_f32_e32 v0, v12, v13
	v_mul_f32_e32 v0, s24, v0
	s_waitcnt vmcnt(6)
	v_fma_mixlo_f16 v12, s25, v0, v20 op_sel_hi:[0,0,1]
	v_add_u32_e32 v0, s15, v8
	v_mov_b32_e32 v1, v61
	v_lshl_add_u64 v[0:1], v[0:1], 1, s[6:7]
	global_store_short v[0:1], v12, off
.LBB350_26:                             ;   in Loop: Header=BB350_13 Depth=1
	s_or_b64 exec, exec, s[22:23]
	s_waitcnt lgkmcnt(3)
	v_add_f32_e32 v0, v9, v10
	v_mul_f32_e32 v0, s24, v0
	v_add_u32_e32 v60, s15, v60
	s_waitcnt vmcnt(5)
	v_fma_mixlo_f16 v9, s25, v0, v19 op_sel_hi:[0,0,1]
	v_lshl_add_u64 v[0:1], v[60:61], 1, s[6:7]
	global_store_short v[0:1], v9, off
	s_and_saveexec_b64 s[22:23], vcc
	s_cbranch_execz .LBB350_28
; %bb.27:                               ;   in Loop: Header=BB350_13 Depth=1
	s_waitcnt lgkmcnt(2)
	v_add_f32_e32 v0, v6, v7
	v_mul_f32_e32 v0, s24, v0
	s_waitcnt vmcnt(5)
	v_fma_mixlo_f16 v6, s25, v0, v16 op_sel_hi:[0,0,1]
	v_add_u32_e32 v0, s29, v8
	v_mov_b32_e32 v1, v61
	v_lshl_add_u64 v[0:1], v[0:1], 1, s[6:7]
	global_store_short v[0:1], v6, off
.LBB350_28:                             ;   in Loop: Header=BB350_13 Depth=1
	s_or_b64 exec, exec, s[22:23]
	s_waitcnt lgkmcnt(1)
	v_add_f32_e32 v0, v4, v5
	v_mul_f32_e32 v0, s24, v0
	v_add_u32_e32 v60, s15, v60
	s_waitcnt vmcnt(4)
	v_fma_mixlo_f16 v4, s25, v0, v15 op_sel_hi:[0,0,1]
	v_lshl_add_u64 v[0:1], v[60:61], 1, s[6:7]
	global_store_short v[0:1], v4, off
	s_and_b64 exec, exec, vcc
	s_cbranch_execz .LBB350_12
; %bb.29:                               ;   in Loop: Header=BB350_13 Depth=1
	s_waitcnt lgkmcnt(0)
	v_add_f32_e32 v0, v2, v3
	v_mul_f32_e32 v0, s24, v0
	v_add_u32_e32 v60, s17, v8
	s_waitcnt vmcnt(4)
	v_fma_mixlo_f16 v2, s25, v0, v11 op_sel_hi:[0,0,1]
	v_lshl_add_u64 v[0:1], v[60:61], 1, s[6:7]
	global_store_short v[0:1], v2, off
	s_branch .LBB350_12
.LBB350_30:                             ;   in Loop: Header=BB350_13 Depth=1
                                        ; implicit-def: $vgpr11
                                        ; implicit-def: $vgpr15
                                        ; implicit-def: $vgpr16
                                        ; implicit-def: $vgpr19
                                        ; implicit-def: $vgpr20
                                        ; implicit-def: $vgpr23
                                        ; implicit-def: $vgpr24
                                        ; implicit-def: $vgpr0
                                        ; implicit-def: $vgpr8
	s_branch .LBB350_21
.LBB350_31:
	s_endpgm
	.section	.rodata,"a",@progbits
	.p2align	6, 0x0
	.amdhsa_kernel _Z17wvSplitKQ_hf_sml_I6__halfN3c1013Float8_e4m3fnELi32ELi2ELi16ELi16ELi1ELi4EEviiiiiiPKT0_S5_PKT_PS6_PKfSB_ii
		.amdhsa_group_segment_fixed_size 65536
		.amdhsa_private_segment_fixed_size 0
		.amdhsa_kernarg_size 80
		.amdhsa_user_sgpr_count 2
		.amdhsa_user_sgpr_dispatch_ptr 0
		.amdhsa_user_sgpr_queue_ptr 0
		.amdhsa_user_sgpr_kernarg_segment_ptr 1
		.amdhsa_user_sgpr_dispatch_id 0
		.amdhsa_user_sgpr_kernarg_preload_length 0
		.amdhsa_user_sgpr_kernarg_preload_offset 0
		.amdhsa_user_sgpr_private_segment_size 0
		.amdhsa_uses_dynamic_stack 0
		.amdhsa_enable_private_segment 0
		.amdhsa_system_sgpr_workgroup_id_x 1
		.amdhsa_system_sgpr_workgroup_id_y 0
		.amdhsa_system_sgpr_workgroup_id_z 0
		.amdhsa_system_sgpr_workgroup_info 0
		.amdhsa_system_vgpr_workitem_id 1
		.amdhsa_next_free_vgpr 72
		.amdhsa_next_free_sgpr 34
		.amdhsa_accum_offset 72
		.amdhsa_reserve_vcc 1
		.amdhsa_float_round_mode_32 0
		.amdhsa_float_round_mode_16_64 0
		.amdhsa_float_denorm_mode_32 3
		.amdhsa_float_denorm_mode_16_64 3
		.amdhsa_dx10_clamp 1
		.amdhsa_ieee_mode 1
		.amdhsa_fp16_overflow 0
		.amdhsa_tg_split 0
		.amdhsa_exception_fp_ieee_invalid_op 0
		.amdhsa_exception_fp_denorm_src 0
		.amdhsa_exception_fp_ieee_div_zero 0
		.amdhsa_exception_fp_ieee_overflow 0
		.amdhsa_exception_fp_ieee_underflow 0
		.amdhsa_exception_fp_ieee_inexact 0
		.amdhsa_exception_int_div_zero 0
	.end_amdhsa_kernel
	.section	.text._Z17wvSplitKQ_hf_sml_I6__halfN3c1013Float8_e4m3fnELi32ELi2ELi16ELi16ELi1ELi4EEviiiiiiPKT0_S5_PKT_PS6_PKfSB_ii,"axG",@progbits,_Z17wvSplitKQ_hf_sml_I6__halfN3c1013Float8_e4m3fnELi32ELi2ELi16ELi16ELi1ELi4EEviiiiiiPKT0_S5_PKT_PS6_PKfSB_ii,comdat
.Lfunc_end350:
	.size	_Z17wvSplitKQ_hf_sml_I6__halfN3c1013Float8_e4m3fnELi32ELi2ELi16ELi16ELi1ELi4EEviiiiiiPKT0_S5_PKT_PS6_PKfSB_ii, .Lfunc_end350-_Z17wvSplitKQ_hf_sml_I6__halfN3c1013Float8_e4m3fnELi32ELi2ELi16ELi16ELi1ELi4EEviiiiiiPKT0_S5_PKT_PS6_PKfSB_ii
                                        ; -- End function
	.section	.AMDGPU.csdata,"",@progbits
; Kernel info:
; codeLenInByte = 2964
; NumSgprs: 40
; NumVgprs: 72
; NumAgprs: 0
; TotalNumVgprs: 72
; ScratchSize: 0
; MemoryBound: 0
; FloatMode: 240
; IeeeMode: 1
; LDSByteSize: 65536 bytes/workgroup (compile time only)
; SGPRBlocks: 4
; VGPRBlocks: 8
; NumSGPRsForWavesPerEU: 40
; NumVGPRsForWavesPerEU: 72
; AccumOffset: 72
; Occupancy: 2
; WaveLimiterHint : 0
; COMPUTE_PGM_RSRC2:SCRATCH_EN: 0
; COMPUTE_PGM_RSRC2:USER_SGPR: 2
; COMPUTE_PGM_RSRC2:TRAP_HANDLER: 0
; COMPUTE_PGM_RSRC2:TGID_X_EN: 1
; COMPUTE_PGM_RSRC2:TGID_Y_EN: 0
; COMPUTE_PGM_RSRC2:TGID_Z_EN: 0
; COMPUTE_PGM_RSRC2:TIDIG_COMP_CNT: 1
; COMPUTE_PGM_RSRC3_GFX90A:ACCUM_OFFSET: 17
; COMPUTE_PGM_RSRC3_GFX90A:TG_SPLIT: 0
	.section	.text._Z13wvSplitKQ_hf_I6__halfN3c1013Float8_e4m3fnELi32ELi2ELi16ELi16ELi1ELi4EEviiiiiiPKT0_S5_PKT_PS6_PKfSB_ii,"axG",@progbits,_Z13wvSplitKQ_hf_I6__halfN3c1013Float8_e4m3fnELi32ELi2ELi16ELi16ELi1ELi4EEviiiiiiPKT0_S5_PKT_PS6_PKfSB_ii,comdat
	.protected	_Z13wvSplitKQ_hf_I6__halfN3c1013Float8_e4m3fnELi32ELi2ELi16ELi16ELi1ELi4EEviiiiiiPKT0_S5_PKT_PS6_PKfSB_ii ; -- Begin function _Z13wvSplitKQ_hf_I6__halfN3c1013Float8_e4m3fnELi32ELi2ELi16ELi16ELi1ELi4EEviiiiiiPKT0_S5_PKT_PS6_PKfSB_ii
	.globl	_Z13wvSplitKQ_hf_I6__halfN3c1013Float8_e4m3fnELi32ELi2ELi16ELi16ELi1ELi4EEviiiiiiPKT0_S5_PKT_PS6_PKfSB_ii
	.p2align	8
	.type	_Z13wvSplitKQ_hf_I6__halfN3c1013Float8_e4m3fnELi32ELi2ELi16ELi16ELi1ELi4EEviiiiiiPKT0_S5_PKT_PS6_PKfSB_ii,@function
_Z13wvSplitKQ_hf_I6__halfN3c1013Float8_e4m3fnELi32ELi2ELi16ELi16ELi1ELi4EEviiiiiiPKT0_S5_PKT_PS6_PKfSB_ii: ; @_Z13wvSplitKQ_hf_I6__halfN3c1013Float8_e4m3fnELi32ELi2ELi16ELi16ELi1ELi4EEviiiiiiPKT0_S5_PKT_PS6_PKfSB_ii
; %bb.0:
	s_load_dwordx4 s[12:15], s[0:1], 0x0
	s_load_dwordx2 s[16:17], s[0:1], 0x20
	v_and_b32_e32 v4, 0x3ff, v0
	v_bfe_u32 v5, v0, 10, 10
	v_lshlrev_b32_e32 v56, 4, v4
	s_waitcnt lgkmcnt(0)
	s_lshl_b32 s3, s13, 2
	v_lshl_add_u32 v0, v5, 9, v56
	s_min_u32 s3, s3, 0x10000
	v_cmp_gt_u32_e32 vcc, s3, v0
	s_and_saveexec_b64 s[4:5], vcc
	s_cbranch_execz .LBB351_9
; %bb.1:
	global_load_dwordx4 v[6:9], v0, s[16:17]
	v_add_u32_e32 v1, 0x2000, v0
	v_cmp_gt_u32_e32 vcc, s3, v1
	s_waitcnt vmcnt(0)
	ds_write_b128 v0, v[6:9]
	s_and_saveexec_b64 s[6:7], vcc
	s_xor_b64 s[6:7], exec, s[6:7]
	s_cbranch_execz .LBB351_9
; %bb.2:
	v_mov_b32_e32 v1, 0
	v_lshl_add_u64 v[2:3], s[16:17], 0, v[0:1]
	v_add_co_u32_e32 v6, vcc, 0x2000, v2
	v_add_u32_e32 v1, 0x4000, v0
	s_nop 0
	v_addc_co_u32_e32 v7, vcc, 0, v3, vcc
	global_load_dwordx4 v[6:9], v[6:7], off
	v_cmp_gt_u32_e32 vcc, s3, v1
	s_waitcnt vmcnt(0)
	ds_write_b128 v0, v[6:9] offset:8192
	s_and_saveexec_b64 s[6:7], vcc
	s_xor_b64 s[6:7], exec, s[6:7]
	s_cbranch_execz .LBB351_9
; %bb.3:
	v_add_co_u32_e32 v6, vcc, 0x4000, v2
	v_add_u32_e32 v1, 0x6000, v0
	s_nop 0
	v_addc_co_u32_e32 v7, vcc, 0, v3, vcc
	global_load_dwordx4 v[6:9], v[6:7], off
	v_cmp_gt_u32_e32 vcc, s3, v1
	s_waitcnt vmcnt(0)
	ds_write_b128 v0, v[6:9] offset:16384
	s_and_saveexec_b64 s[6:7], vcc
	s_xor_b64 s[6:7], exec, s[6:7]
	s_cbranch_execz .LBB351_9
; %bb.4:
	;; [unrolled: 12-line block ×6, first 2 shown]
	v_add_co_u32_e32 v2, vcc, 0xe000, v2
	s_nop 1
	v_addc_co_u32_e32 v3, vcc, 0, v3, vcc
	global_load_dwordx4 v[6:9], v[2:3], off
	s_waitcnt vmcnt(0)
	ds_write_b128 v0, v[6:9] offset:57344
.LBB351_9:
	s_or_b64 exec, exec, s[4:5]
	s_load_dwordx2 s[22:23], s[0:1], 0x48
	;;#ASMSTART
	s_waitcnt vmcnt(0)
	;;#ASMEND
	s_waitcnt lgkmcnt(0)
	s_barrier
	v_cmp_gt_u32_e32 vcc, s22, v5
	s_and_saveexec_b64 s[4:5], vcc
	s_cbranch_execz .LBB351_47
; %bb.10:
	s_load_dwordx2 s[18:19], s[0:1], 0x10
	s_mul_i32 s2, s2, s22
	v_add_lshl_u32 v58, s2, v5, 1
	v_cmp_gt_u32_e32 vcc, s15, v58
	s_and_b64 exec, exec, vcc
	s_cbranch_execz .LBB351_47
; %bb.11:
	s_load_dwordx8 s[4:11], s[0:1], 0x28
	s_load_dwordx2 s[20:21], s[0:1], 0x18
	v_mbcnt_lo_u32_b32 v0, -1, 0
	v_mbcnt_hi_u32_b32 v0, -1, v0
	s_cmp_lg_u32 s12, 0
	v_and_b32_e32 v1, 63, v0
	s_cselect_b64 s[2:3], -1, 0
	s_add_i32 s28, s12, -16
	s_add_i32 s29, s15, -1
	v_cmp_lt_u32_e32 vcc, 43, v1
	s_mul_i32 s22, s22, s23
	s_waitcnt lgkmcnt(0)
	s_cmp_lg_u64 s[4:5], 0
	v_cndmask_b32_e64 v2, 20, 0, vcc
	v_cmp_lt_u32_e32 vcc, 23, v1
	s_load_dword s26, s[8:9], 0x0
	s_load_dword s27, s[10:11], 0x0
	v_cndmask_b32_e64 v1, 40, 0, vcc
	s_cselect_b64 s[10:11], -1, 0
	s_lshl_b32 s30, s22, 1
	s_abs_i32 s22, s19
	v_add_lshl_u32 v57, v2, v0, 2
	v_add_lshl_u32 v68, v1, v0, 2
	v_cvt_f32_u32_e32 v0, s18
	v_cvt_f32_u32_e32 v1, s22
	s_sub_i32 s23, 0, s18
	s_lshl_b32 s31, s15, 1
	v_rcp_iflag_f32_e32 v0, v0
	v_rcp_iflag_f32_e32 v1, v1
	v_cmp_eq_u32_e64 s[0:1], 0, v4
	s_mov_b64 s[8:9], 0
	v_mul_f32_e32 v0, 0x4f7ffffe, v0
	v_mul_f32_e32 v1, 0x4f7ffffe, v1
	v_cvt_u32_f32_e32 v0, v0
	v_cvt_u32_f32_e32 v1, v1
	s_mul_i32 s19, s15, 3
	v_mov_b32_e32 v61, 0
	v_mul_lo_u32 v2, s23, v0
	s_sub_i32 s23, 0, s22
	v_readfirstlane_b32 s24, v1
	s_mul_i32 s23, s23, s24
	s_mul_hi_u32 s23, s24, s23
	s_add_i32 s24, s24, s23
	s_sub_i32 s23, 1, s22
	s_cmp_lt_u32 s22, 2
	s_cselect_b32 s23, s23, 1
	s_sub_i32 s25, s23, s22
	s_cmp_ge_u32 s23, s22
	s_cselect_b32 s33, s25, s23
	s_lshr_b32 s23, s24, 31
	s_mul_i32 s23, s23, s22
	s_sub_i32 s23, 2, s23
	s_sub_i32 s25, s23, s22
	s_cmp_ge_u32 s23, s22
	s_cselect_b32 s23, s25, s23
	s_sub_i32 s25, s23, s22
	s_cmp_ge_u32 s23, s22
	s_cselect_b32 s34, s25, s23
	s_mul_hi_u32 s23, s24, 3
	s_mul_i32 s23, s23, s22
	s_sub_i32 s23, 3, s23
	s_sub_i32 s24, s23, s22
	s_cmp_ge_u32 s23, s22
	s_cselect_b32 s23, s24, s23
	s_sub_i32 s24, s23, s22
	v_mul_hi_u32 v2, v0, v2
	s_cmp_ge_u32 s23, s22
	v_add_u32_e32 v69, v0, v2
	s_cselect_b32 s35, s24, s23
	v_mad_u64_u32 v[62:63], s[22:23], s13, 3, v[56:57]
	v_cndmask_b32_e64 v0, 0, 1, s[2:3]
	s_mul_i32 s33, s33, s18
	s_mul_i32 s34, s34, s18
	;; [unrolled: 1-line block ×3, first 2 shown]
	v_lshl_add_u32 v70, s13, 1, v56
	v_add_u32_e32 v63, s13, v56
	v_cmp_ne_u32_e64 s[2:3], 1, v0
	s_mov_b32 s13, 0xffff
	s_branch .LBB351_13
.LBB351_12:                             ;   in Loop: Header=BB351_13 Depth=1
	s_or_b64 exec, exec, s[22:23]
	v_add_u32_e32 v58, s30, v58
	v_cmp_le_u32_e32 vcc, s15, v58
	s_or_b64 s[8:9], vcc, s[8:9]
	s_andn2_b64 exec, exec, s[8:9]
	s_cbranch_execz .LBB351_47
.LBB351_13:                             ; =>This Loop Header: Depth=1
                                        ;     Child Loop BB351_17 Depth 2
	s_and_b64 vcc, exec, s[2:3]
	v_or_b32_e32 v71, 1, v58
	v_mov_b32_e32 v31, v61
	v_mov_b32_e32 v30, v61
	;; [unrolled: 1-line block ×9, first 2 shown]
	s_waitcnt lgkmcnt(0)
	v_mov_b32_e32 v22, v61
	v_mov_b32_e32 v21, v61
	;; [unrolled: 1-line block ×11, first 2 shown]
	s_waitcnt vmcnt(4)
	v_mov_b32_e32 v11, v61
	v_mov_b32_e32 v10, v61
	;; [unrolled: 1-line block ×12, first 2 shown]
	s_cbranch_vccnz .LBB351_34
; %bb.14:                               ;   in Loop: Header=BB351_13 Depth=1
	v_min_u32_e32 v0, s29, v58
	v_mul_lo_u32 v64, v0, s14
	v_or_b32_e32 v0, 1, v58
	v_min_u32_e32 v0, s29, v0
	v_mov_b32_e32 v4, 0
	v_mov_b32_e32 v65, v61
	v_mul_lo_u32 v66, v0, s14
	v_mov_b32_e32 v67, v61
	s_mov_b32 s36, 0
	v_mov_b32_e32 v5, v4
	v_mov_b32_e32 v6, v4
	;; [unrolled: 1-line block ×31, first 2 shown]
	s_branch .LBB351_17
.LBB351_15:                             ;   in Loop: Header=BB351_17 Depth=2
	s_or_b64 exec, exec, s[24:25]
.LBB351_16:                             ;   in Loop: Header=BB351_17 Depth=2
	s_or_b64 exec, exec, s[22:23]
	s_waitcnt vmcnt(0) lgkmcnt(0)
	v_mfma_f32_16x16x32_fp8_fp8 v[28:31], v[40:41], v[36:37], v[28:31]
	s_addk_i32 s36, 0x200
	s_cmp_ge_u32 s36, s12
	v_mfma_f32_16x16x32_fp8_fp8 v[24:27], v[40:41], v[32:33], v[24:27]
	v_mfma_f32_16x16x32_fp8_fp8 v[20:23], v[44:45], v[36:37], v[20:23]
	v_mfma_f32_16x16x32_fp8_fp8 v[16:19], v[44:45], v[32:33], v[16:19]
	v_mfma_f32_16x16x32_fp8_fp8 v[12:15], v[48:49], v[36:37], v[12:15]
	v_mfma_f32_16x16x32_fp8_fp8 v[8:11], v[48:49], v[32:33], v[8:11]
	v_mfma_f32_16x16x32_fp8_fp8 v[0:3], v[52:53], v[36:37], v[0:3]
	v_mfma_f32_16x16x32_fp8_fp8 v[4:7], v[52:53], v[32:33], v[4:7]
	v_mfma_f32_16x16x32_fp8_fp8 v[28:31], v[42:43], v[38:39], v[28:31]
	v_mfma_f32_16x16x32_fp8_fp8 v[24:27], v[42:43], v[34:35], v[24:27]
	v_mfma_f32_16x16x32_fp8_fp8 v[20:23], v[46:47], v[38:39], v[20:23]
	v_mfma_f32_16x16x32_fp8_fp8 v[16:19], v[46:47], v[34:35], v[16:19]
	v_mfma_f32_16x16x32_fp8_fp8 v[12:15], v[50:51], v[38:39], v[12:15]
	v_mfma_f32_16x16x32_fp8_fp8 v[8:11], v[50:51], v[34:35], v[8:11]
	v_mfma_f32_16x16x32_fp8_fp8 v[0:3], v[54:55], v[38:39], v[0:3]
	v_mfma_f32_16x16x32_fp8_fp8 v[4:7], v[54:55], v[34:35], v[4:7]
	s_cbranch_scc1 .LBB351_34
.LBB351_17:                             ;   Parent Loop BB351_13 Depth=1
                                        ; =>  This Inner Loop Header: Depth=2
	v_add_u32_e32 v59, s36, v56
	v_min_u32_e32 v60, s28, v59
	v_lshl_add_u64 v[32:33], s[20:21], 0, v[60:61]
	v_lshl_add_u64 v[40:41], v[32:33], 0, v[64:65]
	;; [unrolled: 1-line block ×3, first 2 shown]
	global_load_dwordx4 v[36:39], v[40:41], off nt
	global_load_dwordx4 v[32:35], v[42:43], off nt
	v_mov_b64_e32 v[54:55], 0
	v_cmp_gt_u32_e32 vcc, s12, v59
	v_mov_b64_e32 v[52:53], v[54:55]
	v_mov_b64_e32 v[50:51], v[54:55]
	;; [unrolled: 1-line block ×7, first 2 shown]
	s_and_saveexec_b64 s[22:23], vcc
	s_cbranch_execz .LBB351_16
; %bb.18:                               ;   in Loop: Header=BB351_17 Depth=2
	v_cmp_lt_u32_e32 vcc, s13, v59
                                        ; implicit-def: $vgpr42_vgpr43
	s_and_saveexec_b64 s[24:25], vcc
	s_xor_b64 s[24:25], exec, s[24:25]
	s_cbranch_execz .LBB351_20
; %bb.19:                               ;   in Loop: Header=BB351_17 Depth=2
	global_load_dwordx4 v[40:43], v59, s[16:17]
                                        ; implicit-def: $vgpr59
.LBB351_20:                             ;   in Loop: Header=BB351_17 Depth=2
	s_andn2_saveexec_b64 s[24:25], s[24:25]
	s_cbranch_execz .LBB351_22
; %bb.21:                               ;   in Loop: Header=BB351_17 Depth=2
	s_waitcnt vmcnt(0)
	ds_read_b128 v[40:43], v59
.LBB351_22:                             ;   in Loop: Header=BB351_17 Depth=2
	s_or_b64 exec, exec, s[24:25]
	v_add_u32_e32 v48, s36, v63
	v_cmp_lt_u32_e32 vcc, s13, v48
                                        ; implicit-def: $vgpr46_vgpr47
	s_and_saveexec_b64 s[24:25], vcc
	s_xor_b64 s[24:25], exec, s[24:25]
	s_cbranch_execz .LBB351_24
; %bb.23:                               ;   in Loop: Header=BB351_17 Depth=2
	global_load_dwordx4 v[44:47], v48, s[16:17]
                                        ; implicit-def: $vgpr48
.LBB351_24:                             ;   in Loop: Header=BB351_17 Depth=2
	s_andn2_saveexec_b64 s[24:25], s[24:25]
	s_cbranch_execz .LBB351_26
; %bb.25:                               ;   in Loop: Header=BB351_17 Depth=2
	s_waitcnt vmcnt(0)
	ds_read_b128 v[44:47], v48
.LBB351_26:                             ;   in Loop: Header=BB351_17 Depth=2
	s_or_b64 exec, exec, s[24:25]
	v_add_u32_e32 v52, s36, v70
	v_cmp_lt_u32_e32 vcc, s13, v52
                                        ; implicit-def: $vgpr50_vgpr51
	s_and_saveexec_b64 s[24:25], vcc
	s_xor_b64 s[24:25], exec, s[24:25]
	s_cbranch_execz .LBB351_28
; %bb.27:                               ;   in Loop: Header=BB351_17 Depth=2
	global_load_dwordx4 v[48:51], v52, s[16:17]
                                        ; implicit-def: $vgpr52
.LBB351_28:                             ;   in Loop: Header=BB351_17 Depth=2
	s_andn2_saveexec_b64 s[24:25], s[24:25]
	s_cbranch_execz .LBB351_30
; %bb.29:                               ;   in Loop: Header=BB351_17 Depth=2
	s_waitcnt vmcnt(0)
	ds_read_b128 v[48:51], v52
.LBB351_30:                             ;   in Loop: Header=BB351_17 Depth=2
	s_or_b64 exec, exec, s[24:25]
	v_add_u32_e32 v59, s36, v62
	v_cmp_lt_u32_e32 vcc, s13, v59
                                        ; implicit-def: $vgpr54_vgpr55
	s_and_saveexec_b64 s[24:25], vcc
	s_xor_b64 s[24:25], exec, s[24:25]
	s_cbranch_execz .LBB351_32
; %bb.31:                               ;   in Loop: Header=BB351_17 Depth=2
	global_load_dwordx4 v[52:55], v59, s[16:17]
                                        ; implicit-def: $vgpr59
.LBB351_32:                             ;   in Loop: Header=BB351_17 Depth=2
	s_andn2_saveexec_b64 s[24:25], s[24:25]
	s_cbranch_execz .LBB351_15
; %bb.33:                               ;   in Loop: Header=BB351_17 Depth=2
	s_waitcnt vmcnt(0)
	ds_read_b128 v[52:55], v59
	s_branch .LBB351_15
.LBB351_34:                             ;   in Loop: Header=BB351_13 Depth=1
	v_cvt_i32_f32_e32 v29, v29
	v_cvt_i32_f32_e32 v30, v30
	;; [unrolled: 1-line block ×4, first 2 shown]
	v_cvt_f32_i32_dpp v29, v29 row_shl:1 row_mask:0xf bank_mask:0xf bound_ctrl:1
	v_cvt_f32_i32_dpp v30, v30 row_shl:2 row_mask:0xf bank_mask:0xf bound_ctrl:1
	v_cvt_i32_f32_e32 v26, v26
	v_cvt_i32_f32_e32 v27, v27
	v_cvt_f32_i32_dpp v31, v31 row_shl:3 row_mask:0xf bank_mask:0xf bound_ctrl:1
	v_add_f32_e32 v28, v28, v29
	v_add_f32_e32 v28, v28, v30
	v_cvt_f32_i32_dpp v30, v25 row_shl:1 row_mask:0xf bank_mask:0xf bound_ctrl:1
	v_cvt_f32_i32_dpp v26, v26 row_shl:2 row_mask:0xf bank_mask:0xf bound_ctrl:1
	v_cvt_f32_i32_dpp v27, v27 row_shl:3 row_mask:0xf bank_mask:0xf bound_ctrl:1
	v_add_f32_e32 v28, v28, v31
	ds_bpermute_b32 v29, v57, v28
	v_add_f32_e32 v24, v24, v30
	v_add_f32_e32 v24, v24, v26
	v_cvt_i32_f32_e32 v21, v21
	v_add_f32_e32 v24, v24, v27
	v_cvt_i32_f32_e32 v27, v22
	v_cvt_i32_f32_e32 v23, v23
	s_waitcnt lgkmcnt(0)
	v_add_f32_e32 v25, v28, v29
	v_cvt_f32_i32_dpp v28, v21 row_shl:1 row_mask:0xf bank_mask:0xf bound_ctrl:1
	v_cvt_f32_i32_dpp v27, v27 row_shl:2 row_mask:0xf bank_mask:0xf bound_ctrl:1
	;; [unrolled: 1-line block ×3, first 2 shown]
	ds_bpermute_b32 v26, v57, v24
	v_add_f32_e32 v20, v20, v28
	v_add_f32_e32 v20, v20, v27
	v_cvt_i32_f32_e32 v17, v17
	v_cvt_i32_f32_e32 v13, v13
	v_add_f32_e32 v20, v20, v23
	v_cvt_i32_f32_e32 v23, v18
	v_cvt_i32_f32_e32 v14, v14
	v_cvt_i32_f32_e32 v19, v19
	v_cvt_i32_f32_e32 v15, v15
	s_waitcnt lgkmcnt(0)
	v_add_f32_e32 v21, v24, v26
	v_cvt_f32_i32_dpp v26, v17 row_shl:1 row_mask:0xf bank_mask:0xf bound_ctrl:1
	v_cvt_f32_i32_dpp v13, v13 row_shl:1 row_mask:0xf bank_mask:0xf bound_ctrl:1
	;; [unrolled: 1-line block ×4, first 2 shown]
	ds_bpermute_b32 v24, v57, v20
	v_cvt_f32_i32_dpp v19, v19 row_shl:3 row_mask:0xf bank_mask:0xf bound_ctrl:1
	v_cvt_f32_i32_dpp v15, v15 row_shl:3 row_mask:0xf bank_mask:0xf bound_ctrl:1
	v_cvt_i32_f32_e32 v1, v1
	v_cvt_i32_f32_e32 v2, v2
	v_add_f32_e32 v16, v16, v26
	v_add_f32_e32 v12, v12, v13
	;; [unrolled: 1-line block ×6, first 2 shown]
	v_cvt_f32_i32_dpp v1, v1 row_shl:1 row_mask:0xf bank_mask:0xf bound_ctrl:1
	s_waitcnt lgkmcnt(0)
	v_add_f32_e32 v17, v20, v24
	ds_bpermute_b32 v19, v57, v16
	ds_bpermute_b32 v20, v57, v15
	v_cvt_f32_i32_dpp v2, v2 row_shl:2 row_mask:0xf bank_mask:0xf bound_ctrl:1
	v_cvt_i32_f32_e32 v3, v3
	v_cvt_i32_f32_e32 v23, v9
	v_add_f32_e32 v0, v0, v1
	v_add_f32_e32 v0, v0, v2
	v_cvt_f32_i32_dpp v1, v3 row_shl:3 row_mask:0xf bank_mask:0xf bound_ctrl:1
	v_cvt_i32_f32_e32 v2, v5
	s_waitcnt lgkmcnt(1)
	v_add_f32_e32 v12, v16, v19
	s_waitcnt lgkmcnt(0)
	v_add_f32_e32 v9, v15, v20
	v_cvt_f32_i32_dpp v15, v23 row_shl:1 row_mask:0xf bank_mask:0xf bound_ctrl:1
	v_cvt_i32_f32_e32 v16, v10
	v_cvt_i32_f32_e32 v3, v6
	;; [unrolled: 1-line block ×4, first 2 shown]
	v_add_f32_e32 v0, v0, v1
	v_cvt_f32_i32_dpp v1, v2 row_shl:1 row_mask:0xf bank_mask:0xf bound_ctrl:1
	v_add_f32_e32 v8, v8, v15
	v_cvt_f32_i32_dpp v15, v16 row_shl:2 row_mask:0xf bank_mask:0xf bound_ctrl:1
	v_cvt_f32_i32_dpp v2, v3 row_shl:2 row_mask:0xf bank_mask:0xf bound_ctrl:1
	;; [unrolled: 1-line block ×4, first 2 shown]
	v_add_f32_e32 v1, v4, v1
	v_add_f32_e32 v8, v8, v15
	;; [unrolled: 1-line block ×5, first 2 shown]
	ds_bpermute_b32 v11, v57, v8
	ds_bpermute_b32 v5, v57, v0
	;; [unrolled: 1-line block ×5, first 2 shown]
	s_waitcnt lgkmcnt(4)
	v_add_f32_e32 v6, v8, v11
	s_waitcnt lgkmcnt(3)
	v_add_f32_e32 v4, v0, v5
	;; [unrolled: 2-line block ×3, first 2 shown]
	ds_bpermute_b32 v14, v68, v17
	ds_bpermute_b32 v13, v68, v12
	;; [unrolled: 1-line block ×6, first 2 shown]
	s_and_saveexec_b64 s[22:23], s[0:1]
	s_cbranch_execz .LBB351_12
; %bb.35:                               ;   in Loop: Header=BB351_13 Depth=1
	s_and_b64 vcc, exec, s[10:11]
	s_cbranch_vccz .LBB351_46
; %bb.36:                               ;   in Loop: Header=BB351_13 Depth=1
	v_mul_hi_u32 v0, v58, v69
	v_mul_lo_u32 v0, v0, s18
	v_sub_u32_e32 v0, v58, v0
	v_subrev_u32_e32 v1, s18, v0
	v_cmp_le_u32_e32 vcc, s18, v0
	v_or_b32_e32 v8, 1, v58
	v_mov_b32_e32 v31, v61
	v_cndmask_b32_e32 v0, v0, v1, vcc
	v_subrev_u32_e32 v1, s18, v0
	v_cmp_le_u32_e32 vcc, s18, v0
	v_mov_b32_e32 v33, v61
	v_mov_b32_e32 v35, v61
	v_cndmask_b32_e32 v60, v0, v1, vcc
	v_mul_hi_u32 v0, v8, v69
	v_mul_lo_u32 v0, v0, s18
	v_sub_u32_e32 v0, v8, v0
	v_subrev_u32_e32 v1, s18, v0
	v_cmp_le_u32_e32 vcc, s18, v0
	v_lshl_add_u64 v[26:27], v[60:61], 1, s[4:5]
	v_add_u32_e32 v30, s33, v60
	v_cndmask_b32_e32 v0, v0, v1, vcc
	v_subrev_u32_e32 v1, s18, v0
	v_cmp_le_u32_e32 vcc, s18, v0
	v_add_u32_e32 v34, s34, v60
	v_add_u32_e32 v60, s35, v60
	v_cndmask_b32_e32 v0, v0, v1, vcc
	v_mov_b32_e32 v1, v61
	v_add_u32_e32 v32, s33, v0
	v_add_u32_e32 v36, s34, v0
	v_mov_b32_e32 v37, v61
	v_lshl_add_u64 v[38:39], v[60:61], 1, s[4:5]
	v_add_u32_e32 v60, s35, v0
	v_lshl_add_u64 v[28:29], v[0:1], 1, s[4:5]
	v_lshl_add_u64 v[30:31], v[30:31], 1, s[4:5]
	;; [unrolled: 1-line block ×6, first 2 shown]
	global_load_ushort v0, v[26:27], off
	global_load_ushort v24, v[28:29], off
	;; [unrolled: 1-line block ×8, first 2 shown]
	v_mov_b32_e32 v59, v61
	s_cbranch_execnz .LBB351_38
.LBB351_37:                             ;   in Loop: Header=BB351_13 Depth=1
	v_mov_b32_e32 v59, v61
	s_waitcnt vmcnt(7)
	v_mov_b32_e32 v0, 0
	v_mov_b32_e32 v8, v71
	s_waitcnt vmcnt(6)
	v_mov_b32_e32 v24, 0
	s_waitcnt vmcnt(5)
	;; [unrolled: 2-line block ×7, first 2 shown]
	v_mov_b32_e32 v11, 0
.LBB351_38:                             ;   in Loop: Header=BB351_13 Depth=1
	s_waitcnt lgkmcnt(7)
	v_add_f32_e32 v1, v25, v22
	v_mul_f32_e32 v1, s26, v1
	s_waitcnt vmcnt(7)
	v_fma_mixlo_f16 v22, s27, v1, v0 op_sel_hi:[0,0,1]
	v_lshl_add_u64 v[0:1], v[58:59], 1, s[6:7]
	v_cmp_gt_u32_e32 vcc, s15, v8
	global_store_short v[0:1], v22, off
	s_and_saveexec_b64 s[24:25], vcc
	s_cbranch_execz .LBB351_40
; %bb.39:                               ;   in Loop: Header=BB351_13 Depth=1
	s_waitcnt lgkmcnt(6)
	v_add_f32_e32 v18, v21, v18
	v_mul_f32_e32 v18, s26, v18
	s_waitcnt vmcnt(7)
	v_fma_mixlo_f16 v18, s27, v18, v24 op_sel_hi:[0,0,1]
	global_store_short v[0:1], v18, off offset:2
.LBB351_40:                             ;   in Loop: Header=BB351_13 Depth=1
	s_or_b64 exec, exec, s[24:25]
	s_waitcnt lgkmcnt(5)
	v_add_f32_e32 v0, v17, v14
	v_mul_f32_e32 v0, s26, v0
	v_add_u32_e32 v60, s15, v58
	s_waitcnt vmcnt(6)
	v_fma_mixlo_f16 v14, s27, v0, v23 op_sel_hi:[0,0,1]
	v_lshl_add_u64 v[0:1], v[60:61], 1, s[6:7]
	global_store_short v[0:1], v14, off
	s_and_saveexec_b64 s[24:25], vcc
	s_cbranch_execz .LBB351_42
; %bb.41:                               ;   in Loop: Header=BB351_13 Depth=1
	s_waitcnt lgkmcnt(4)
	v_add_f32_e32 v0, v12, v13
	v_mul_f32_e32 v0, s26, v0
	s_waitcnt vmcnt(6)
	v_fma_mixlo_f16 v12, s27, v0, v20 op_sel_hi:[0,0,1]
	v_add_u32_e32 v0, s15, v8
	v_mov_b32_e32 v1, v61
	v_lshl_add_u64 v[0:1], v[0:1], 1, s[6:7]
	global_store_short v[0:1], v12, off
.LBB351_42:                             ;   in Loop: Header=BB351_13 Depth=1
	s_or_b64 exec, exec, s[24:25]
	s_waitcnt lgkmcnt(3)
	v_add_f32_e32 v0, v9, v10
	v_mul_f32_e32 v0, s26, v0
	v_add_u32_e32 v60, s15, v60
	s_waitcnt vmcnt(5)
	v_fma_mixlo_f16 v9, s27, v0, v19 op_sel_hi:[0,0,1]
	v_lshl_add_u64 v[0:1], v[60:61], 1, s[6:7]
	global_store_short v[0:1], v9, off
	s_and_saveexec_b64 s[24:25], vcc
	s_cbranch_execz .LBB351_44
; %bb.43:                               ;   in Loop: Header=BB351_13 Depth=1
	s_waitcnt lgkmcnt(2)
	v_add_f32_e32 v0, v6, v7
	v_mul_f32_e32 v0, s26, v0
	s_waitcnt vmcnt(5)
	v_fma_mixlo_f16 v6, s27, v0, v16 op_sel_hi:[0,0,1]
	v_add_u32_e32 v0, s31, v8
	v_mov_b32_e32 v1, v61
	v_lshl_add_u64 v[0:1], v[0:1], 1, s[6:7]
	global_store_short v[0:1], v6, off
.LBB351_44:                             ;   in Loop: Header=BB351_13 Depth=1
	s_or_b64 exec, exec, s[24:25]
	s_waitcnt lgkmcnt(1)
	v_add_f32_e32 v0, v4, v5
	v_mul_f32_e32 v0, s26, v0
	v_add_u32_e32 v60, s15, v60
	s_waitcnt vmcnt(4)
	v_fma_mixlo_f16 v4, s27, v0, v15 op_sel_hi:[0,0,1]
	v_lshl_add_u64 v[0:1], v[60:61], 1, s[6:7]
	global_store_short v[0:1], v4, off
	s_and_b64 exec, exec, vcc
	s_cbranch_execz .LBB351_12
; %bb.45:                               ;   in Loop: Header=BB351_13 Depth=1
	s_waitcnt lgkmcnt(0)
	v_add_f32_e32 v0, v2, v3
	v_mul_f32_e32 v0, s26, v0
	v_add_u32_e32 v60, s19, v8
	s_waitcnt vmcnt(4)
	v_fma_mixlo_f16 v2, s27, v0, v11 op_sel_hi:[0,0,1]
	v_lshl_add_u64 v[0:1], v[60:61], 1, s[6:7]
	global_store_short v[0:1], v2, off
	s_branch .LBB351_12
.LBB351_46:                             ;   in Loop: Header=BB351_13 Depth=1
                                        ; implicit-def: $vgpr11
                                        ; implicit-def: $vgpr15
                                        ; implicit-def: $vgpr16
                                        ; implicit-def: $vgpr19
                                        ; implicit-def: $vgpr20
                                        ; implicit-def: $vgpr23
                                        ; implicit-def: $vgpr24
                                        ; implicit-def: $vgpr0
                                        ; implicit-def: $vgpr8
	s_branch .LBB351_37
.LBB351_47:
	s_endpgm
	.section	.rodata,"a",@progbits
	.p2align	6, 0x0
	.amdhsa_kernel _Z13wvSplitKQ_hf_I6__halfN3c1013Float8_e4m3fnELi32ELi2ELi16ELi16ELi1ELi4EEviiiiiiPKT0_S5_PKT_PS6_PKfSB_ii
		.amdhsa_group_segment_fixed_size 65536
		.amdhsa_private_segment_fixed_size 0
		.amdhsa_kernarg_size 80
		.amdhsa_user_sgpr_count 2
		.amdhsa_user_sgpr_dispatch_ptr 0
		.amdhsa_user_sgpr_queue_ptr 0
		.amdhsa_user_sgpr_kernarg_segment_ptr 1
		.amdhsa_user_sgpr_dispatch_id 0
		.amdhsa_user_sgpr_kernarg_preload_length 0
		.amdhsa_user_sgpr_kernarg_preload_offset 0
		.amdhsa_user_sgpr_private_segment_size 0
		.amdhsa_uses_dynamic_stack 0
		.amdhsa_enable_private_segment 0
		.amdhsa_system_sgpr_workgroup_id_x 1
		.amdhsa_system_sgpr_workgroup_id_y 0
		.amdhsa_system_sgpr_workgroup_id_z 0
		.amdhsa_system_sgpr_workgroup_info 0
		.amdhsa_system_vgpr_workitem_id 1
		.amdhsa_next_free_vgpr 72
		.amdhsa_next_free_sgpr 37
		.amdhsa_accum_offset 72
		.amdhsa_reserve_vcc 1
		.amdhsa_float_round_mode_32 0
		.amdhsa_float_round_mode_16_64 0
		.amdhsa_float_denorm_mode_32 3
		.amdhsa_float_denorm_mode_16_64 3
		.amdhsa_dx10_clamp 1
		.amdhsa_ieee_mode 1
		.amdhsa_fp16_overflow 0
		.amdhsa_tg_split 0
		.amdhsa_exception_fp_ieee_invalid_op 0
		.amdhsa_exception_fp_denorm_src 0
		.amdhsa_exception_fp_ieee_div_zero 0
		.amdhsa_exception_fp_ieee_overflow 0
		.amdhsa_exception_fp_ieee_underflow 0
		.amdhsa_exception_fp_ieee_inexact 0
		.amdhsa_exception_int_div_zero 0
	.end_amdhsa_kernel
	.section	.text._Z13wvSplitKQ_hf_I6__halfN3c1013Float8_e4m3fnELi32ELi2ELi16ELi16ELi1ELi4EEviiiiiiPKT0_S5_PKT_PS6_PKfSB_ii,"axG",@progbits,_Z13wvSplitKQ_hf_I6__halfN3c1013Float8_e4m3fnELi32ELi2ELi16ELi16ELi1ELi4EEviiiiiiPKT0_S5_PKT_PS6_PKfSB_ii,comdat
.Lfunc_end351:
	.size	_Z13wvSplitKQ_hf_I6__halfN3c1013Float8_e4m3fnELi32ELi2ELi16ELi16ELi1ELi4EEviiiiiiPKT0_S5_PKT_PS6_PKfSB_ii, .Lfunc_end351-_Z13wvSplitKQ_hf_I6__halfN3c1013Float8_e4m3fnELi32ELi2ELi16ELi16ELi1ELi4EEviiiiiiPKT0_S5_PKT_PS6_PKfSB_ii
                                        ; -- End function
	.section	.AMDGPU.csdata,"",@progbits
; Kernel info:
; codeLenInByte = 3124
; NumSgprs: 43
; NumVgprs: 72
; NumAgprs: 0
; TotalNumVgprs: 72
; ScratchSize: 0
; MemoryBound: 1
; FloatMode: 240
; IeeeMode: 1
; LDSByteSize: 65536 bytes/workgroup (compile time only)
; SGPRBlocks: 5
; VGPRBlocks: 8
; NumSGPRsForWavesPerEU: 43
; NumVGPRsForWavesPerEU: 72
; AccumOffset: 72
; Occupancy: 2
; WaveLimiterHint : 0
; COMPUTE_PGM_RSRC2:SCRATCH_EN: 0
; COMPUTE_PGM_RSRC2:USER_SGPR: 2
; COMPUTE_PGM_RSRC2:TRAP_HANDLER: 0
; COMPUTE_PGM_RSRC2:TGID_X_EN: 1
; COMPUTE_PGM_RSRC2:TGID_Y_EN: 0
; COMPUTE_PGM_RSRC2:TGID_Z_EN: 0
; COMPUTE_PGM_RSRC2:TIDIG_COMP_CNT: 1
; COMPUTE_PGM_RSRC3_GFX90A:ACCUM_OFFSET: 17
; COMPUTE_PGM_RSRC3_GFX90A:TG_SPLIT: 0
	.section	.text._Z17wvSplitKQ_hf_sml_I6__halfN3c1013Float8_e4m3fnELi64ELi2ELi16ELi16ELi1ELi4EEviiiiiiPKT0_S5_PKT_PS6_PKfSB_ii,"axG",@progbits,_Z17wvSplitKQ_hf_sml_I6__halfN3c1013Float8_e4m3fnELi64ELi2ELi16ELi16ELi1ELi4EEviiiiiiPKT0_S5_PKT_PS6_PKfSB_ii,comdat
	.protected	_Z17wvSplitKQ_hf_sml_I6__halfN3c1013Float8_e4m3fnELi64ELi2ELi16ELi16ELi1ELi4EEviiiiiiPKT0_S5_PKT_PS6_PKfSB_ii ; -- Begin function _Z17wvSplitKQ_hf_sml_I6__halfN3c1013Float8_e4m3fnELi64ELi2ELi16ELi16ELi1ELi4EEviiiiiiPKT0_S5_PKT_PS6_PKfSB_ii
	.globl	_Z17wvSplitKQ_hf_sml_I6__halfN3c1013Float8_e4m3fnELi64ELi2ELi16ELi16ELi1ELi4EEviiiiiiPKT0_S5_PKT_PS6_PKfSB_ii
	.p2align	8
	.type	_Z17wvSplitKQ_hf_sml_I6__halfN3c1013Float8_e4m3fnELi64ELi2ELi16ELi16ELi1ELi4EEviiiiiiPKT0_S5_PKT_PS6_PKfSB_ii,@function
_Z17wvSplitKQ_hf_sml_I6__halfN3c1013Float8_e4m3fnELi64ELi2ELi16ELi16ELi1ELi4EEviiiiiiPKT0_S5_PKT_PS6_PKfSB_ii: ; @_Z17wvSplitKQ_hf_sml_I6__halfN3c1013Float8_e4m3fnELi64ELi2ELi16ELi16ELi1ELi4EEviiiiiiPKT0_S5_PKT_PS6_PKfSB_ii
; %bb.0:
	s_load_dwordx4 s[4:7], s[0:1], 0x0
	s_load_dwordx2 s[12:13], s[0:1], 0x10
	s_load_dwordx4 s[8:11], s[0:1], 0x38
	s_load_dwordx2 s[14:15], s[0:1], 0x28
	v_and_b32_e32 v2, 0x3ff, v0
	v_bfe_u32 v3, v0, 10, 10
	v_lshlrev_b32_e32 v56, 4, v2
	s_waitcnt lgkmcnt(0)
	s_lshl_b32 s3, s5, 2
	v_lshl_add_u32 v4, v3, 10, v56
	s_min_u32 s3, s3, 0x10000
	v_cmp_gt_u32_e32 vcc, s3, v4
	s_and_saveexec_b64 s[16:17], vcc
	s_cbranch_execz .LBB352_3
; %bb.1:
	s_load_dwordx2 s[18:19], s[0:1], 0x20
	v_mov_b32_e32 v1, 0
	v_lshlrev_b32_e32 v0, 10, v3
	v_mov_b32_e32 v57, v1
	v_lshl_add_u64 v[0:1], v[0:1], 0, v[56:57]
	s_waitcnt lgkmcnt(0)
	v_lshl_add_u64 v[0:1], s[18:19], 0, v[0:1]
	s_mov_b64 s[18:19], 0
	s_mov_b64 s[20:21], 0x4000
.LBB352_2:                              ; =>This Inner Loop Header: Depth=1
	global_load_dwordx4 v[6:9], v[0:1], off
	v_lshl_add_u64 v[0:1], v[0:1], 0, s[20:21]
	s_waitcnt vmcnt(0)
	ds_write_b128 v4, v[6:9]
	v_add_u32_e32 v4, 0x4000, v4
	v_cmp_le_u32_e32 vcc, s3, v4
	s_or_b64 s[18:19], vcc, s[18:19]
	s_andn2_b64 exec, exec, s[18:19]
	s_cbranch_execnz .LBB352_2
.LBB352_3:
	s_or_b64 exec, exec, s[16:17]
	s_load_dwordx2 s[20:21], s[0:1], 0x48
	;;#ASMSTART
	s_waitcnt vmcnt(0)
	;;#ASMEND
	s_waitcnt lgkmcnt(0)
	s_barrier
	v_cmp_gt_u32_e32 vcc, s20, v3
	s_and_saveexec_b64 s[16:17], vcc
	s_cbranch_execz .LBB352_25
; %bb.4:
	s_mul_i32 s2, s2, s20
	v_add_lshl_u32 v58, s2, v3, 1
	v_cmp_gt_u32_e32 vcc, s7, v58
	s_and_b64 exec, exec, vcc
	s_cbranch_execz .LBB352_25
; %bb.5:
	v_mbcnt_lo_u32_b32 v0, -1, 0
	v_mbcnt_hi_u32_b32 v0, -1, v0
	s_cmp_lg_u32 s4, 0
	v_and_b32_e32 v1, 63, v0
	s_cselect_b64 s[2:3], -1, 0
	s_add_i32 s26, s4, -16
	s_add_i32 s27, s7, -1
	v_cmp_lt_u32_e32 vcc, 43, v1
	s_mul_i32 s20, s20, s21
	s_cmp_lg_u64 s[14:15], 0
	v_cndmask_b32_e64 v3, 20, 0, vcc
	v_cmp_lt_u32_e32 vcc, 23, v1
	s_load_dword s24, s[8:9], 0x0
	s_load_dword s25, s[10:11], 0x0
	s_load_dwordx2 s[16:17], s[0:1], 0x18
	s_load_dwordx2 s[18:19], s[0:1], 0x30
	v_cndmask_b32_e64 v1, 40, 0, vcc
	s_cselect_b64 s[10:11], -1, 0
	s_lshl_b32 s28, s20, 1
	s_abs_i32 s20, s13
	v_add_lshl_u32 v57, v3, v0, 2
	v_add_lshl_u32 v68, v1, v0, 2
	v_cvt_f32_u32_e32 v0, s12
	v_cvt_f32_u32_e32 v1, s20
	s_sub_i32 s21, 0, s12
	v_cmp_eq_u32_e64 s[0:1], 0, v2
	v_rcp_iflag_f32_e32 v0, v0
	v_rcp_iflag_f32_e32 v1, v1
	s_lshl_b32 s29, s7, 1
	s_mov_b64 s[8:9], 0
	v_mul_f32_e32 v0, 0x4f7ffffe, v0
	v_mul_f32_e32 v1, 0x4f7ffffe, v1
	v_cvt_u32_f32_e32 v0, v0
	v_cvt_u32_f32_e32 v1, v1
	s_mul_i32 s13, s7, 3
	v_mov_b32_e32 v61, 0
	v_mul_lo_u32 v2, s21, v0
	s_sub_i32 s21, 0, s20
	v_readfirstlane_b32 s22, v1
	s_mul_i32 s21, s21, s22
	s_mul_hi_u32 s21, s22, s21
	s_add_i32 s22, s22, s21
	s_sub_i32 s21, 1, s20
	s_cmp_lt_u32 s20, 2
	s_cselect_b32 s21, s21, 1
	s_sub_i32 s23, s21, s20
	s_cmp_ge_u32 s21, s20
	s_cselect_b32 s30, s23, s21
	s_lshr_b32 s21, s22, 31
	s_mul_i32 s21, s21, s20
	s_sub_i32 s21, 2, s21
	s_sub_i32 s23, s21, s20
	s_cmp_ge_u32 s21, s20
	s_cselect_b32 s21, s23, s21
	s_sub_i32 s23, s21, s20
	s_cmp_ge_u32 s21, s20
	s_cselect_b32 s31, s23, s21
	s_mul_hi_u32 s21, s22, 3
	s_mul_i32 s21, s21, s20
	s_sub_i32 s21, 3, s21
	s_sub_i32 s22, s21, s20
	s_cmp_ge_u32 s21, s20
	s_cselect_b32 s21, s22, s21
	s_sub_i32 s22, s21, s20
	v_mul_hi_u32 v2, v0, v2
	s_cmp_ge_u32 s21, s20
	v_add_u32_e32 v69, v0, v2
	s_cselect_b32 s33, s22, s21
	v_mad_u64_u32 v[62:63], s[20:21], s5, 3, v[56:57]
	v_cndmask_b32_e64 v0, 0, 1, s[2:3]
	s_mul_i32 s30, s30, s12
	s_mul_i32 s31, s31, s12
	;; [unrolled: 1-line block ×3, first 2 shown]
	v_lshl_add_u32 v63, s5, 1, v56
	v_add_u32_e32 v70, s5, v56
	v_cmp_ne_u32_e64 s[2:3], 1, v0
	s_branch .LBB352_7
.LBB352_6:                              ;   in Loop: Header=BB352_7 Depth=1
	s_or_b64 exec, exec, s[20:21]
	v_add_u32_e32 v58, s28, v58
	v_cmp_le_u32_e32 vcc, s7, v58
	s_or_b64 s[8:9], vcc, s[8:9]
	s_andn2_b64 exec, exec, s[8:9]
	s_cbranch_execz .LBB352_25
.LBB352_7:                              ; =>This Loop Header: Depth=1
                                        ;     Child Loop BB352_10 Depth 2
	s_and_b64 vcc, exec, s[2:3]
	v_or_b32_e32 v71, 1, v58
	v_mov_b32_e32 v31, v61
	v_mov_b32_e32 v30, v61
	;; [unrolled: 1-line block ×9, first 2 shown]
	s_waitcnt lgkmcnt(0)
	v_mov_b32_e32 v22, v61
	v_mov_b32_e32 v21, v61
	;; [unrolled: 1-line block ×11, first 2 shown]
	s_waitcnt vmcnt(4)
	v_mov_b32_e32 v11, v61
	v_mov_b32_e32 v10, v61
	v_mov_b32_e32 v9, v61
	v_mov_b32_e32 v8, v61
	v_mov_b32_e32 v3, v61
	v_mov_b32_e32 v2, v61
	v_mov_b32_e32 v1, v61
	v_mov_b32_e32 v0, v61
	v_mov_b32_e32 v7, v61
	v_mov_b32_e32 v6, v61
	v_mov_b32_e32 v5, v61
	v_mov_b32_e32 v4, v61
	s_cbranch_vccnz .LBB352_12
; %bb.8:                                ;   in Loop: Header=BB352_7 Depth=1
	v_min_u32_e32 v0, s27, v58
	v_mul_lo_u32 v64, v0, s6
	v_or_b32_e32 v0, 1, v58
	v_min_u32_e32 v0, s27, v0
	v_mov_b32_e32 v4, 0
	v_mov_b32_e32 v65, v61
	v_mul_lo_u32 v66, v0, s6
	v_mov_b32_e32 v67, v61
	s_mov_b32 s5, 0
	v_mov_b32_e32 v5, v4
	v_mov_b32_e32 v6, v4
	;; [unrolled: 1-line block ×31, first 2 shown]
	s_branch .LBB352_10
.LBB352_9:                              ;   in Loop: Header=BB352_10 Depth=2
	s_or_b64 exec, exec, s[20:21]
	s_waitcnt vmcnt(1) lgkmcnt(3)
	v_mfma_f32_16x16x32_fp8_fp8 v[28:31], v[44:45], v[36:37], v[28:31]
	s_addk_i32 s5, 0x400
	s_cmp_ge_u32 s5, s4
	s_waitcnt vmcnt(0)
	v_mfma_f32_16x16x32_fp8_fp8 v[24:27], v[44:45], v[32:33], v[24:27]
	s_waitcnt lgkmcnt(2)
	v_mfma_f32_16x16x32_fp8_fp8 v[20:23], v[48:49], v[36:37], v[20:23]
	v_mfma_f32_16x16x32_fp8_fp8 v[16:19], v[48:49], v[32:33], v[16:19]
	s_waitcnt lgkmcnt(1)
	v_mfma_f32_16x16x32_fp8_fp8 v[12:15], v[52:53], v[36:37], v[12:15]
	;; [unrolled: 3-line block ×3, first 2 shown]
	v_mfma_f32_16x16x32_fp8_fp8 v[4:7], v[40:41], v[32:33], v[4:7]
	v_mfma_f32_16x16x32_fp8_fp8 v[28:31], v[46:47], v[38:39], v[28:31]
	;; [unrolled: 1-line block ×9, first 2 shown]
	s_cbranch_scc1 .LBB352_12
.LBB352_10:                             ;   Parent Loop BB352_7 Depth=1
                                        ; =>  This Inner Loop Header: Depth=2
	v_add_u32_e32 v59, s5, v56
	v_min_u32_e32 v60, s26, v59
	s_waitcnt lgkmcnt(0)
	v_lshl_add_u64 v[32:33], s[16:17], 0, v[60:61]
	v_lshl_add_u64 v[40:41], v[32:33], 0, v[64:65]
	;; [unrolled: 1-line block ×3, first 2 shown]
	global_load_dwordx4 v[36:39], v[40:41], off nt
	global_load_dwordx4 v[32:35], v[42:43], off nt
	v_mov_b64_e32 v[44:45], 0
	v_cmp_gt_u32_e32 vcc, s4, v59
	v_mov_b64_e32 v[46:47], v[44:45]
	v_mov_b64_e32 v[48:49], v[44:45]
	;; [unrolled: 1-line block ×7, first 2 shown]
	s_and_saveexec_b64 s[20:21], vcc
	s_cbranch_execz .LBB352_9
; %bb.11:                               ;   in Loop: Header=BB352_10 Depth=2
	v_add_u32_e32 v40, s5, v70
	ds_read_b128 v[44:47], v59
	ds_read_b128 v[48:51], v40
	v_add_u32_e32 v40, s5, v63
	v_add_u32_e32 v41, s5, v62
	ds_read_b128 v[52:55], v40
	ds_read_b128 v[40:43], v41
	s_branch .LBB352_9
.LBB352_12:                             ;   in Loop: Header=BB352_7 Depth=1
	v_cvt_i32_f32_e32 v29, v29
	v_cvt_i32_f32_e32 v30, v30
	;; [unrolled: 1-line block ×4, first 2 shown]
	v_cvt_f32_i32_dpp v29, v29 row_shl:1 row_mask:0xf bank_mask:0xf bound_ctrl:1
	v_cvt_f32_i32_dpp v30, v30 row_shl:2 row_mask:0xf bank_mask:0xf bound_ctrl:1
	v_cvt_i32_f32_e32 v26, v26
	v_cvt_i32_f32_e32 v27, v27
	v_cvt_f32_i32_dpp v31, v31 row_shl:3 row_mask:0xf bank_mask:0xf bound_ctrl:1
	v_add_f32_e32 v28, v28, v29
	v_add_f32_e32 v28, v28, v30
	v_cvt_f32_i32_dpp v30, v25 row_shl:1 row_mask:0xf bank_mask:0xf bound_ctrl:1
	v_cvt_f32_i32_dpp v26, v26 row_shl:2 row_mask:0xf bank_mask:0xf bound_ctrl:1
	;; [unrolled: 1-line block ×3, first 2 shown]
	v_add_f32_e32 v28, v28, v31
	ds_bpermute_b32 v29, v57, v28
	v_add_f32_e32 v24, v24, v30
	v_add_f32_e32 v24, v24, v26
	v_cvt_i32_f32_e32 v21, v21
	v_add_f32_e32 v24, v24, v27
	v_cvt_i32_f32_e32 v27, v22
	v_cvt_i32_f32_e32 v23, v23
	s_waitcnt lgkmcnt(0)
	v_add_f32_e32 v25, v28, v29
	v_cvt_f32_i32_dpp v28, v21 row_shl:1 row_mask:0xf bank_mask:0xf bound_ctrl:1
	v_cvt_f32_i32_dpp v27, v27 row_shl:2 row_mask:0xf bank_mask:0xf bound_ctrl:1
	;; [unrolled: 1-line block ×3, first 2 shown]
	ds_bpermute_b32 v26, v57, v24
	v_add_f32_e32 v20, v20, v28
	v_add_f32_e32 v20, v20, v27
	v_cvt_i32_f32_e32 v17, v17
	v_cvt_i32_f32_e32 v13, v13
	v_add_f32_e32 v20, v20, v23
	v_cvt_i32_f32_e32 v23, v18
	v_cvt_i32_f32_e32 v14, v14
	;; [unrolled: 1-line block ×4, first 2 shown]
	s_waitcnt lgkmcnt(0)
	v_add_f32_e32 v21, v24, v26
	v_cvt_f32_i32_dpp v26, v17 row_shl:1 row_mask:0xf bank_mask:0xf bound_ctrl:1
	v_cvt_f32_i32_dpp v13, v13 row_shl:1 row_mask:0xf bank_mask:0xf bound_ctrl:1
	;; [unrolled: 1-line block ×4, first 2 shown]
	ds_bpermute_b32 v24, v57, v20
	v_cvt_f32_i32_dpp v19, v19 row_shl:3 row_mask:0xf bank_mask:0xf bound_ctrl:1
	v_cvt_f32_i32_dpp v15, v15 row_shl:3 row_mask:0xf bank_mask:0xf bound_ctrl:1
	v_cvt_i32_f32_e32 v1, v1
	v_cvt_i32_f32_e32 v2, v2
	v_add_f32_e32 v16, v16, v26
	v_add_f32_e32 v12, v12, v13
	;; [unrolled: 1-line block ×6, first 2 shown]
	v_cvt_f32_i32_dpp v1, v1 row_shl:1 row_mask:0xf bank_mask:0xf bound_ctrl:1
	s_waitcnt lgkmcnt(0)
	v_add_f32_e32 v17, v20, v24
	ds_bpermute_b32 v19, v57, v16
	ds_bpermute_b32 v20, v57, v15
	v_cvt_f32_i32_dpp v2, v2 row_shl:2 row_mask:0xf bank_mask:0xf bound_ctrl:1
	v_cvt_i32_f32_e32 v3, v3
	v_cvt_i32_f32_e32 v23, v9
	v_add_f32_e32 v0, v0, v1
	v_add_f32_e32 v0, v0, v2
	v_cvt_f32_i32_dpp v1, v3 row_shl:3 row_mask:0xf bank_mask:0xf bound_ctrl:1
	v_cvt_i32_f32_e32 v2, v5
	s_waitcnt lgkmcnt(1)
	v_add_f32_e32 v12, v16, v19
	s_waitcnt lgkmcnt(0)
	v_add_f32_e32 v9, v15, v20
	v_cvt_f32_i32_dpp v15, v23 row_shl:1 row_mask:0xf bank_mask:0xf bound_ctrl:1
	v_cvt_i32_f32_e32 v16, v10
	v_cvt_i32_f32_e32 v3, v6
	;; [unrolled: 1-line block ×4, first 2 shown]
	v_add_f32_e32 v0, v0, v1
	v_cvt_f32_i32_dpp v1, v2 row_shl:1 row_mask:0xf bank_mask:0xf bound_ctrl:1
	v_add_f32_e32 v8, v8, v15
	v_cvt_f32_i32_dpp v15, v16 row_shl:2 row_mask:0xf bank_mask:0xf bound_ctrl:1
	v_cvt_f32_i32_dpp v2, v3 row_shl:2 row_mask:0xf bank_mask:0xf bound_ctrl:1
	;; [unrolled: 1-line block ×4, first 2 shown]
	v_add_f32_e32 v1, v4, v1
	v_add_f32_e32 v8, v8, v15
	;; [unrolled: 1-line block ×5, first 2 shown]
	ds_bpermute_b32 v11, v57, v8
	ds_bpermute_b32 v5, v57, v0
	;; [unrolled: 1-line block ×5, first 2 shown]
	s_waitcnt lgkmcnt(4)
	v_add_f32_e32 v6, v8, v11
	s_waitcnt lgkmcnt(3)
	v_add_f32_e32 v4, v0, v5
	s_waitcnt lgkmcnt(2)
	v_add_f32_e32 v2, v1, v2
	ds_bpermute_b32 v14, v68, v17
	ds_bpermute_b32 v13, v68, v12
	;; [unrolled: 1-line block ×6, first 2 shown]
	s_and_saveexec_b64 s[20:21], s[0:1]
	s_cbranch_execz .LBB352_6
; %bb.13:                               ;   in Loop: Header=BB352_7 Depth=1
	s_and_b64 vcc, exec, s[10:11]
	s_cbranch_vccz .LBB352_24
; %bb.14:                               ;   in Loop: Header=BB352_7 Depth=1
	v_mul_hi_u32 v0, v58, v69
	v_mul_lo_u32 v0, v0, s12
	v_sub_u32_e32 v0, v58, v0
	v_subrev_u32_e32 v1, s12, v0
	v_cmp_le_u32_e32 vcc, s12, v0
	v_or_b32_e32 v8, 1, v58
	v_mov_b32_e32 v31, v61
	v_cndmask_b32_e32 v0, v0, v1, vcc
	v_subrev_u32_e32 v1, s12, v0
	v_cmp_le_u32_e32 vcc, s12, v0
	v_mov_b32_e32 v33, v61
	v_mov_b32_e32 v35, v61
	v_cndmask_b32_e32 v60, v0, v1, vcc
	v_mul_hi_u32 v0, v8, v69
	v_mul_lo_u32 v0, v0, s12
	v_sub_u32_e32 v0, v8, v0
	v_subrev_u32_e32 v1, s12, v0
	v_cmp_le_u32_e32 vcc, s12, v0
	v_lshl_add_u64 v[26:27], v[60:61], 1, s[14:15]
	v_add_u32_e32 v30, s30, v60
	v_cndmask_b32_e32 v0, v0, v1, vcc
	v_subrev_u32_e32 v1, s12, v0
	v_cmp_le_u32_e32 vcc, s12, v0
	v_add_u32_e32 v34, s31, v60
	v_add_u32_e32 v60, s33, v60
	v_cndmask_b32_e32 v0, v0, v1, vcc
	v_mov_b32_e32 v1, v61
	v_add_u32_e32 v32, s30, v0
	v_add_u32_e32 v36, s31, v0
	v_mov_b32_e32 v37, v61
	v_lshl_add_u64 v[38:39], v[60:61], 1, s[14:15]
	v_add_u32_e32 v60, s33, v0
	v_lshl_add_u64 v[28:29], v[0:1], 1, s[14:15]
	v_lshl_add_u64 v[30:31], v[30:31], 1, s[14:15]
	;; [unrolled: 1-line block ×6, first 2 shown]
	global_load_ushort v0, v[26:27], off
	global_load_ushort v24, v[28:29], off
	;; [unrolled: 1-line block ×8, first 2 shown]
	v_mov_b32_e32 v59, v61
	s_cbranch_execnz .LBB352_16
.LBB352_15:                             ;   in Loop: Header=BB352_7 Depth=1
	v_mov_b32_e32 v59, v61
	s_waitcnt vmcnt(7)
	v_mov_b32_e32 v0, 0
	v_mov_b32_e32 v8, v71
	s_waitcnt vmcnt(6)
	v_mov_b32_e32 v24, 0
	s_waitcnt vmcnt(5)
	;; [unrolled: 2-line block ×7, first 2 shown]
	v_mov_b32_e32 v11, 0
.LBB352_16:                             ;   in Loop: Header=BB352_7 Depth=1
	s_waitcnt lgkmcnt(7)
	v_add_f32_e32 v1, v25, v22
	v_mul_f32_e32 v1, s24, v1
	s_waitcnt vmcnt(7)
	v_fma_mixlo_f16 v22, s25, v1, v0 op_sel_hi:[0,0,1]
	v_lshl_add_u64 v[0:1], v[58:59], 1, s[18:19]
	v_cmp_gt_u32_e32 vcc, s7, v8
	global_store_short v[0:1], v22, off
	s_and_saveexec_b64 s[22:23], vcc
	s_cbranch_execz .LBB352_18
; %bb.17:                               ;   in Loop: Header=BB352_7 Depth=1
	s_waitcnt lgkmcnt(6)
	v_add_f32_e32 v18, v21, v18
	v_mul_f32_e32 v18, s24, v18
	s_waitcnt vmcnt(7)
	v_fma_mixlo_f16 v18, s25, v18, v24 op_sel_hi:[0,0,1]
	global_store_short v[0:1], v18, off offset:2
.LBB352_18:                             ;   in Loop: Header=BB352_7 Depth=1
	s_or_b64 exec, exec, s[22:23]
	s_waitcnt lgkmcnt(5)
	v_add_f32_e32 v0, v17, v14
	v_mul_f32_e32 v0, s24, v0
	v_add_u32_e32 v60, s7, v58
	s_waitcnt vmcnt(6)
	v_fma_mixlo_f16 v14, s25, v0, v23 op_sel_hi:[0,0,1]
	v_lshl_add_u64 v[0:1], v[60:61], 1, s[18:19]
	global_store_short v[0:1], v14, off
	s_and_saveexec_b64 s[22:23], vcc
	s_cbranch_execz .LBB352_20
; %bb.19:                               ;   in Loop: Header=BB352_7 Depth=1
	s_waitcnt lgkmcnt(4)
	v_add_f32_e32 v0, v12, v13
	v_mul_f32_e32 v0, s24, v0
	s_waitcnt vmcnt(6)
	v_fma_mixlo_f16 v12, s25, v0, v20 op_sel_hi:[0,0,1]
	v_add_u32_e32 v0, s7, v8
	v_mov_b32_e32 v1, v61
	v_lshl_add_u64 v[0:1], v[0:1], 1, s[18:19]
	global_store_short v[0:1], v12, off
.LBB352_20:                             ;   in Loop: Header=BB352_7 Depth=1
	s_or_b64 exec, exec, s[22:23]
	s_waitcnt lgkmcnt(3)
	v_add_f32_e32 v0, v9, v10
	v_mul_f32_e32 v0, s24, v0
	v_add_u32_e32 v60, s7, v60
	s_waitcnt vmcnt(5)
	v_fma_mixlo_f16 v9, s25, v0, v19 op_sel_hi:[0,0,1]
	v_lshl_add_u64 v[0:1], v[60:61], 1, s[18:19]
	global_store_short v[0:1], v9, off
	s_and_saveexec_b64 s[22:23], vcc
	s_cbranch_execz .LBB352_22
; %bb.21:                               ;   in Loop: Header=BB352_7 Depth=1
	s_waitcnt lgkmcnt(2)
	v_add_f32_e32 v0, v6, v7
	v_mul_f32_e32 v0, s24, v0
	s_waitcnt vmcnt(5)
	v_fma_mixlo_f16 v6, s25, v0, v16 op_sel_hi:[0,0,1]
	v_add_u32_e32 v0, s29, v8
	v_mov_b32_e32 v1, v61
	v_lshl_add_u64 v[0:1], v[0:1], 1, s[18:19]
	global_store_short v[0:1], v6, off
.LBB352_22:                             ;   in Loop: Header=BB352_7 Depth=1
	s_or_b64 exec, exec, s[22:23]
	s_waitcnt lgkmcnt(1)
	v_add_f32_e32 v0, v4, v5
	v_mul_f32_e32 v0, s24, v0
	v_add_u32_e32 v60, s7, v60
	s_waitcnt vmcnt(4)
	v_fma_mixlo_f16 v4, s25, v0, v15 op_sel_hi:[0,0,1]
	v_lshl_add_u64 v[0:1], v[60:61], 1, s[18:19]
	global_store_short v[0:1], v4, off
	s_and_b64 exec, exec, vcc
	s_cbranch_execz .LBB352_6
; %bb.23:                               ;   in Loop: Header=BB352_7 Depth=1
	s_waitcnt lgkmcnt(0)
	v_add_f32_e32 v0, v2, v3
	v_mul_f32_e32 v0, s24, v0
	v_add_u32_e32 v60, s13, v8
	s_waitcnt vmcnt(4)
	v_fma_mixlo_f16 v2, s25, v0, v11 op_sel_hi:[0,0,1]
	v_lshl_add_u64 v[0:1], v[60:61], 1, s[18:19]
	global_store_short v[0:1], v2, off
	s_branch .LBB352_6
.LBB352_24:                             ;   in Loop: Header=BB352_7 Depth=1
                                        ; implicit-def: $vgpr11
                                        ; implicit-def: $vgpr15
                                        ; implicit-def: $vgpr16
                                        ; implicit-def: $vgpr19
                                        ; implicit-def: $vgpr20
                                        ; implicit-def: $vgpr23
                                        ; implicit-def: $vgpr24
                                        ; implicit-def: $vgpr0
                                        ; implicit-def: $vgpr8
	s_branch .LBB352_15
.LBB352_25:
	s_endpgm
	.section	.rodata,"a",@progbits
	.p2align	6, 0x0
	.amdhsa_kernel _Z17wvSplitKQ_hf_sml_I6__halfN3c1013Float8_e4m3fnELi64ELi2ELi16ELi16ELi1ELi4EEviiiiiiPKT0_S5_PKT_PS6_PKfSB_ii
		.amdhsa_group_segment_fixed_size 65536
		.amdhsa_private_segment_fixed_size 0
		.amdhsa_kernarg_size 80
		.amdhsa_user_sgpr_count 2
		.amdhsa_user_sgpr_dispatch_ptr 0
		.amdhsa_user_sgpr_queue_ptr 0
		.amdhsa_user_sgpr_kernarg_segment_ptr 1
		.amdhsa_user_sgpr_dispatch_id 0
		.amdhsa_user_sgpr_kernarg_preload_length 0
		.amdhsa_user_sgpr_kernarg_preload_offset 0
		.amdhsa_user_sgpr_private_segment_size 0
		.amdhsa_uses_dynamic_stack 0
		.amdhsa_enable_private_segment 0
		.amdhsa_system_sgpr_workgroup_id_x 1
		.amdhsa_system_sgpr_workgroup_id_y 0
		.amdhsa_system_sgpr_workgroup_id_z 0
		.amdhsa_system_sgpr_workgroup_info 0
		.amdhsa_system_vgpr_workitem_id 1
		.amdhsa_next_free_vgpr 72
		.amdhsa_next_free_sgpr 34
		.amdhsa_accum_offset 72
		.amdhsa_reserve_vcc 1
		.amdhsa_float_round_mode_32 0
		.amdhsa_float_round_mode_16_64 0
		.amdhsa_float_denorm_mode_32 3
		.amdhsa_float_denorm_mode_16_64 3
		.amdhsa_dx10_clamp 1
		.amdhsa_ieee_mode 1
		.amdhsa_fp16_overflow 0
		.amdhsa_tg_split 0
		.amdhsa_exception_fp_ieee_invalid_op 0
		.amdhsa_exception_fp_denorm_src 0
		.amdhsa_exception_fp_ieee_div_zero 0
		.amdhsa_exception_fp_ieee_overflow 0
		.amdhsa_exception_fp_ieee_underflow 0
		.amdhsa_exception_fp_ieee_inexact 0
		.amdhsa_exception_int_div_zero 0
	.end_amdhsa_kernel
	.section	.text._Z17wvSplitKQ_hf_sml_I6__halfN3c1013Float8_e4m3fnELi64ELi2ELi16ELi16ELi1ELi4EEviiiiiiPKT0_S5_PKT_PS6_PKfSB_ii,"axG",@progbits,_Z17wvSplitKQ_hf_sml_I6__halfN3c1013Float8_e4m3fnELi64ELi2ELi16ELi16ELi1ELi4EEviiiiiiPKT0_S5_PKT_PS6_PKfSB_ii,comdat
.Lfunc_end352:
	.size	_Z17wvSplitKQ_hf_sml_I6__halfN3c1013Float8_e4m3fnELi64ELi2ELi16ELi16ELi1ELi4EEviiiiiiPKT0_S5_PKT_PS6_PKfSB_ii, .Lfunc_end352-_Z17wvSplitKQ_hf_sml_I6__halfN3c1013Float8_e4m3fnELi64ELi2ELi16ELi16ELi1ELi4EEviiiiiiPKT0_S5_PKT_PS6_PKfSB_ii
                                        ; -- End function
	.section	.AMDGPU.csdata,"",@progbits
; Kernel info:
; codeLenInByte = 2632
; NumSgprs: 40
; NumVgprs: 72
; NumAgprs: 0
; TotalNumVgprs: 72
; ScratchSize: 0
; MemoryBound: 0
; FloatMode: 240
; IeeeMode: 1
; LDSByteSize: 65536 bytes/workgroup (compile time only)
; SGPRBlocks: 4
; VGPRBlocks: 8
; NumSGPRsForWavesPerEU: 40
; NumVGPRsForWavesPerEU: 72
; AccumOffset: 72
; Occupancy: 4
; WaveLimiterHint : 0
; COMPUTE_PGM_RSRC2:SCRATCH_EN: 0
; COMPUTE_PGM_RSRC2:USER_SGPR: 2
; COMPUTE_PGM_RSRC2:TRAP_HANDLER: 0
; COMPUTE_PGM_RSRC2:TGID_X_EN: 1
; COMPUTE_PGM_RSRC2:TGID_Y_EN: 0
; COMPUTE_PGM_RSRC2:TGID_Z_EN: 0
; COMPUTE_PGM_RSRC2:TIDIG_COMP_CNT: 1
; COMPUTE_PGM_RSRC3_GFX90A:ACCUM_OFFSET: 17
; COMPUTE_PGM_RSRC3_GFX90A:TG_SPLIT: 0
	.section	.text._Z13wvSplitKQ_hf_I6__halfN3c1013Float8_e4m3fnELi64ELi2ELi16ELi16ELi1ELi4EEviiiiiiPKT0_S5_PKT_PS6_PKfSB_ii,"axG",@progbits,_Z13wvSplitKQ_hf_I6__halfN3c1013Float8_e4m3fnELi64ELi2ELi16ELi16ELi1ELi4EEviiiiiiPKT0_S5_PKT_PS6_PKfSB_ii,comdat
	.protected	_Z13wvSplitKQ_hf_I6__halfN3c1013Float8_e4m3fnELi64ELi2ELi16ELi16ELi1ELi4EEviiiiiiPKT0_S5_PKT_PS6_PKfSB_ii ; -- Begin function _Z13wvSplitKQ_hf_I6__halfN3c1013Float8_e4m3fnELi64ELi2ELi16ELi16ELi1ELi4EEviiiiiiPKT0_S5_PKT_PS6_PKfSB_ii
	.globl	_Z13wvSplitKQ_hf_I6__halfN3c1013Float8_e4m3fnELi64ELi2ELi16ELi16ELi1ELi4EEviiiiiiPKT0_S5_PKT_PS6_PKfSB_ii
	.p2align	8
	.type	_Z13wvSplitKQ_hf_I6__halfN3c1013Float8_e4m3fnELi64ELi2ELi16ELi16ELi1ELi4EEviiiiiiPKT0_S5_PKT_PS6_PKfSB_ii,@function
_Z13wvSplitKQ_hf_I6__halfN3c1013Float8_e4m3fnELi64ELi2ELi16ELi16ELi1ELi4EEviiiiiiPKT0_S5_PKT_PS6_PKfSB_ii: ; @_Z13wvSplitKQ_hf_I6__halfN3c1013Float8_e4m3fnELi64ELi2ELi16ELi16ELi1ELi4EEviiiiiiPKT0_S5_PKT_PS6_PKfSB_ii
; %bb.0:
	s_load_dwordx4 s[4:7], s[0:1], 0x0
	s_load_dwordx2 s[16:17], s[0:1], 0x10
	s_load_dwordx4 s[12:15], s[0:1], 0x38
	s_load_dwordx4 s[8:11], s[0:1], 0x20
	v_and_b32_e32 v2, 0x3ff, v0
	v_bfe_u32 v3, v0, 10, 10
	v_lshlrev_b32_e32 v56, 4, v2
	s_waitcnt lgkmcnt(0)
	s_lshl_b32 s3, s5, 2
	v_lshl_add_u32 v4, v3, 10, v56
	s_min_u32 s3, s3, 0x10000
	v_cmp_gt_u32_e32 vcc, s3, v4
	s_and_saveexec_b64 s[18:19], vcc
	s_cbranch_execz .LBB353_3
; %bb.1:
	v_mov_b32_e32 v1, 0
	v_lshlrev_b32_e32 v0, 10, v3
	v_mov_b32_e32 v57, v1
	v_lshl_add_u64 v[0:1], v[0:1], 0, v[56:57]
	v_lshl_add_u64 v[0:1], s[8:9], 0, v[0:1]
	s_mov_b64 s[20:21], 0
	s_mov_b64 s[22:23], 0x4000
.LBB353_2:                              ; =>This Inner Loop Header: Depth=1
	global_load_dwordx4 v[6:9], v[0:1], off
	v_lshl_add_u64 v[0:1], v[0:1], 0, s[22:23]
	s_waitcnt vmcnt(0)
	ds_write_b128 v4, v[6:9]
	v_add_u32_e32 v4, 0x4000, v4
	v_cmp_le_u32_e32 vcc, s3, v4
	s_or_b64 s[20:21], vcc, s[20:21]
	s_andn2_b64 exec, exec, s[20:21]
	s_cbranch_execnz .LBB353_2
.LBB353_3:
	s_or_b64 exec, exec, s[18:19]
	s_load_dwordx2 s[22:23], s[0:1], 0x48
	;;#ASMSTART
	s_waitcnt vmcnt(0)
	;;#ASMEND
	s_waitcnt lgkmcnt(0)
	s_barrier
	v_cmp_gt_u32_e32 vcc, s22, v3
	s_and_saveexec_b64 s[18:19], vcc
	s_cbranch_execz .LBB353_41
; %bb.4:
	s_mul_i32 s2, s2, s22
	v_add_lshl_u32 v58, s2, v3, 1
	v_cmp_gt_u32_e32 vcc, s7, v58
	s_and_b64 exec, exec, vcc
	s_cbranch_execz .LBB353_41
; %bb.5:
	v_mbcnt_lo_u32_b32 v0, -1, 0
	v_mbcnt_hi_u32_b32 v0, -1, v0
	s_cmp_lg_u32 s4, 0
	v_and_b32_e32 v1, 63, v0
	s_cselect_b64 s[2:3], -1, 0
	s_add_i32 s28, s4, -16
	s_add_i32 s29, s7, -1
	v_cmp_lt_u32_e32 vcc, 43, v1
	s_mul_i32 s22, s22, s23
	s_cmp_lg_u64 s[10:11], 0
	v_cndmask_b32_e64 v3, 20, 0, vcc
	v_cmp_lt_u32_e32 vcc, 23, v1
	s_load_dword s26, s[12:13], 0x0
	s_load_dword s27, s[14:15], 0x0
	s_load_dwordx2 s[18:19], s[0:1], 0x18
	s_load_dwordx2 s[20:21], s[0:1], 0x30
	v_cndmask_b32_e64 v1, 40, 0, vcc
	s_cselect_b64 s[14:15], -1, 0
	s_lshl_b32 s30, s22, 1
	s_abs_i32 s22, s17
	v_add_lshl_u32 v57, v3, v0, 2
	v_add_lshl_u32 v68, v1, v0, 2
	v_cvt_f32_u32_e32 v0, s16
	v_cvt_f32_u32_e32 v1, s22
	s_sub_i32 s23, 0, s16
	v_cmp_eq_u32_e64 s[0:1], 0, v2
	v_rcp_iflag_f32_e32 v0, v0
	v_rcp_iflag_f32_e32 v1, v1
	s_lshl_b32 s31, s7, 1
	s_mov_b64 s[12:13], 0
	v_mul_f32_e32 v0, 0x4f7ffffe, v0
	v_mul_f32_e32 v1, 0x4f7ffffe, v1
	v_cvt_u32_f32_e32 v0, v0
	v_cvt_u32_f32_e32 v1, v1
	s_mul_i32 s17, s7, 3
	v_mov_b32_e32 v61, 0
	v_mul_lo_u32 v2, s23, v0
	s_sub_i32 s23, 0, s22
	v_readfirstlane_b32 s24, v1
	s_mul_i32 s23, s23, s24
	s_mul_hi_u32 s23, s24, s23
	s_add_i32 s24, s24, s23
	s_sub_i32 s23, 1, s22
	s_cmp_lt_u32 s22, 2
	s_cselect_b32 s23, s23, 1
	s_sub_i32 s25, s23, s22
	s_cmp_ge_u32 s23, s22
	s_cselect_b32 s33, s25, s23
	s_lshr_b32 s23, s24, 31
	s_mul_i32 s23, s23, s22
	s_sub_i32 s23, 2, s23
	s_sub_i32 s25, s23, s22
	s_cmp_ge_u32 s23, s22
	s_cselect_b32 s23, s25, s23
	s_sub_i32 s25, s23, s22
	s_cmp_ge_u32 s23, s22
	s_cselect_b32 s34, s25, s23
	s_mul_hi_u32 s23, s24, 3
	s_mul_i32 s23, s23, s22
	s_sub_i32 s23, 3, s23
	s_sub_i32 s24, s23, s22
	s_cmp_ge_u32 s23, s22
	s_cselect_b32 s23, s24, s23
	s_sub_i32 s24, s23, s22
	v_mul_hi_u32 v2, v0, v2
	s_cmp_ge_u32 s23, s22
	v_add_u32_e32 v69, v0, v2
	s_cselect_b32 s35, s24, s23
	v_mad_u64_u32 v[62:63], s[22:23], s5, 3, v[56:57]
	v_cndmask_b32_e64 v0, 0, 1, s[2:3]
	s_mul_i32 s33, s33, s16
	s_mul_i32 s34, s34, s16
	;; [unrolled: 1-line block ×3, first 2 shown]
	v_lshl_add_u32 v70, s5, 1, v56
	v_add_u32_e32 v63, s5, v56
	v_cmp_ne_u32_e64 s[2:3], 1, v0
	s_mov_b32 s5, 0xffff
	s_branch .LBB353_7
.LBB353_6:                              ;   in Loop: Header=BB353_7 Depth=1
	s_or_b64 exec, exec, s[22:23]
	v_add_u32_e32 v58, s30, v58
	v_cmp_le_u32_e32 vcc, s7, v58
	s_or_b64 s[12:13], vcc, s[12:13]
	s_andn2_b64 exec, exec, s[12:13]
	s_cbranch_execz .LBB353_41
.LBB353_7:                              ; =>This Loop Header: Depth=1
                                        ;     Child Loop BB353_11 Depth 2
	s_and_b64 vcc, exec, s[2:3]
	v_or_b32_e32 v71, 1, v58
	v_mov_b32_e32 v31, v61
	v_mov_b32_e32 v30, v61
	;; [unrolled: 1-line block ×9, first 2 shown]
	s_waitcnt lgkmcnt(0)
	v_mov_b32_e32 v22, v61
	v_mov_b32_e32 v21, v61
	;; [unrolled: 1-line block ×11, first 2 shown]
	s_waitcnt vmcnt(4)
	v_mov_b32_e32 v11, v61
	v_mov_b32_e32 v10, v61
	;; [unrolled: 1-line block ×12, first 2 shown]
	s_cbranch_vccnz .LBB353_28
; %bb.8:                                ;   in Loop: Header=BB353_7 Depth=1
	v_min_u32_e32 v0, s29, v58
	v_mul_lo_u32 v64, v0, s6
	v_or_b32_e32 v0, 1, v58
	v_min_u32_e32 v0, s29, v0
	v_mov_b32_e32 v4, 0
	v_mov_b32_e32 v65, v61
	v_mul_lo_u32 v66, v0, s6
	v_mov_b32_e32 v67, v61
	s_mov_b32 s36, 0
	v_mov_b32_e32 v5, v4
	v_mov_b32_e32 v6, v4
	;; [unrolled: 1-line block ×31, first 2 shown]
	s_branch .LBB353_11
.LBB353_9:                              ;   in Loop: Header=BB353_11 Depth=2
	s_or_b64 exec, exec, s[24:25]
.LBB353_10:                             ;   in Loop: Header=BB353_11 Depth=2
	s_or_b64 exec, exec, s[22:23]
	s_waitcnt vmcnt(0) lgkmcnt(0)
	v_mfma_f32_16x16x32_fp8_fp8 v[28:31], v[40:41], v[36:37], v[28:31]
	s_addk_i32 s36, 0x400
	s_cmp_ge_u32 s36, s4
	v_mfma_f32_16x16x32_fp8_fp8 v[24:27], v[40:41], v[32:33], v[24:27]
	v_mfma_f32_16x16x32_fp8_fp8 v[20:23], v[44:45], v[36:37], v[20:23]
	;; [unrolled: 1-line block ×15, first 2 shown]
	s_cbranch_scc1 .LBB353_28
.LBB353_11:                             ;   Parent Loop BB353_7 Depth=1
                                        ; =>  This Inner Loop Header: Depth=2
	v_add_u32_e32 v59, s36, v56
	v_min_u32_e32 v60, s28, v59
	s_waitcnt lgkmcnt(0)
	v_lshl_add_u64 v[32:33], s[18:19], 0, v[60:61]
	v_lshl_add_u64 v[40:41], v[32:33], 0, v[64:65]
	;; [unrolled: 1-line block ×3, first 2 shown]
	global_load_dwordx4 v[36:39], v[40:41], off nt
	global_load_dwordx4 v[32:35], v[42:43], off nt
	v_mov_b64_e32 v[54:55], 0
	v_cmp_gt_u32_e32 vcc, s4, v59
	v_mov_b64_e32 v[52:53], v[54:55]
	v_mov_b64_e32 v[50:51], v[54:55]
	;; [unrolled: 1-line block ×7, first 2 shown]
	s_and_saveexec_b64 s[22:23], vcc
	s_cbranch_execz .LBB353_10
; %bb.12:                               ;   in Loop: Header=BB353_11 Depth=2
	v_cmp_lt_u32_e32 vcc, s5, v59
                                        ; implicit-def: $vgpr42_vgpr43
	s_and_saveexec_b64 s[24:25], vcc
	s_xor_b64 s[24:25], exec, s[24:25]
	s_cbranch_execz .LBB353_14
; %bb.13:                               ;   in Loop: Header=BB353_11 Depth=2
	global_load_dwordx4 v[40:43], v59, s[8:9]
                                        ; implicit-def: $vgpr59
.LBB353_14:                             ;   in Loop: Header=BB353_11 Depth=2
	s_andn2_saveexec_b64 s[24:25], s[24:25]
	s_cbranch_execz .LBB353_16
; %bb.15:                               ;   in Loop: Header=BB353_11 Depth=2
	s_waitcnt vmcnt(0)
	ds_read_b128 v[40:43], v59
.LBB353_16:                             ;   in Loop: Header=BB353_11 Depth=2
	s_or_b64 exec, exec, s[24:25]
	v_add_u32_e32 v48, s36, v63
	v_cmp_lt_u32_e32 vcc, s5, v48
                                        ; implicit-def: $vgpr46_vgpr47
	s_and_saveexec_b64 s[24:25], vcc
	s_xor_b64 s[24:25], exec, s[24:25]
	s_cbranch_execz .LBB353_18
; %bb.17:                               ;   in Loop: Header=BB353_11 Depth=2
	global_load_dwordx4 v[44:47], v48, s[8:9]
                                        ; implicit-def: $vgpr48
.LBB353_18:                             ;   in Loop: Header=BB353_11 Depth=2
	s_andn2_saveexec_b64 s[24:25], s[24:25]
	s_cbranch_execz .LBB353_20
; %bb.19:                               ;   in Loop: Header=BB353_11 Depth=2
	s_waitcnt vmcnt(0)
	ds_read_b128 v[44:47], v48
.LBB353_20:                             ;   in Loop: Header=BB353_11 Depth=2
	s_or_b64 exec, exec, s[24:25]
	v_add_u32_e32 v52, s36, v70
	v_cmp_lt_u32_e32 vcc, s5, v52
                                        ; implicit-def: $vgpr50_vgpr51
	s_and_saveexec_b64 s[24:25], vcc
	s_xor_b64 s[24:25], exec, s[24:25]
	s_cbranch_execz .LBB353_22
; %bb.21:                               ;   in Loop: Header=BB353_11 Depth=2
	global_load_dwordx4 v[48:51], v52, s[8:9]
                                        ; implicit-def: $vgpr52
.LBB353_22:                             ;   in Loop: Header=BB353_11 Depth=2
	s_andn2_saveexec_b64 s[24:25], s[24:25]
	s_cbranch_execz .LBB353_24
; %bb.23:                               ;   in Loop: Header=BB353_11 Depth=2
	s_waitcnt vmcnt(0)
	ds_read_b128 v[48:51], v52
.LBB353_24:                             ;   in Loop: Header=BB353_11 Depth=2
	s_or_b64 exec, exec, s[24:25]
	v_add_u32_e32 v59, s36, v62
	v_cmp_lt_u32_e32 vcc, s5, v59
                                        ; implicit-def: $vgpr54_vgpr55
	s_and_saveexec_b64 s[24:25], vcc
	s_xor_b64 s[24:25], exec, s[24:25]
	s_cbranch_execz .LBB353_26
; %bb.25:                               ;   in Loop: Header=BB353_11 Depth=2
	global_load_dwordx4 v[52:55], v59, s[8:9]
                                        ; implicit-def: $vgpr59
.LBB353_26:                             ;   in Loop: Header=BB353_11 Depth=2
	s_andn2_saveexec_b64 s[24:25], s[24:25]
	s_cbranch_execz .LBB353_9
; %bb.27:                               ;   in Loop: Header=BB353_11 Depth=2
	s_waitcnt vmcnt(0)
	ds_read_b128 v[52:55], v59
	s_branch .LBB353_9
.LBB353_28:                             ;   in Loop: Header=BB353_7 Depth=1
	v_cvt_i32_f32_e32 v29, v29
	v_cvt_i32_f32_e32 v30, v30
	v_cvt_i32_f32_e32 v31, v31
	v_cvt_i32_f32_e32 v25, v25
	v_cvt_f32_i32_dpp v29, v29 row_shl:1 row_mask:0xf bank_mask:0xf bound_ctrl:1
	v_cvt_f32_i32_dpp v30, v30 row_shl:2 row_mask:0xf bank_mask:0xf bound_ctrl:1
	v_cvt_i32_f32_e32 v26, v26
	v_cvt_i32_f32_e32 v27, v27
	v_cvt_f32_i32_dpp v31, v31 row_shl:3 row_mask:0xf bank_mask:0xf bound_ctrl:1
	v_add_f32_e32 v28, v28, v29
	v_add_f32_e32 v28, v28, v30
	v_cvt_f32_i32_dpp v30, v25 row_shl:1 row_mask:0xf bank_mask:0xf bound_ctrl:1
	v_cvt_f32_i32_dpp v26, v26 row_shl:2 row_mask:0xf bank_mask:0xf bound_ctrl:1
	;; [unrolled: 1-line block ×3, first 2 shown]
	v_add_f32_e32 v28, v28, v31
	ds_bpermute_b32 v29, v57, v28
	v_add_f32_e32 v24, v24, v30
	v_add_f32_e32 v24, v24, v26
	v_cvt_i32_f32_e32 v21, v21
	v_add_f32_e32 v24, v24, v27
	v_cvt_i32_f32_e32 v27, v22
	v_cvt_i32_f32_e32 v23, v23
	s_waitcnt lgkmcnt(0)
	v_add_f32_e32 v25, v28, v29
	v_cvt_f32_i32_dpp v28, v21 row_shl:1 row_mask:0xf bank_mask:0xf bound_ctrl:1
	v_cvt_f32_i32_dpp v27, v27 row_shl:2 row_mask:0xf bank_mask:0xf bound_ctrl:1
	;; [unrolled: 1-line block ×3, first 2 shown]
	ds_bpermute_b32 v26, v57, v24
	v_add_f32_e32 v20, v20, v28
	v_add_f32_e32 v20, v20, v27
	v_cvt_i32_f32_e32 v17, v17
	v_cvt_i32_f32_e32 v13, v13
	v_add_f32_e32 v20, v20, v23
	v_cvt_i32_f32_e32 v23, v18
	v_cvt_i32_f32_e32 v14, v14
	;; [unrolled: 1-line block ×4, first 2 shown]
	s_waitcnt lgkmcnt(0)
	v_add_f32_e32 v21, v24, v26
	v_cvt_f32_i32_dpp v26, v17 row_shl:1 row_mask:0xf bank_mask:0xf bound_ctrl:1
	v_cvt_f32_i32_dpp v13, v13 row_shl:1 row_mask:0xf bank_mask:0xf bound_ctrl:1
	;; [unrolled: 1-line block ×4, first 2 shown]
	ds_bpermute_b32 v24, v57, v20
	v_cvt_f32_i32_dpp v19, v19 row_shl:3 row_mask:0xf bank_mask:0xf bound_ctrl:1
	v_cvt_f32_i32_dpp v15, v15 row_shl:3 row_mask:0xf bank_mask:0xf bound_ctrl:1
	v_cvt_i32_f32_e32 v1, v1
	v_cvt_i32_f32_e32 v2, v2
	v_add_f32_e32 v16, v16, v26
	v_add_f32_e32 v12, v12, v13
	;; [unrolled: 1-line block ×6, first 2 shown]
	v_cvt_f32_i32_dpp v1, v1 row_shl:1 row_mask:0xf bank_mask:0xf bound_ctrl:1
	s_waitcnt lgkmcnt(0)
	v_add_f32_e32 v17, v20, v24
	ds_bpermute_b32 v19, v57, v16
	ds_bpermute_b32 v20, v57, v15
	v_cvt_f32_i32_dpp v2, v2 row_shl:2 row_mask:0xf bank_mask:0xf bound_ctrl:1
	v_cvt_i32_f32_e32 v3, v3
	v_cvt_i32_f32_e32 v23, v9
	v_add_f32_e32 v0, v0, v1
	v_add_f32_e32 v0, v0, v2
	v_cvt_f32_i32_dpp v1, v3 row_shl:3 row_mask:0xf bank_mask:0xf bound_ctrl:1
	v_cvt_i32_f32_e32 v2, v5
	s_waitcnt lgkmcnt(1)
	v_add_f32_e32 v12, v16, v19
	s_waitcnt lgkmcnt(0)
	v_add_f32_e32 v9, v15, v20
	v_cvt_f32_i32_dpp v15, v23 row_shl:1 row_mask:0xf bank_mask:0xf bound_ctrl:1
	v_cvt_i32_f32_e32 v16, v10
	v_cvt_i32_f32_e32 v3, v6
	;; [unrolled: 1-line block ×4, first 2 shown]
	v_add_f32_e32 v0, v0, v1
	v_cvt_f32_i32_dpp v1, v2 row_shl:1 row_mask:0xf bank_mask:0xf bound_ctrl:1
	v_add_f32_e32 v8, v8, v15
	v_cvt_f32_i32_dpp v15, v16 row_shl:2 row_mask:0xf bank_mask:0xf bound_ctrl:1
	v_cvt_f32_i32_dpp v2, v3 row_shl:2 row_mask:0xf bank_mask:0xf bound_ctrl:1
	;; [unrolled: 1-line block ×4, first 2 shown]
	v_add_f32_e32 v1, v4, v1
	v_add_f32_e32 v8, v8, v15
	;; [unrolled: 1-line block ×5, first 2 shown]
	ds_bpermute_b32 v11, v57, v8
	ds_bpermute_b32 v5, v57, v0
	;; [unrolled: 1-line block ×5, first 2 shown]
	s_waitcnt lgkmcnt(4)
	v_add_f32_e32 v6, v8, v11
	s_waitcnt lgkmcnt(3)
	v_add_f32_e32 v4, v0, v5
	;; [unrolled: 2-line block ×3, first 2 shown]
	ds_bpermute_b32 v14, v68, v17
	ds_bpermute_b32 v13, v68, v12
	;; [unrolled: 1-line block ×6, first 2 shown]
	s_and_saveexec_b64 s[22:23], s[0:1]
	s_cbranch_execz .LBB353_6
; %bb.29:                               ;   in Loop: Header=BB353_7 Depth=1
	s_and_b64 vcc, exec, s[14:15]
	s_cbranch_vccz .LBB353_40
; %bb.30:                               ;   in Loop: Header=BB353_7 Depth=1
	v_mul_hi_u32 v0, v58, v69
	v_mul_lo_u32 v0, v0, s16
	v_sub_u32_e32 v0, v58, v0
	v_subrev_u32_e32 v1, s16, v0
	v_cmp_le_u32_e32 vcc, s16, v0
	v_or_b32_e32 v8, 1, v58
	v_mov_b32_e32 v31, v61
	v_cndmask_b32_e32 v0, v0, v1, vcc
	v_subrev_u32_e32 v1, s16, v0
	v_cmp_le_u32_e32 vcc, s16, v0
	v_mov_b32_e32 v33, v61
	v_mov_b32_e32 v35, v61
	v_cndmask_b32_e32 v60, v0, v1, vcc
	v_mul_hi_u32 v0, v8, v69
	v_mul_lo_u32 v0, v0, s16
	v_sub_u32_e32 v0, v8, v0
	v_subrev_u32_e32 v1, s16, v0
	v_cmp_le_u32_e32 vcc, s16, v0
	v_lshl_add_u64 v[26:27], v[60:61], 1, s[10:11]
	v_add_u32_e32 v30, s33, v60
	v_cndmask_b32_e32 v0, v0, v1, vcc
	v_subrev_u32_e32 v1, s16, v0
	v_cmp_le_u32_e32 vcc, s16, v0
	v_add_u32_e32 v34, s34, v60
	v_add_u32_e32 v60, s35, v60
	v_cndmask_b32_e32 v0, v0, v1, vcc
	v_mov_b32_e32 v1, v61
	v_add_u32_e32 v32, s33, v0
	v_add_u32_e32 v36, s34, v0
	v_mov_b32_e32 v37, v61
	v_lshl_add_u64 v[38:39], v[60:61], 1, s[10:11]
	v_add_u32_e32 v60, s35, v0
	v_lshl_add_u64 v[28:29], v[0:1], 1, s[10:11]
	v_lshl_add_u64 v[30:31], v[30:31], 1, s[10:11]
	;; [unrolled: 1-line block ×6, first 2 shown]
	global_load_ushort v0, v[26:27], off
	global_load_ushort v24, v[28:29], off
	;; [unrolled: 1-line block ×8, first 2 shown]
	v_mov_b32_e32 v59, v61
	s_cbranch_execnz .LBB353_32
.LBB353_31:                             ;   in Loop: Header=BB353_7 Depth=1
	v_mov_b32_e32 v59, v61
	s_waitcnt vmcnt(7)
	v_mov_b32_e32 v0, 0
	v_mov_b32_e32 v8, v71
	s_waitcnt vmcnt(6)
	v_mov_b32_e32 v24, 0
	s_waitcnt vmcnt(5)
	;; [unrolled: 2-line block ×7, first 2 shown]
	v_mov_b32_e32 v11, 0
.LBB353_32:                             ;   in Loop: Header=BB353_7 Depth=1
	s_waitcnt lgkmcnt(7)
	v_add_f32_e32 v1, v25, v22
	v_mul_f32_e32 v1, s26, v1
	s_waitcnt vmcnt(7)
	v_fma_mixlo_f16 v22, s27, v1, v0 op_sel_hi:[0,0,1]
	v_lshl_add_u64 v[0:1], v[58:59], 1, s[20:21]
	v_cmp_gt_u32_e32 vcc, s7, v8
	global_store_short v[0:1], v22, off
	s_and_saveexec_b64 s[24:25], vcc
	s_cbranch_execz .LBB353_34
; %bb.33:                               ;   in Loop: Header=BB353_7 Depth=1
	s_waitcnt lgkmcnt(6)
	v_add_f32_e32 v18, v21, v18
	v_mul_f32_e32 v18, s26, v18
	s_waitcnt vmcnt(7)
	v_fma_mixlo_f16 v18, s27, v18, v24 op_sel_hi:[0,0,1]
	global_store_short v[0:1], v18, off offset:2
.LBB353_34:                             ;   in Loop: Header=BB353_7 Depth=1
	s_or_b64 exec, exec, s[24:25]
	s_waitcnt lgkmcnt(5)
	v_add_f32_e32 v0, v17, v14
	v_mul_f32_e32 v0, s26, v0
	v_add_u32_e32 v60, s7, v58
	s_waitcnt vmcnt(6)
	v_fma_mixlo_f16 v14, s27, v0, v23 op_sel_hi:[0,0,1]
	v_lshl_add_u64 v[0:1], v[60:61], 1, s[20:21]
	global_store_short v[0:1], v14, off
	s_and_saveexec_b64 s[24:25], vcc
	s_cbranch_execz .LBB353_36
; %bb.35:                               ;   in Loop: Header=BB353_7 Depth=1
	s_waitcnt lgkmcnt(4)
	v_add_f32_e32 v0, v12, v13
	v_mul_f32_e32 v0, s26, v0
	s_waitcnt vmcnt(6)
	v_fma_mixlo_f16 v12, s27, v0, v20 op_sel_hi:[0,0,1]
	v_add_u32_e32 v0, s7, v8
	v_mov_b32_e32 v1, v61
	v_lshl_add_u64 v[0:1], v[0:1], 1, s[20:21]
	global_store_short v[0:1], v12, off
.LBB353_36:                             ;   in Loop: Header=BB353_7 Depth=1
	s_or_b64 exec, exec, s[24:25]
	s_waitcnt lgkmcnt(3)
	v_add_f32_e32 v0, v9, v10
	v_mul_f32_e32 v0, s26, v0
	v_add_u32_e32 v60, s7, v60
	s_waitcnt vmcnt(5)
	v_fma_mixlo_f16 v9, s27, v0, v19 op_sel_hi:[0,0,1]
	v_lshl_add_u64 v[0:1], v[60:61], 1, s[20:21]
	global_store_short v[0:1], v9, off
	s_and_saveexec_b64 s[24:25], vcc
	s_cbranch_execz .LBB353_38
; %bb.37:                               ;   in Loop: Header=BB353_7 Depth=1
	s_waitcnt lgkmcnt(2)
	v_add_f32_e32 v0, v6, v7
	v_mul_f32_e32 v0, s26, v0
	s_waitcnt vmcnt(5)
	v_fma_mixlo_f16 v6, s27, v0, v16 op_sel_hi:[0,0,1]
	v_add_u32_e32 v0, s31, v8
	v_mov_b32_e32 v1, v61
	v_lshl_add_u64 v[0:1], v[0:1], 1, s[20:21]
	global_store_short v[0:1], v6, off
.LBB353_38:                             ;   in Loop: Header=BB353_7 Depth=1
	s_or_b64 exec, exec, s[24:25]
	s_waitcnt lgkmcnt(1)
	v_add_f32_e32 v0, v4, v5
	v_mul_f32_e32 v0, s26, v0
	v_add_u32_e32 v60, s7, v60
	s_waitcnt vmcnt(4)
	v_fma_mixlo_f16 v4, s27, v0, v15 op_sel_hi:[0,0,1]
	v_lshl_add_u64 v[0:1], v[60:61], 1, s[20:21]
	global_store_short v[0:1], v4, off
	s_and_b64 exec, exec, vcc
	s_cbranch_execz .LBB353_6
; %bb.39:                               ;   in Loop: Header=BB353_7 Depth=1
	s_waitcnt lgkmcnt(0)
	v_add_f32_e32 v0, v2, v3
	v_mul_f32_e32 v0, s26, v0
	v_add_u32_e32 v60, s17, v8
	s_waitcnt vmcnt(4)
	v_fma_mixlo_f16 v2, s27, v0, v11 op_sel_hi:[0,0,1]
	v_lshl_add_u64 v[0:1], v[60:61], 1, s[20:21]
	global_store_short v[0:1], v2, off
	s_branch .LBB353_6
.LBB353_40:                             ;   in Loop: Header=BB353_7 Depth=1
                                        ; implicit-def: $vgpr11
                                        ; implicit-def: $vgpr15
                                        ; implicit-def: $vgpr16
                                        ; implicit-def: $vgpr19
                                        ; implicit-def: $vgpr20
                                        ; implicit-def: $vgpr23
                                        ; implicit-def: $vgpr24
                                        ; implicit-def: $vgpr0
                                        ; implicit-def: $vgpr8
	s_branch .LBB353_31
.LBB353_41:
	s_endpgm
	.section	.rodata,"a",@progbits
	.p2align	6, 0x0
	.amdhsa_kernel _Z13wvSplitKQ_hf_I6__halfN3c1013Float8_e4m3fnELi64ELi2ELi16ELi16ELi1ELi4EEviiiiiiPKT0_S5_PKT_PS6_PKfSB_ii
		.amdhsa_group_segment_fixed_size 65536
		.amdhsa_private_segment_fixed_size 0
		.amdhsa_kernarg_size 80
		.amdhsa_user_sgpr_count 2
		.amdhsa_user_sgpr_dispatch_ptr 0
		.amdhsa_user_sgpr_queue_ptr 0
		.amdhsa_user_sgpr_kernarg_segment_ptr 1
		.amdhsa_user_sgpr_dispatch_id 0
		.amdhsa_user_sgpr_kernarg_preload_length 0
		.amdhsa_user_sgpr_kernarg_preload_offset 0
		.amdhsa_user_sgpr_private_segment_size 0
		.amdhsa_uses_dynamic_stack 0
		.amdhsa_enable_private_segment 0
		.amdhsa_system_sgpr_workgroup_id_x 1
		.amdhsa_system_sgpr_workgroup_id_y 0
		.amdhsa_system_sgpr_workgroup_id_z 0
		.amdhsa_system_sgpr_workgroup_info 0
		.amdhsa_system_vgpr_workitem_id 1
		.amdhsa_next_free_vgpr 72
		.amdhsa_next_free_sgpr 37
		.amdhsa_accum_offset 72
		.amdhsa_reserve_vcc 1
		.amdhsa_float_round_mode_32 0
		.amdhsa_float_round_mode_16_64 0
		.amdhsa_float_denorm_mode_32 3
		.amdhsa_float_denorm_mode_16_64 3
		.amdhsa_dx10_clamp 1
		.amdhsa_ieee_mode 1
		.amdhsa_fp16_overflow 0
		.amdhsa_tg_split 0
		.amdhsa_exception_fp_ieee_invalid_op 0
		.amdhsa_exception_fp_denorm_src 0
		.amdhsa_exception_fp_ieee_div_zero 0
		.amdhsa_exception_fp_ieee_overflow 0
		.amdhsa_exception_fp_ieee_underflow 0
		.amdhsa_exception_fp_ieee_inexact 0
		.amdhsa_exception_int_div_zero 0
	.end_amdhsa_kernel
	.section	.text._Z13wvSplitKQ_hf_I6__halfN3c1013Float8_e4m3fnELi64ELi2ELi16ELi16ELi1ELi4EEviiiiiiPKT0_S5_PKT_PS6_PKfSB_ii,"axG",@progbits,_Z13wvSplitKQ_hf_I6__halfN3c1013Float8_e4m3fnELi64ELi2ELi16ELi16ELi1ELi4EEviiiiiiPKT0_S5_PKT_PS6_PKfSB_ii,comdat
.Lfunc_end353:
	.size	_Z13wvSplitKQ_hf_I6__halfN3c1013Float8_e4m3fnELi64ELi2ELi16ELi16ELi1ELi4EEviiiiiiPKT0_S5_PKT_PS6_PKfSB_ii, .Lfunc_end353-_Z13wvSplitKQ_hf_I6__halfN3c1013Float8_e4m3fnELi64ELi2ELi16ELi16ELi1ELi4EEviiiiiiPKT0_S5_PKT_PS6_PKfSB_ii
                                        ; -- End function
	.section	.AMDGPU.csdata,"",@progbits
; Kernel info:
; codeLenInByte = 2772
; NumSgprs: 43
; NumVgprs: 72
; NumAgprs: 0
; TotalNumVgprs: 72
; ScratchSize: 0
; MemoryBound: 1
; FloatMode: 240
; IeeeMode: 1
; LDSByteSize: 65536 bytes/workgroup (compile time only)
; SGPRBlocks: 5
; VGPRBlocks: 8
; NumSGPRsForWavesPerEU: 43
; NumVGPRsForWavesPerEU: 72
; AccumOffset: 72
; Occupancy: 4
; WaveLimiterHint : 0
; COMPUTE_PGM_RSRC2:SCRATCH_EN: 0
; COMPUTE_PGM_RSRC2:USER_SGPR: 2
; COMPUTE_PGM_RSRC2:TRAP_HANDLER: 0
; COMPUTE_PGM_RSRC2:TGID_X_EN: 1
; COMPUTE_PGM_RSRC2:TGID_Y_EN: 0
; COMPUTE_PGM_RSRC2:TGID_Z_EN: 0
; COMPUTE_PGM_RSRC2:TIDIG_COMP_CNT: 1
; COMPUTE_PGM_RSRC3_GFX90A:ACCUM_OFFSET: 17
; COMPUTE_PGM_RSRC3_GFX90A:TG_SPLIT: 0
	.section	.text._Z17wvSplitKQ_hf_sml_I6__halfN3c1015Float8_e4m3fnuzELi32ELi2ELi16ELi16ELi2ELi1EEviiiiiiPKT0_S5_PKT_PS6_PKfSB_ii,"axG",@progbits,_Z17wvSplitKQ_hf_sml_I6__halfN3c1015Float8_e4m3fnuzELi32ELi2ELi16ELi16ELi2ELi1EEviiiiiiPKT0_S5_PKT_PS6_PKfSB_ii,comdat
	.protected	_Z17wvSplitKQ_hf_sml_I6__halfN3c1015Float8_e4m3fnuzELi32ELi2ELi16ELi16ELi2ELi1EEviiiiiiPKT0_S5_PKT_PS6_PKfSB_ii ; -- Begin function _Z17wvSplitKQ_hf_sml_I6__halfN3c1015Float8_e4m3fnuzELi32ELi2ELi16ELi16ELi2ELi1EEviiiiiiPKT0_S5_PKT_PS6_PKfSB_ii
	.globl	_Z17wvSplitKQ_hf_sml_I6__halfN3c1015Float8_e4m3fnuzELi32ELi2ELi16ELi16ELi2ELi1EEviiiiiiPKT0_S5_PKT_PS6_PKfSB_ii
	.p2align	8
	.type	_Z17wvSplitKQ_hf_sml_I6__halfN3c1015Float8_e4m3fnuzELi32ELi2ELi16ELi16ELi2ELi1EEviiiiiiPKT0_S5_PKT_PS6_PKfSB_ii,@function
_Z17wvSplitKQ_hf_sml_I6__halfN3c1015Float8_e4m3fnuzELi32ELi2ELi16ELi16ELi2ELi1EEviiiiiiPKT0_S5_PKT_PS6_PKfSB_ii: ; @_Z17wvSplitKQ_hf_sml_I6__halfN3c1015Float8_e4m3fnuzELi32ELi2ELi16ELi16ELi2ELi1EEviiiiiiPKT0_S5_PKT_PS6_PKfSB_ii
; %bb.0:
	s_load_dwordx4 s[12:15], s[0:1], 0x0
	v_and_b32_e32 v4, 0x3ff, v0
	v_bfe_u32 v5, v0, 10, 10
	v_lshlrev_b32_e32 v40, 4, v4
	v_lshl_add_u32 v0, v5, 9, v40
	s_waitcnt lgkmcnt(0)
	s_min_u32 s3, s13, 0x10000
	v_cmp_gt_u32_e32 vcc, s3, v0
	s_and_saveexec_b64 s[4:5], vcc
	s_cbranch_execz .LBB354_9
; %bb.1:
	s_load_dwordx2 s[6:7], s[0:1], 0x20
	v_add_u32_e32 v1, 0x2000, v0
	v_cmp_gt_u32_e32 vcc, s3, v1
	s_waitcnt lgkmcnt(0)
	global_load_dwordx4 v[6:9], v0, s[6:7]
	s_waitcnt vmcnt(0)
	ds_write_b128 v0, v[6:9]
	s_and_saveexec_b64 s[8:9], vcc
	s_xor_b64 s[8:9], exec, s[8:9]
	s_cbranch_execz .LBB354_9
; %bb.2:
	v_mov_b32_e32 v1, 0
	v_lshl_add_u64 v[2:3], s[6:7], 0, v[0:1]
	v_add_co_u32_e32 v6, vcc, 0x2000, v2
	v_add_u32_e32 v1, 0x4000, v0
	s_nop 0
	v_addc_co_u32_e32 v7, vcc, 0, v3, vcc
	global_load_dwordx4 v[6:9], v[6:7], off
	v_cmp_gt_u32_e32 vcc, s3, v1
	s_waitcnt vmcnt(0)
	ds_write_b128 v0, v[6:9] offset:8192
	s_and_saveexec_b64 s[6:7], vcc
	s_xor_b64 s[6:7], exec, s[6:7]
	s_cbranch_execz .LBB354_9
; %bb.3:
	v_add_co_u32_e32 v6, vcc, 0x4000, v2
	v_add_u32_e32 v1, 0x6000, v0
	s_nop 0
	v_addc_co_u32_e32 v7, vcc, 0, v3, vcc
	global_load_dwordx4 v[6:9], v[6:7], off
	v_cmp_gt_u32_e32 vcc, s3, v1
	s_waitcnt vmcnt(0)
	ds_write_b128 v0, v[6:9] offset:16384
	s_and_saveexec_b64 s[6:7], vcc
	s_xor_b64 s[6:7], exec, s[6:7]
	s_cbranch_execz .LBB354_9
; %bb.4:
	;; [unrolled: 12-line block ×6, first 2 shown]
	v_add_co_u32_e32 v2, vcc, 0xe000, v2
	s_nop 1
	v_addc_co_u32_e32 v3, vcc, 0, v3, vcc
	global_load_dwordx4 v[6:9], v[2:3], off
	s_waitcnt vmcnt(0)
	ds_write_b128 v0, v[6:9] offset:57344
.LBB354_9:
	s_or_b64 exec, exec, s[4:5]
	s_load_dwordx2 s[18:19], s[0:1], 0x48
	;;#ASMSTART
	s_waitcnt vmcnt(0)
	;;#ASMEND
	s_waitcnt lgkmcnt(0)
	s_barrier
	v_cmp_gt_u32_e32 vcc, s18, v5
	s_and_saveexec_b64 s[4:5], vcc
	s_cbranch_execz .LBB354_27
; %bb.10:
	s_load_dword s13, s[0:1], 0x10
	s_mul_i32 s2, s2, s18
	v_add_lshl_u32 v32, s2, v5, 1
	v_cmp_gt_u32_e32 vcc, s15, v32
	s_and_b64 exec, exec, vcc
	s_cbranch_execz .LBB354_27
; %bb.11:
	v_mbcnt_lo_u32_b32 v0, -1, 0
	v_mbcnt_hi_u32_b32 v0, -1, v0
	v_and_b32_e32 v1, 63, v0
	v_cmp_lt_u32_e32 vcc, 43, v1
	s_load_dwordx8 s[4:11], s[0:1], 0x28
	s_load_dwordx2 s[16:17], s[0:1], 0x18
	v_cndmask_b32_e64 v2, 20, 0, vcc
	v_add_lshl_u32 v41, v2, v0, 2
	s_waitcnt lgkmcnt(0)
	v_cvt_f32_u32_e32 v2, s13
	v_cmp_lt_u32_e32 vcc, 23, v1
	s_cmp_lg_u32 s12, 0
	s_cselect_b64 s[2:3], -1, 0
	v_cndmask_b32_e64 v1, 40, 0, vcc
	v_add_lshl_u32 v42, v1, v0, 2
	v_rcp_iflag_f32_e32 v0, v2
	s_add_i32 s24, s12, -16
	s_add_i32 s25, s15, -1
	s_mul_i32 s18, s18, s19
	v_mul_f32_e32 v0, 0x4f7ffffe, v0
	v_cvt_u32_f32_e32 v0, v0
	s_cmp_lg_u64 s[4:5], 0
	s_load_dword s22, s[8:9], 0x0
	s_load_dword s23, s[10:11], 0x0
	s_cselect_b64 s[10:11], -1, 0
	s_lshl_b32 s26, s18, 1
	s_sub_i32 s18, 0, s13
	v_mul_lo_u32 v1, s18, v0
	v_mul_hi_u32 v1, v0, v1
	v_add_u32_e32 v43, v0, v1
	v_cndmask_b32_e64 v0, 0, 1, s[2:3]
	v_cmp_eq_u32_e64 s[0:1], 0, v4
	s_mov_b64 s[8:9], 0
	v_mov_b32_e32 v35, 0
	v_cmp_ne_u32_e64 s[2:3], 1, v0
	s_branch .LBB354_13
.LBB354_12:                             ;   in Loop: Header=BB354_13 Depth=1
	s_or_b64 exec, exec, s[18:19]
	v_add_u32_e32 v32, s26, v32
	v_cmp_le_u32_e32 vcc, s15, v32
	s_or_b64 s[8:9], vcc, s[8:9]
	s_andn2_b64 exec, exec, s[8:9]
	s_cbranch_execz .LBB354_27
.LBB354_13:                             ; =>This Loop Header: Depth=1
                                        ;     Child Loop BB354_17 Depth 2
	s_and_b64 vcc, exec, s[2:3]
	v_or_b32_e32 v44, 1, v32
	v_mov_b32_e32 v7, v35
	v_mov_b32_e32 v6, v35
	s_waitcnt vmcnt(1)
	v_mov_b32_e32 v5, v35
	v_mov_b32_e32 v4, v35
	s_waitcnt lgkmcnt(0)
	v_mov_b32_e32 v3, v35
	v_mov_b32_e32 v2, v35
	;; [unrolled: 1-line block ×4, first 2 shown]
	s_cbranch_vccnz .LBB354_20
; %bb.14:                               ;   in Loop: Header=BB354_13 Depth=1
	v_min_u32_e32 v0, s25, v32
	v_mul_lo_u32 v36, v0, s14
	v_or_b32_e32 v0, 1, v32
	v_min_u32_e32 v0, s25, v0
	v_mul_lo_u32 v38, v0, s14
	v_mov_b32_e32 v0, 0
	v_mov_b32_e32 v37, v35
	;; [unrolled: 1-line block ×3, first 2 shown]
	s_mov_b32 s27, 0
	v_mov_b32_e32 v1, v0
	v_mov_b32_e32 v2, v0
	;; [unrolled: 1-line block ×7, first 2 shown]
	s_branch .LBB354_17
.LBB354_15:                             ;   in Loop: Header=BB354_17 Depth=2
	s_or_b64 exec, exec, s[20:21]
.LBB354_16:                             ;   in Loop: Header=BB354_17 Depth=2
	s_or_b64 exec, exec, s[18:19]
	s_waitcnt vmcnt(3) lgkmcnt(0)
	v_mfma_f32_16x16x32_fp8_fp8 v[4:7], v[28:29], v[24:25], v[4:7]
	s_addk_i32 s27, 0x400
	s_cmp_ge_u32 s27, s12
	s_waitcnt vmcnt(2)
	v_mfma_f32_16x16x32_fp8_fp8 v[0:3], v[28:29], v[20:21], v[0:3]
	v_mfma_f32_16x16x32_fp8_fp8 v[4:7], v[30:31], v[26:27], v[4:7]
	;; [unrolled: 1-line block ×3, first 2 shown]
	s_waitcnt vmcnt(1)
	v_mfma_f32_16x16x32_fp8_fp8 v[4:7], v[12:13], v[16:17], v[4:7]
	s_waitcnt vmcnt(0)
	v_mfma_f32_16x16x32_fp8_fp8 v[0:3], v[12:13], v[8:9], v[0:3]
	v_mfma_f32_16x16x32_fp8_fp8 v[4:7], v[14:15], v[18:19], v[4:7]
	v_mfma_f32_16x16x32_fp8_fp8 v[0:3], v[14:15], v[10:11], v[0:3]
	s_cbranch_scc1 .LBB354_20
.LBB354_17:                             ;   Parent Loop BB354_13 Depth=1
                                        ; =>  This Inner Loop Header: Depth=2
	v_add_u32_e32 v33, s27, v40
	v_min_u32_e32 v34, s24, v33
	v_lshl_add_u64 v[8:9], s[16:17], 0, v[34:35]
	v_add_u32_e32 v45, 0x200, v33
	v_lshl_add_u64 v[10:11], v[8:9], 0, v[36:37]
	v_lshl_add_u64 v[8:9], v[8:9], 0, v[38:39]
	v_min_u32_e32 v34, s24, v45
	global_load_dwordx4 v[24:27], v[10:11], off nt
	global_load_dwordx4 v[20:23], v[8:9], off nt
	v_lshl_add_u64 v[8:9], s[16:17], 0, v[34:35]
	v_lshl_add_u64 v[12:13], v[8:9], 0, v[36:37]
	;; [unrolled: 1-line block ×3, first 2 shown]
	global_load_dwordx4 v[16:19], v[12:13], off nt
	global_load_dwordx4 v[8:11], v[14:15], off nt
	v_mov_b64_e32 v[28:29], 0
	v_cmp_gt_u32_e32 vcc, s12, v33
	v_mov_b64_e32 v[30:31], v[28:29]
	v_mov_b64_e32 v[12:13], v[28:29]
	;; [unrolled: 1-line block ×3, first 2 shown]
	s_and_saveexec_b64 s[18:19], vcc
	s_cbranch_execz .LBB354_16
; %bb.18:                               ;   in Loop: Header=BB354_17 Depth=2
	ds_read_b128 v[28:31], v33
	v_mov_b64_e32 v[14:15], 0
	v_cmp_gt_u32_e32 vcc, s12, v45
	v_mov_b64_e32 v[12:13], v[14:15]
	s_and_saveexec_b64 s[20:21], vcc
	s_cbranch_execz .LBB354_15
; %bb.19:                               ;   in Loop: Header=BB354_17 Depth=2
	ds_read_b128 v[12:15], v33 offset:512
	s_branch .LBB354_15
.LBB354_20:                             ;   in Loop: Header=BB354_13 Depth=1
	s_nop 4
	v_cvt_i32_f32_e32 v5, v5
	v_cvt_i32_f32_e32 v1, v1
	;; [unrolled: 1-line block ×6, first 2 shown]
	v_cvt_f32_i32_dpp v5, v5 row_shl:1 row_mask:0xf bank_mask:0xf bound_ctrl:1
	v_cvt_f32_i32_dpp v1, v1 row_shl:1 row_mask:0xf bank_mask:0xf bound_ctrl:1
	;; [unrolled: 1-line block ×6, first 2 shown]
	v_add_f32_e32 v4, v4, v5
	v_add_f32_e32 v0, v0, v1
	;; [unrolled: 1-line block ×6, first 2 shown]
	ds_bpermute_b32 v5, v41, v4
	ds_bpermute_b32 v3, v41, v2
	s_waitcnt lgkmcnt(0)
	v_add_f32_e32 v0, v4, v5
	v_add_f32_e32 v2, v2, v3
	ds_bpermute_b32 v1, v42, v0
	ds_bpermute_b32 v3, v42, v2
	s_and_saveexec_b64 s[18:19], s[0:1]
	s_cbranch_execz .LBB354_12
; %bb.21:                               ;   in Loop: Header=BB354_13 Depth=1
	s_and_b64 vcc, exec, s[10:11]
	s_cbranch_vccz .LBB354_26
; %bb.22:                               ;   in Loop: Header=BB354_13 Depth=1
	v_mul_hi_u32 v4, v32, v43
	v_mul_lo_u32 v4, v4, s13
	v_sub_u32_e32 v4, v32, v4
	v_subrev_u32_e32 v5, s13, v4
	v_cmp_le_u32_e32 vcc, s13, v4
	v_mov_b32_e32 v33, v35
	s_nop 0
	v_cndmask_b32_e32 v4, v4, v5, vcc
	v_subrev_u32_e32 v5, s13, v4
	v_cmp_le_u32_e32 vcc, s13, v4
	s_nop 1
	v_cndmask_b32_e32 v34, v4, v5, vcc
	v_or_b32_e32 v4, 1, v32
	v_mul_hi_u32 v5, v4, v43
	v_mul_lo_u32 v5, v5, s13
	v_sub_u32_e32 v5, v4, v5
	v_subrev_u32_e32 v6, s13, v5
	v_cmp_le_u32_e32 vcc, s13, v5
	v_lshl_add_u64 v[8:9], v[34:35], 1, s[4:5]
	s_nop 0
	v_cndmask_b32_e32 v5, v5, v6, vcc
	v_subrev_u32_e32 v6, s13, v5
	v_cmp_le_u32_e32 vcc, s13, v5
	s_nop 1
	v_cndmask_b32_e32 v34, v5, v6, vcc
	v_lshl_add_u64 v[10:11], v[34:35], 1, s[4:5]
	global_load_ushort v6, v[8:9], off
	global_load_ushort v5, v[10:11], off
	s_cbranch_execnz .LBB354_24
.LBB354_23:                             ;   in Loop: Header=BB354_13 Depth=1
	v_mov_b32_e32 v33, v35
	s_waitcnt vmcnt(0)
	v_mov_b32_e32 v5, 0
	v_mov_b32_e32 v4, v44
	;; [unrolled: 1-line block ×3, first 2 shown]
.LBB354_24:                             ;   in Loop: Header=BB354_13 Depth=1
	s_waitcnt lgkmcnt(1)
	v_add_f32_e32 v0, v0, v1
	v_mul_f32_e32 v0, s22, v0
	s_waitcnt vmcnt(1)
	v_fma_mixlo_f16 v6, s23, v0, v6 op_sel_hi:[0,0,1]
	v_lshl_add_u64 v[0:1], v[32:33], 1, s[6:7]
	v_cmp_gt_u32_e32 vcc, s15, v4
	global_store_short v[0:1], v6, off
	s_and_b64 exec, exec, vcc
	s_cbranch_execz .LBB354_12
; %bb.25:                               ;   in Loop: Header=BB354_13 Depth=1
	s_waitcnt lgkmcnt(0)
	v_add_f32_e32 v2, v2, v3
	v_mul_f32_e32 v2, s22, v2
	s_waitcnt vmcnt(1)
	v_fma_mixlo_f16 v2, s23, v2, v5 op_sel_hi:[0,0,1]
	global_store_short v[0:1], v2, off offset:2
	s_branch .LBB354_12
.LBB354_26:                             ;   in Loop: Header=BB354_13 Depth=1
                                        ; implicit-def: $vgpr6
                                        ; implicit-def: $vgpr5
                                        ; implicit-def: $vgpr4
	s_branch .LBB354_23
.LBB354_27:
	s_endpgm
	.section	.rodata,"a",@progbits
	.p2align	6, 0x0
	.amdhsa_kernel _Z17wvSplitKQ_hf_sml_I6__halfN3c1015Float8_e4m3fnuzELi32ELi2ELi16ELi16ELi2ELi1EEviiiiiiPKT0_S5_PKT_PS6_PKfSB_ii
		.amdhsa_group_segment_fixed_size 65536
		.amdhsa_private_segment_fixed_size 0
		.amdhsa_kernarg_size 80
		.amdhsa_user_sgpr_count 2
		.amdhsa_user_sgpr_dispatch_ptr 0
		.amdhsa_user_sgpr_queue_ptr 0
		.amdhsa_user_sgpr_kernarg_segment_ptr 1
		.amdhsa_user_sgpr_dispatch_id 0
		.amdhsa_user_sgpr_kernarg_preload_length 0
		.amdhsa_user_sgpr_kernarg_preload_offset 0
		.amdhsa_user_sgpr_private_segment_size 0
		.amdhsa_uses_dynamic_stack 0
		.amdhsa_enable_private_segment 0
		.amdhsa_system_sgpr_workgroup_id_x 1
		.amdhsa_system_sgpr_workgroup_id_y 0
		.amdhsa_system_sgpr_workgroup_id_z 0
		.amdhsa_system_sgpr_workgroup_info 0
		.amdhsa_system_vgpr_workitem_id 1
		.amdhsa_next_free_vgpr 46
		.amdhsa_next_free_sgpr 28
		.amdhsa_accum_offset 48
		.amdhsa_reserve_vcc 1
		.amdhsa_float_round_mode_32 0
		.amdhsa_float_round_mode_16_64 0
		.amdhsa_float_denorm_mode_32 3
		.amdhsa_float_denorm_mode_16_64 3
		.amdhsa_dx10_clamp 1
		.amdhsa_ieee_mode 1
		.amdhsa_fp16_overflow 0
		.amdhsa_tg_split 0
		.amdhsa_exception_fp_ieee_invalid_op 0
		.amdhsa_exception_fp_denorm_src 0
		.amdhsa_exception_fp_ieee_div_zero 0
		.amdhsa_exception_fp_ieee_overflow 0
		.amdhsa_exception_fp_ieee_underflow 0
		.amdhsa_exception_fp_ieee_inexact 0
		.amdhsa_exception_int_div_zero 0
	.end_amdhsa_kernel
	.section	.text._Z17wvSplitKQ_hf_sml_I6__halfN3c1015Float8_e4m3fnuzELi32ELi2ELi16ELi16ELi2ELi1EEviiiiiiPKT0_S5_PKT_PS6_PKfSB_ii,"axG",@progbits,_Z17wvSplitKQ_hf_sml_I6__halfN3c1015Float8_e4m3fnuzELi32ELi2ELi16ELi16ELi2ELi1EEviiiiiiPKT0_S5_PKT_PS6_PKfSB_ii,comdat
.Lfunc_end354:
	.size	_Z17wvSplitKQ_hf_sml_I6__halfN3c1015Float8_e4m3fnuzELi32ELi2ELi16ELi16ELi2ELi1EEviiiiiiPKT0_S5_PKT_PS6_PKfSB_ii, .Lfunc_end354-_Z17wvSplitKQ_hf_sml_I6__halfN3c1015Float8_e4m3fnuzELi32ELi2ELi16ELi16ELi2ELi1EEviiiiiiPKT0_S5_PKT_PS6_PKfSB_ii
                                        ; -- End function
	.section	.AMDGPU.csdata,"",@progbits
; Kernel info:
; codeLenInByte = 1648
; NumSgprs: 34
; NumVgprs: 46
; NumAgprs: 0
; TotalNumVgprs: 46
; ScratchSize: 0
; MemoryBound: 0
; FloatMode: 240
; IeeeMode: 1
; LDSByteSize: 65536 bytes/workgroup (compile time only)
; SGPRBlocks: 4
; VGPRBlocks: 5
; NumSGPRsForWavesPerEU: 34
; NumVGPRsForWavesPerEU: 46
; AccumOffset: 48
; Occupancy: 2
; WaveLimiterHint : 0
; COMPUTE_PGM_RSRC2:SCRATCH_EN: 0
; COMPUTE_PGM_RSRC2:USER_SGPR: 2
; COMPUTE_PGM_RSRC2:TRAP_HANDLER: 0
; COMPUTE_PGM_RSRC2:TGID_X_EN: 1
; COMPUTE_PGM_RSRC2:TGID_Y_EN: 0
; COMPUTE_PGM_RSRC2:TGID_Z_EN: 0
; COMPUTE_PGM_RSRC2:TIDIG_COMP_CNT: 1
; COMPUTE_PGM_RSRC3_GFX90A:ACCUM_OFFSET: 11
; COMPUTE_PGM_RSRC3_GFX90A:TG_SPLIT: 0
	.section	.text._Z13wvSplitKQ_hf_I6__halfN3c1015Float8_e4m3fnuzELi32ELi2ELi16ELi16ELi2ELi1EEviiiiiiPKT0_S5_PKT_PS6_PKfSB_ii,"axG",@progbits,_Z13wvSplitKQ_hf_I6__halfN3c1015Float8_e4m3fnuzELi32ELi2ELi16ELi16ELi2ELi1EEviiiiiiPKT0_S5_PKT_PS6_PKfSB_ii,comdat
	.protected	_Z13wvSplitKQ_hf_I6__halfN3c1015Float8_e4m3fnuzELi32ELi2ELi16ELi16ELi2ELi1EEviiiiiiPKT0_S5_PKT_PS6_PKfSB_ii ; -- Begin function _Z13wvSplitKQ_hf_I6__halfN3c1015Float8_e4m3fnuzELi32ELi2ELi16ELi16ELi2ELi1EEviiiiiiPKT0_S5_PKT_PS6_PKfSB_ii
	.globl	_Z13wvSplitKQ_hf_I6__halfN3c1015Float8_e4m3fnuzELi32ELi2ELi16ELi16ELi2ELi1EEviiiiiiPKT0_S5_PKT_PS6_PKfSB_ii
	.p2align	8
	.type	_Z13wvSplitKQ_hf_I6__halfN3c1015Float8_e4m3fnuzELi32ELi2ELi16ELi16ELi2ELi1EEviiiiiiPKT0_S5_PKT_PS6_PKfSB_ii,@function
_Z13wvSplitKQ_hf_I6__halfN3c1015Float8_e4m3fnuzELi32ELi2ELi16ELi16ELi2ELi1EEviiiiiiPKT0_S5_PKT_PS6_PKfSB_ii: ; @_Z13wvSplitKQ_hf_I6__halfN3c1015Float8_e4m3fnuzELi32ELi2ELi16ELi16ELi2ELi1EEviiiiiiPKT0_S5_PKT_PS6_PKfSB_ii
; %bb.0:
	s_load_dwordx4 s[12:15], s[0:1], 0x0
	s_load_dwordx2 s[16:17], s[0:1], 0x20
	v_and_b32_e32 v4, 0x3ff, v0
	v_bfe_u32 v5, v0, 10, 10
	v_lshlrev_b32_e32 v40, 4, v4
	v_lshl_add_u32 v0, v5, 9, v40
	s_waitcnt lgkmcnt(0)
	s_min_u32 s3, s13, 0x10000
	v_cmp_gt_u32_e32 vcc, s3, v0
	s_and_saveexec_b64 s[4:5], vcc
	s_cbranch_execz .LBB355_9
; %bb.1:
	global_load_dwordx4 v[6:9], v0, s[16:17]
	v_add_u32_e32 v1, 0x2000, v0
	v_cmp_gt_u32_e32 vcc, s3, v1
	s_waitcnt vmcnt(0)
	ds_write_b128 v0, v[6:9]
	s_and_saveexec_b64 s[6:7], vcc
	s_xor_b64 s[6:7], exec, s[6:7]
	s_cbranch_execz .LBB355_9
; %bb.2:
	v_mov_b32_e32 v1, 0
	v_lshl_add_u64 v[2:3], s[16:17], 0, v[0:1]
	v_add_co_u32_e32 v6, vcc, 0x2000, v2
	v_add_u32_e32 v1, 0x4000, v0
	s_nop 0
	v_addc_co_u32_e32 v7, vcc, 0, v3, vcc
	global_load_dwordx4 v[6:9], v[6:7], off
	v_cmp_gt_u32_e32 vcc, s3, v1
	s_waitcnt vmcnt(0)
	ds_write_b128 v0, v[6:9] offset:8192
	s_and_saveexec_b64 s[6:7], vcc
	s_xor_b64 s[6:7], exec, s[6:7]
	s_cbranch_execz .LBB355_9
; %bb.3:
	v_add_co_u32_e32 v6, vcc, 0x4000, v2
	v_add_u32_e32 v1, 0x6000, v0
	s_nop 0
	v_addc_co_u32_e32 v7, vcc, 0, v3, vcc
	global_load_dwordx4 v[6:9], v[6:7], off
	v_cmp_gt_u32_e32 vcc, s3, v1
	s_waitcnt vmcnt(0)
	ds_write_b128 v0, v[6:9] offset:16384
	s_and_saveexec_b64 s[6:7], vcc
	s_xor_b64 s[6:7], exec, s[6:7]
	s_cbranch_execz .LBB355_9
; %bb.4:
	;; [unrolled: 12-line block ×6, first 2 shown]
	v_add_co_u32_e32 v2, vcc, 0xe000, v2
	s_nop 1
	v_addc_co_u32_e32 v3, vcc, 0, v3, vcc
	global_load_dwordx4 v[6:9], v[2:3], off
	s_waitcnt vmcnt(0)
	ds_write_b128 v0, v[6:9] offset:57344
.LBB355_9:
	s_or_b64 exec, exec, s[4:5]
	s_load_dwordx2 s[20:21], s[0:1], 0x48
	;;#ASMSTART
	s_waitcnt vmcnt(0)
	;;#ASMEND
	s_waitcnt lgkmcnt(0)
	s_barrier
	v_cmp_gt_u32_e32 vcc, s20, v5
	s_and_saveexec_b64 s[4:5], vcc
	s_cbranch_execz .LBB355_35
; %bb.10:
	s_load_dword s13, s[0:1], 0x10
	s_mul_i32 s2, s2, s20
	v_add_lshl_u32 v32, s2, v5, 1
	v_cmp_gt_u32_e32 vcc, s15, v32
	s_and_b64 exec, exec, vcc
	s_cbranch_execz .LBB355_35
; %bb.11:
	v_mbcnt_lo_u32_b32 v0, -1, 0
	v_mbcnt_hi_u32_b32 v0, -1, v0
	v_and_b32_e32 v1, 63, v0
	v_cmp_lt_u32_e32 vcc, 43, v1
	s_load_dwordx8 s[4:11], s[0:1], 0x28
	s_load_dwordx2 s[18:19], s[0:1], 0x18
	v_cndmask_b32_e64 v2, 20, 0, vcc
	v_add_lshl_u32 v41, v2, v0, 2
	s_waitcnt lgkmcnt(0)
	v_cvt_f32_u32_e32 v2, s13
	v_cmp_lt_u32_e32 vcc, 23, v1
	s_cmp_lg_u32 s12, 0
	s_cselect_b64 s[2:3], -1, 0
	v_cndmask_b32_e64 v1, 40, 0, vcc
	v_add_lshl_u32 v42, v1, v0, 2
	v_rcp_iflag_f32_e32 v0, v2
	s_add_i32 s28, s12, -16
	s_add_i32 s29, s15, -1
	s_mul_i32 s20, s20, s21
	v_mul_f32_e32 v0, 0x4f7ffffe, v0
	v_cvt_u32_f32_e32 v0, v0
	s_cmp_lg_u64 s[4:5], 0
	s_load_dword s26, s[8:9], 0x0
	s_load_dword s27, s[10:11], 0x0
	s_cselect_b64 s[10:11], -1, 0
	s_lshl_b32 s30, s20, 1
	s_sub_i32 s20, 0, s13
	v_mul_lo_u32 v1, s20, v0
	v_mul_hi_u32 v1, v0, v1
	v_add_u32_e32 v43, v0, v1
	v_cndmask_b32_e64 v0, 0, 1, s[2:3]
	v_cmp_eq_u32_e64 s[0:1], 0, v4
	s_mov_b64 s[8:9], 0
	v_mov_b32_e32 v35, 0
	v_cmp_ne_u32_e64 s[2:3], 1, v0
	s_mov_b32 s31, 0xffff
	s_branch .LBB355_13
.LBB355_12:                             ;   in Loop: Header=BB355_13 Depth=1
	s_or_b64 exec, exec, s[20:21]
	v_add_u32_e32 v32, s30, v32
	v_cmp_le_u32_e32 vcc, s15, v32
	s_or_b64 s[8:9], vcc, s[8:9]
	s_andn2_b64 exec, exec, s[8:9]
	s_cbranch_execz .LBB355_35
.LBB355_13:                             ; =>This Loop Header: Depth=1
                                        ;     Child Loop BB355_18 Depth 2
	s_and_b64 vcc, exec, s[2:3]
	v_or_b32_e32 v44, 1, v32
	v_mov_b32_e32 v7, v35
	v_mov_b32_e32 v6, v35
	s_waitcnt vmcnt(1)
	v_mov_b32_e32 v5, v35
	v_mov_b32_e32 v4, v35
	s_waitcnt lgkmcnt(0)
	v_mov_b32_e32 v3, v35
	v_mov_b32_e32 v2, v35
	;; [unrolled: 1-line block ×4, first 2 shown]
	s_cbranch_vccnz .LBB355_28
; %bb.14:                               ;   in Loop: Header=BB355_13 Depth=1
	v_min_u32_e32 v0, s29, v32
	v_mul_lo_u32 v36, v0, s14
	v_or_b32_e32 v0, 1, v32
	v_min_u32_e32 v0, s29, v0
	v_mul_lo_u32 v38, v0, s14
	v_mov_b32_e32 v0, 0
	v_mov_b32_e32 v37, v35
	;; [unrolled: 1-line block ×3, first 2 shown]
	s_mov_b32 s33, 0
	v_mov_b32_e32 v1, v0
	v_mov_b32_e32 v2, v0
	;; [unrolled: 1-line block ×7, first 2 shown]
	s_branch .LBB355_18
.LBB355_15:                             ;   in Loop: Header=BB355_18 Depth=2
	s_or_b64 exec, exec, s[24:25]
.LBB355_16:                             ;   in Loop: Header=BB355_18 Depth=2
	s_or_b64 exec, exec, s[22:23]
.LBB355_17:                             ;   in Loop: Header=BB355_18 Depth=2
	s_or_b64 exec, exec, s[20:21]
	s_waitcnt vmcnt(0) lgkmcnt(0)
	v_mfma_f32_16x16x32_fp8_fp8 v[4:7], v[24:25], v[20:21], v[4:7]
	s_addk_i32 s33, 0x400
	s_cmp_ge_u32 s33, s12
	v_mfma_f32_16x16x32_fp8_fp8 v[0:3], v[24:25], v[16:17], v[0:3]
	v_mfma_f32_16x16x32_fp8_fp8 v[4:7], v[26:27], v[22:23], v[4:7]
	;; [unrolled: 1-line block ×7, first 2 shown]
	s_cbranch_scc1 .LBB355_28
.LBB355_18:                             ;   Parent Loop BB355_13 Depth=1
                                        ; =>  This Inner Loop Header: Depth=2
	v_add_u32_e32 v33, s33, v40
	v_min_u32_e32 v34, s28, v33
	v_lshl_add_u64 v[8:9], s[18:19], 0, v[34:35]
	v_add_u32_e32 v45, 0x200, v33
	v_lshl_add_u64 v[10:11], v[8:9], 0, v[36:37]
	v_lshl_add_u64 v[8:9], v[8:9], 0, v[38:39]
	v_min_u32_e32 v34, s28, v45
	global_load_dwordx4 v[20:23], v[10:11], off nt
	global_load_dwordx4 v[16:19], v[8:9], off nt
	v_lshl_add_u64 v[8:9], s[18:19], 0, v[34:35]
	v_lshl_add_u64 v[24:25], v[8:9], 0, v[36:37]
	;; [unrolled: 1-line block ×3, first 2 shown]
	global_load_dwordx4 v[12:15], v[24:25], off nt
	global_load_dwordx4 v[8:11], v[26:27], off nt
	v_mov_b64_e32 v[30:31], 0
	v_cmp_gt_u32_e32 vcc, s12, v33
	v_mov_b64_e32 v[28:29], v[30:31]
	v_mov_b64_e32 v[26:27], v[30:31]
	;; [unrolled: 1-line block ×3, first 2 shown]
	s_and_saveexec_b64 s[20:21], vcc
	s_cbranch_execz .LBB355_17
; %bb.19:                               ;   in Loop: Header=BB355_18 Depth=2
	v_cmp_lt_u32_e32 vcc, s31, v33
                                        ; implicit-def: $vgpr26_vgpr27
	s_and_saveexec_b64 s[22:23], vcc
	s_xor_b64 s[22:23], exec, s[22:23]
	s_cbranch_execz .LBB355_21
; %bb.20:                               ;   in Loop: Header=BB355_18 Depth=2
	global_load_dwordx4 v[24:27], v33, s[16:17]
.LBB355_21:                             ;   in Loop: Header=BB355_18 Depth=2
	s_andn2_saveexec_b64 s[22:23], s[22:23]
	s_cbranch_execz .LBB355_23
; %bb.22:                               ;   in Loop: Header=BB355_18 Depth=2
	s_waitcnt vmcnt(0)
	ds_read_b128 v[24:27], v33
.LBB355_23:                             ;   in Loop: Header=BB355_18 Depth=2
	s_or_b64 exec, exec, s[22:23]
	v_mov_b64_e32 v[30:31], 0
	v_cmp_gt_u32_e32 vcc, s12, v45
	v_mov_b64_e32 v[28:29], v[30:31]
	s_and_saveexec_b64 s[22:23], vcc
	s_cbranch_execz .LBB355_16
; %bb.24:                               ;   in Loop: Header=BB355_18 Depth=2
	v_cmp_lt_u32_e32 vcc, s31, v45
                                        ; implicit-def: $vgpr30_vgpr31
	s_and_saveexec_b64 s[24:25], vcc
	s_xor_b64 s[24:25], exec, s[24:25]
	s_cbranch_execz .LBB355_26
; %bb.25:                               ;   in Loop: Header=BB355_18 Depth=2
	global_load_dwordx4 v[28:31], v45, s[16:17]
                                        ; implicit-def: $vgpr33
.LBB355_26:                             ;   in Loop: Header=BB355_18 Depth=2
	s_andn2_saveexec_b64 s[24:25], s[24:25]
	s_cbranch_execz .LBB355_15
; %bb.27:                               ;   in Loop: Header=BB355_18 Depth=2
	s_waitcnt vmcnt(0)
	ds_read_b128 v[28:31], v33 offset:512
	s_branch .LBB355_15
.LBB355_28:                             ;   in Loop: Header=BB355_13 Depth=1
	s_nop 4
	v_cvt_i32_f32_e32 v5, v5
	v_cvt_i32_f32_e32 v1, v1
	;; [unrolled: 1-line block ×6, first 2 shown]
	v_cvt_f32_i32_dpp v5, v5 row_shl:1 row_mask:0xf bank_mask:0xf bound_ctrl:1
	v_cvt_f32_i32_dpp v1, v1 row_shl:1 row_mask:0xf bank_mask:0xf bound_ctrl:1
	;; [unrolled: 1-line block ×6, first 2 shown]
	v_add_f32_e32 v4, v4, v5
	v_add_f32_e32 v0, v0, v1
	;; [unrolled: 1-line block ×6, first 2 shown]
	ds_bpermute_b32 v5, v41, v4
	ds_bpermute_b32 v3, v41, v2
	s_waitcnt lgkmcnt(0)
	v_add_f32_e32 v0, v4, v5
	v_add_f32_e32 v2, v2, v3
	ds_bpermute_b32 v1, v42, v0
	ds_bpermute_b32 v3, v42, v2
	s_and_saveexec_b64 s[20:21], s[0:1]
	s_cbranch_execz .LBB355_12
; %bb.29:                               ;   in Loop: Header=BB355_13 Depth=1
	s_and_b64 vcc, exec, s[10:11]
	s_cbranch_vccz .LBB355_34
; %bb.30:                               ;   in Loop: Header=BB355_13 Depth=1
	v_mul_hi_u32 v4, v32, v43
	v_mul_lo_u32 v4, v4, s13
	v_sub_u32_e32 v4, v32, v4
	v_subrev_u32_e32 v5, s13, v4
	v_cmp_le_u32_e32 vcc, s13, v4
	v_mov_b32_e32 v33, v35
	s_nop 0
	v_cndmask_b32_e32 v4, v4, v5, vcc
	v_subrev_u32_e32 v5, s13, v4
	v_cmp_le_u32_e32 vcc, s13, v4
	s_nop 1
	v_cndmask_b32_e32 v34, v4, v5, vcc
	v_or_b32_e32 v4, 1, v32
	v_mul_hi_u32 v5, v4, v43
	v_mul_lo_u32 v5, v5, s13
	v_sub_u32_e32 v5, v4, v5
	v_subrev_u32_e32 v6, s13, v5
	v_cmp_le_u32_e32 vcc, s13, v5
	v_lshl_add_u64 v[8:9], v[34:35], 1, s[4:5]
	s_nop 0
	v_cndmask_b32_e32 v5, v5, v6, vcc
	v_subrev_u32_e32 v6, s13, v5
	v_cmp_le_u32_e32 vcc, s13, v5
	s_nop 1
	v_cndmask_b32_e32 v34, v5, v6, vcc
	v_lshl_add_u64 v[10:11], v[34:35], 1, s[4:5]
	global_load_ushort v6, v[8:9], off
	global_load_ushort v5, v[10:11], off
	s_cbranch_execnz .LBB355_32
.LBB355_31:                             ;   in Loop: Header=BB355_13 Depth=1
	v_mov_b32_e32 v33, v35
	s_waitcnt vmcnt(0)
	v_mov_b32_e32 v5, 0
	v_mov_b32_e32 v4, v44
	;; [unrolled: 1-line block ×3, first 2 shown]
.LBB355_32:                             ;   in Loop: Header=BB355_13 Depth=1
	s_waitcnt lgkmcnt(1)
	v_add_f32_e32 v0, v0, v1
	v_mul_f32_e32 v0, s26, v0
	s_waitcnt vmcnt(1)
	v_fma_mixlo_f16 v6, s27, v0, v6 op_sel_hi:[0,0,1]
	v_lshl_add_u64 v[0:1], v[32:33], 1, s[6:7]
	v_cmp_gt_u32_e32 vcc, s15, v4
	global_store_short v[0:1], v6, off
	s_and_b64 exec, exec, vcc
	s_cbranch_execz .LBB355_12
; %bb.33:                               ;   in Loop: Header=BB355_13 Depth=1
	s_waitcnt lgkmcnt(0)
	v_add_f32_e32 v2, v2, v3
	v_mul_f32_e32 v2, s26, v2
	s_waitcnt vmcnt(1)
	v_fma_mixlo_f16 v2, s27, v2, v5 op_sel_hi:[0,0,1]
	global_store_short v[0:1], v2, off offset:2
	s_branch .LBB355_12
.LBB355_34:                             ;   in Loop: Header=BB355_13 Depth=1
                                        ; implicit-def: $vgpr6
                                        ; implicit-def: $vgpr5
                                        ; implicit-def: $vgpr4
	s_branch .LBB355_31
.LBB355_35:
	s_endpgm
	.section	.rodata,"a",@progbits
	.p2align	6, 0x0
	.amdhsa_kernel _Z13wvSplitKQ_hf_I6__halfN3c1015Float8_e4m3fnuzELi32ELi2ELi16ELi16ELi2ELi1EEviiiiiiPKT0_S5_PKT_PS6_PKfSB_ii
		.amdhsa_group_segment_fixed_size 65536
		.amdhsa_private_segment_fixed_size 0
		.amdhsa_kernarg_size 80
		.amdhsa_user_sgpr_count 2
		.amdhsa_user_sgpr_dispatch_ptr 0
		.amdhsa_user_sgpr_queue_ptr 0
		.amdhsa_user_sgpr_kernarg_segment_ptr 1
		.amdhsa_user_sgpr_dispatch_id 0
		.amdhsa_user_sgpr_kernarg_preload_length 0
		.amdhsa_user_sgpr_kernarg_preload_offset 0
		.amdhsa_user_sgpr_private_segment_size 0
		.amdhsa_uses_dynamic_stack 0
		.amdhsa_enable_private_segment 0
		.amdhsa_system_sgpr_workgroup_id_x 1
		.amdhsa_system_sgpr_workgroup_id_y 0
		.amdhsa_system_sgpr_workgroup_id_z 0
		.amdhsa_system_sgpr_workgroup_info 0
		.amdhsa_system_vgpr_workitem_id 1
		.amdhsa_next_free_vgpr 46
		.amdhsa_next_free_sgpr 34
		.amdhsa_accum_offset 48
		.amdhsa_reserve_vcc 1
		.amdhsa_float_round_mode_32 0
		.amdhsa_float_round_mode_16_64 0
		.amdhsa_float_denorm_mode_32 3
		.amdhsa_float_denorm_mode_16_64 3
		.amdhsa_dx10_clamp 1
		.amdhsa_ieee_mode 1
		.amdhsa_fp16_overflow 0
		.amdhsa_tg_split 0
		.amdhsa_exception_fp_ieee_invalid_op 0
		.amdhsa_exception_fp_denorm_src 0
		.amdhsa_exception_fp_ieee_div_zero 0
		.amdhsa_exception_fp_ieee_overflow 0
		.amdhsa_exception_fp_ieee_underflow 0
		.amdhsa_exception_fp_ieee_inexact 0
		.amdhsa_exception_int_div_zero 0
	.end_amdhsa_kernel
	.section	.text._Z13wvSplitKQ_hf_I6__halfN3c1015Float8_e4m3fnuzELi32ELi2ELi16ELi16ELi2ELi1EEviiiiiiPKT0_S5_PKT_PS6_PKfSB_ii,"axG",@progbits,_Z13wvSplitKQ_hf_I6__halfN3c1015Float8_e4m3fnuzELi32ELi2ELi16ELi16ELi2ELi1EEviiiiiiPKT0_S5_PKT_PS6_PKfSB_ii,comdat
.Lfunc_end355:
	.size	_Z13wvSplitKQ_hf_I6__halfN3c1015Float8_e4m3fnuzELi32ELi2ELi16ELi16ELi2ELi1EEviiiiiiPKT0_S5_PKT_PS6_PKfSB_ii, .Lfunc_end355-_Z13wvSplitKQ_hf_I6__halfN3c1015Float8_e4m3fnuzELi32ELi2ELi16ELi16ELi2ELi1EEviiiiiiPKT0_S5_PKT_PS6_PKfSB_ii
                                        ; -- End function
	.section	.AMDGPU.csdata,"",@progbits
; Kernel info:
; codeLenInByte = 1720
; NumSgprs: 40
; NumVgprs: 46
; NumAgprs: 0
; TotalNumVgprs: 46
; ScratchSize: 0
; MemoryBound: 1
; FloatMode: 240
; IeeeMode: 1
; LDSByteSize: 65536 bytes/workgroup (compile time only)
; SGPRBlocks: 4
; VGPRBlocks: 5
; NumSGPRsForWavesPerEU: 40
; NumVGPRsForWavesPerEU: 46
; AccumOffset: 48
; Occupancy: 2
; WaveLimiterHint : 0
; COMPUTE_PGM_RSRC2:SCRATCH_EN: 0
; COMPUTE_PGM_RSRC2:USER_SGPR: 2
; COMPUTE_PGM_RSRC2:TRAP_HANDLER: 0
; COMPUTE_PGM_RSRC2:TGID_X_EN: 1
; COMPUTE_PGM_RSRC2:TGID_Y_EN: 0
; COMPUTE_PGM_RSRC2:TGID_Z_EN: 0
; COMPUTE_PGM_RSRC2:TIDIG_COMP_CNT: 1
; COMPUTE_PGM_RSRC3_GFX90A:ACCUM_OFFSET: 11
; COMPUTE_PGM_RSRC3_GFX90A:TG_SPLIT: 0
	.section	.text._Z17wvSplitKQ_hf_sml_I6__halfN3c1015Float8_e4m3fnuzELi64ELi2ELi16ELi16ELi2ELi1EEviiiiiiPKT0_S5_PKT_PS6_PKfSB_ii,"axG",@progbits,_Z17wvSplitKQ_hf_sml_I6__halfN3c1015Float8_e4m3fnuzELi64ELi2ELi16ELi16ELi2ELi1EEviiiiiiPKT0_S5_PKT_PS6_PKfSB_ii,comdat
	.protected	_Z17wvSplitKQ_hf_sml_I6__halfN3c1015Float8_e4m3fnuzELi64ELi2ELi16ELi16ELi2ELi1EEviiiiiiPKT0_S5_PKT_PS6_PKfSB_ii ; -- Begin function _Z17wvSplitKQ_hf_sml_I6__halfN3c1015Float8_e4m3fnuzELi64ELi2ELi16ELi16ELi2ELi1EEviiiiiiPKT0_S5_PKT_PS6_PKfSB_ii
	.globl	_Z17wvSplitKQ_hf_sml_I6__halfN3c1015Float8_e4m3fnuzELi64ELi2ELi16ELi16ELi2ELi1EEviiiiiiPKT0_S5_PKT_PS6_PKfSB_ii
	.p2align	8
	.type	_Z17wvSplitKQ_hf_sml_I6__halfN3c1015Float8_e4m3fnuzELi64ELi2ELi16ELi16ELi2ELi1EEviiiiiiPKT0_S5_PKT_PS6_PKfSB_ii,@function
_Z17wvSplitKQ_hf_sml_I6__halfN3c1015Float8_e4m3fnuzELi64ELi2ELi16ELi16ELi2ELi1EEviiiiiiPKT0_S5_PKT_PS6_PKfSB_ii: ; @_Z17wvSplitKQ_hf_sml_I6__halfN3c1015Float8_e4m3fnuzELi64ELi2ELi16ELi16ELi2ELi1EEviiiiiiPKT0_S5_PKT_PS6_PKfSB_ii
; %bb.0:
	s_load_dwordx4 s[4:7], s[0:1], 0x0
	s_load_dword s22, s[0:1], 0x10
	s_load_dwordx4 s[8:11], s[0:1], 0x38
	s_load_dwordx2 s[12:13], s[0:1], 0x28
	v_and_b32_e32 v2, 0x3ff, v0
	v_bfe_u32 v3, v0, 10, 10
	v_lshlrev_b32_e32 v32, 4, v2
	v_lshl_add_u32 v4, v3, 10, v32
	s_waitcnt lgkmcnt(0)
	s_min_u32 s3, s5, 0x10000
	v_cmp_gt_u32_e32 vcc, s3, v4
	s_and_saveexec_b64 s[14:15], vcc
	s_cbranch_execz .LBB356_3
; %bb.1:
	s_load_dwordx2 s[16:17], s[0:1], 0x20
	v_mov_b32_e32 v1, 0
	v_lshlrev_b32_e32 v0, 10, v3
	v_mov_b32_e32 v33, v1
	v_lshl_add_u64 v[0:1], v[0:1], 0, v[32:33]
	s_waitcnt lgkmcnt(0)
	v_lshl_add_u64 v[0:1], s[16:17], 0, v[0:1]
	s_mov_b64 s[16:17], 0
	s_mov_b64 s[18:19], 0x4000
.LBB356_2:                              ; =>This Inner Loop Header: Depth=1
	global_load_dwordx4 v[6:9], v[0:1], off
	v_lshl_add_u64 v[0:1], v[0:1], 0, s[18:19]
	s_waitcnt vmcnt(0)
	ds_write_b128 v4, v[6:9]
	v_add_u32_e32 v4, 0x4000, v4
	v_cmp_le_u32_e32 vcc, s3, v4
	s_or_b64 s[16:17], vcc, s[16:17]
	s_andn2_b64 exec, exec, s[16:17]
	s_cbranch_execnz .LBB356_2
.LBB356_3:
	s_or_b64 exec, exec, s[14:15]
	s_load_dwordx2 s[18:19], s[0:1], 0x48
	;;#ASMSTART
	s_waitcnt vmcnt(0)
	;;#ASMEND
	s_waitcnt lgkmcnt(0)
	s_barrier
	v_cmp_gt_u32_e32 vcc, s18, v3
	s_and_saveexec_b64 s[14:15], vcc
	s_cbranch_execz .LBB356_21
; %bb.4:
	s_mul_i32 s2, s2, s18
	v_add_lshl_u32 v34, s2, v3, 1
	v_cmp_gt_u32_e32 vcc, s7, v34
	s_and_b64 exec, exec, vcc
	s_cbranch_execz .LBB356_21
; %bb.5:
	v_mbcnt_lo_u32_b32 v0, -1, 0
	v_mbcnt_hi_u32_b32 v0, -1, v0
	v_and_b32_e32 v1, 63, v0
	v_cmp_lt_u32_e32 vcc, 43, v1
	s_cmp_lg_u32 s4, 0
	s_load_dword s5, s[8:9], 0x0
	s_load_dword s23, s[10:11], 0x0
	s_load_dwordx2 s[14:15], s[0:1], 0x18
	s_load_dwordx2 s[16:17], s[0:1], 0x30
	v_cndmask_b32_e64 v3, 20, 0, vcc
	v_add_lshl_u32 v33, v3, v0, 2
	v_cvt_f32_u32_e32 v3, s22
	v_cmp_lt_u32_e32 vcc, 23, v1
	s_cselect_b64 s[2:3], -1, 0
	s_add_i32 s24, s4, -16
	v_cndmask_b32_e64 v1, 40, 0, vcc
	v_add_lshl_u32 v42, v1, v0, 2
	v_rcp_iflag_f32_e32 v0, v3
	s_add_i32 s25, s7, -1
	s_mul_i32 s18, s18, s19
	s_cmp_lg_u64 s[12:13], 0
	v_mul_f32_e32 v0, 0x4f7ffffe, v0
	v_cvt_u32_f32_e32 v0, v0
	s_cselect_b64 s[10:11], -1, 0
	s_lshl_b32 s26, s18, 1
	s_sub_i32 s18, 0, s22
	v_mul_lo_u32 v1, s18, v0
	v_mul_hi_u32 v1, v0, v1
	v_add_u32_e32 v43, v0, v1
	v_cndmask_b32_e64 v0, 0, 1, s[2:3]
	v_cmp_eq_u32_e64 s[0:1], 0, v2
	s_mov_b64 s[8:9], 0
	v_mov_b32_e32 v37, 0
	v_cmp_ne_u32_e64 s[2:3], 1, v0
	s_branch .LBB356_7
.LBB356_6:                              ;   in Loop: Header=BB356_7 Depth=1
	s_or_b64 exec, exec, s[18:19]
	v_add_u32_e32 v34, s26, v34
	v_cmp_le_u32_e32 vcc, s7, v34
	s_or_b64 s[8:9], vcc, s[8:9]
	s_andn2_b64 exec, exec, s[8:9]
	s_cbranch_execz .LBB356_21
.LBB356_7:                              ; =>This Loop Header: Depth=1
                                        ;     Child Loop BB356_11 Depth 2
	s_and_b64 vcc, exec, s[2:3]
	v_or_b32_e32 v44, 1, v34
	v_mov_b32_e32 v7, v37
	v_mov_b32_e32 v6, v37
	s_waitcnt vmcnt(1)
	v_mov_b32_e32 v5, v37
	v_mov_b32_e32 v4, v37
	s_waitcnt lgkmcnt(0)
	v_mov_b32_e32 v3, v37
	v_mov_b32_e32 v2, v37
	;; [unrolled: 1-line block ×4, first 2 shown]
	s_cbranch_vccnz .LBB356_14
; %bb.8:                                ;   in Loop: Header=BB356_7 Depth=1
	v_min_u32_e32 v0, s25, v34
	v_mul_lo_u32 v38, v0, s6
	v_or_b32_e32 v0, 1, v34
	v_min_u32_e32 v0, s25, v0
	v_mul_lo_u32 v40, v0, s6
	v_mov_b32_e32 v0, 0
	v_mov_b32_e32 v39, v37
	;; [unrolled: 1-line block ×3, first 2 shown]
	s_mov_b32 s27, 0
	v_mov_b32_e32 v1, v0
	v_mov_b32_e32 v2, v0
	;; [unrolled: 1-line block ×7, first 2 shown]
	s_branch .LBB356_11
.LBB356_9:                              ;   in Loop: Header=BB356_11 Depth=2
	s_or_b64 exec, exec, s[20:21]
.LBB356_10:                             ;   in Loop: Header=BB356_11 Depth=2
	s_or_b64 exec, exec, s[18:19]
	s_waitcnt vmcnt(3) lgkmcnt(0)
	v_mfma_f32_16x16x32_fp8_fp8 v[4:7], v[28:29], v[24:25], v[4:7]
	s_addk_i32 s27, 0x800
	s_cmp_ge_u32 s27, s4
	s_waitcnt vmcnt(2)
	v_mfma_f32_16x16x32_fp8_fp8 v[0:3], v[28:29], v[20:21], v[0:3]
	v_mfma_f32_16x16x32_fp8_fp8 v[4:7], v[30:31], v[26:27], v[4:7]
	;; [unrolled: 1-line block ×3, first 2 shown]
	s_waitcnt vmcnt(1)
	v_mfma_f32_16x16x32_fp8_fp8 v[4:7], v[12:13], v[16:17], v[4:7]
	s_waitcnt vmcnt(0)
	v_mfma_f32_16x16x32_fp8_fp8 v[0:3], v[12:13], v[8:9], v[0:3]
	v_mfma_f32_16x16x32_fp8_fp8 v[4:7], v[14:15], v[18:19], v[4:7]
	;; [unrolled: 1-line block ×3, first 2 shown]
	s_cbranch_scc1 .LBB356_14
.LBB356_11:                             ;   Parent Loop BB356_7 Depth=1
                                        ; =>  This Inner Loop Header: Depth=2
	v_add_u32_e32 v35, s27, v32
	v_min_u32_e32 v36, s24, v35
	s_waitcnt lgkmcnt(0)
	v_lshl_add_u64 v[8:9], s[14:15], 0, v[36:37]
	v_add_u32_e32 v45, 0x400, v35
	v_lshl_add_u64 v[10:11], v[8:9], 0, v[38:39]
	v_lshl_add_u64 v[8:9], v[8:9], 0, v[40:41]
	v_min_u32_e32 v36, s24, v45
	global_load_dwordx4 v[24:27], v[10:11], off nt
	global_load_dwordx4 v[20:23], v[8:9], off nt
	v_lshl_add_u64 v[8:9], s[14:15], 0, v[36:37]
	v_lshl_add_u64 v[12:13], v[8:9], 0, v[38:39]
	;; [unrolled: 1-line block ×3, first 2 shown]
	global_load_dwordx4 v[16:19], v[12:13], off nt
	global_load_dwordx4 v[8:11], v[14:15], off nt
	v_mov_b64_e32 v[28:29], 0
	v_cmp_gt_u32_e32 vcc, s4, v35
	v_mov_b64_e32 v[30:31], v[28:29]
	v_mov_b64_e32 v[12:13], v[28:29]
	;; [unrolled: 1-line block ×3, first 2 shown]
	s_and_saveexec_b64 s[18:19], vcc
	s_cbranch_execz .LBB356_10
; %bb.12:                               ;   in Loop: Header=BB356_11 Depth=2
	ds_read_b128 v[28:31], v35
	v_mov_b64_e32 v[14:15], 0
	v_cmp_gt_u32_e32 vcc, s4, v45
	v_mov_b64_e32 v[12:13], v[14:15]
	s_and_saveexec_b64 s[20:21], vcc
	s_cbranch_execz .LBB356_9
; %bb.13:                               ;   in Loop: Header=BB356_11 Depth=2
	ds_read_b128 v[12:15], v35 offset:1024
	s_branch .LBB356_9
.LBB356_14:                             ;   in Loop: Header=BB356_7 Depth=1
	s_nop 4
	v_cvt_i32_f32_e32 v5, v5
	v_cvt_i32_f32_e32 v1, v1
	;; [unrolled: 1-line block ×6, first 2 shown]
	v_cvt_f32_i32_dpp v5, v5 row_shl:1 row_mask:0xf bank_mask:0xf bound_ctrl:1
	v_cvt_f32_i32_dpp v1, v1 row_shl:1 row_mask:0xf bank_mask:0xf bound_ctrl:1
	;; [unrolled: 1-line block ×6, first 2 shown]
	v_add_f32_e32 v4, v4, v5
	v_add_f32_e32 v0, v0, v1
	;; [unrolled: 1-line block ×6, first 2 shown]
	ds_bpermute_b32 v5, v33, v4
	ds_bpermute_b32 v3, v33, v2
	s_waitcnt lgkmcnt(0)
	v_add_f32_e32 v0, v4, v5
	v_add_f32_e32 v2, v2, v3
	ds_bpermute_b32 v1, v42, v0
	ds_bpermute_b32 v3, v42, v2
	s_and_saveexec_b64 s[18:19], s[0:1]
	s_cbranch_execz .LBB356_6
; %bb.15:                               ;   in Loop: Header=BB356_7 Depth=1
	s_and_b64 vcc, exec, s[10:11]
	s_cbranch_vccz .LBB356_20
; %bb.16:                               ;   in Loop: Header=BB356_7 Depth=1
	v_mul_hi_u32 v4, v34, v43
	v_mul_lo_u32 v4, v4, s22
	v_sub_u32_e32 v4, v34, v4
	v_subrev_u32_e32 v5, s22, v4
	v_cmp_le_u32_e32 vcc, s22, v4
	v_mov_b32_e32 v35, v37
	s_nop 0
	v_cndmask_b32_e32 v4, v4, v5, vcc
	v_subrev_u32_e32 v5, s22, v4
	v_cmp_le_u32_e32 vcc, s22, v4
	s_nop 1
	v_cndmask_b32_e32 v36, v4, v5, vcc
	v_or_b32_e32 v4, 1, v34
	v_mul_hi_u32 v5, v4, v43
	v_mul_lo_u32 v5, v5, s22
	v_sub_u32_e32 v5, v4, v5
	v_subrev_u32_e32 v6, s22, v5
	v_cmp_le_u32_e32 vcc, s22, v5
	v_lshl_add_u64 v[8:9], v[36:37], 1, s[12:13]
	s_nop 0
	v_cndmask_b32_e32 v5, v5, v6, vcc
	v_subrev_u32_e32 v6, s22, v5
	v_cmp_le_u32_e32 vcc, s22, v5
	s_nop 1
	v_cndmask_b32_e32 v36, v5, v6, vcc
	v_lshl_add_u64 v[10:11], v[36:37], 1, s[12:13]
	global_load_ushort v6, v[8:9], off
	global_load_ushort v5, v[10:11], off
	s_cbranch_execnz .LBB356_18
.LBB356_17:                             ;   in Loop: Header=BB356_7 Depth=1
	v_mov_b32_e32 v35, v37
	s_waitcnt vmcnt(0)
	v_mov_b32_e32 v5, 0
	v_mov_b32_e32 v4, v44
	;; [unrolled: 1-line block ×3, first 2 shown]
.LBB356_18:                             ;   in Loop: Header=BB356_7 Depth=1
	s_waitcnt lgkmcnt(1)
	v_add_f32_e32 v0, v0, v1
	v_mul_f32_e32 v0, s5, v0
	s_waitcnt vmcnt(1)
	v_fma_mixlo_f16 v6, s23, v0, v6 op_sel_hi:[0,0,1]
	v_lshl_add_u64 v[0:1], v[34:35], 1, s[16:17]
	v_cmp_gt_u32_e32 vcc, s7, v4
	global_store_short v[0:1], v6, off
	s_and_b64 exec, exec, vcc
	s_cbranch_execz .LBB356_6
; %bb.19:                               ;   in Loop: Header=BB356_7 Depth=1
	s_waitcnt lgkmcnt(0)
	v_add_f32_e32 v2, v2, v3
	v_mul_f32_e32 v2, s5, v2
	s_waitcnt vmcnt(1)
	v_fma_mixlo_f16 v2, s23, v2, v5 op_sel_hi:[0,0,1]
	global_store_short v[0:1], v2, off offset:2
	s_branch .LBB356_6
.LBB356_20:                             ;   in Loop: Header=BB356_7 Depth=1
                                        ; implicit-def: $vgpr6
                                        ; implicit-def: $vgpr5
                                        ; implicit-def: $vgpr4
	s_branch .LBB356_17
.LBB356_21:
	s_endpgm
	.section	.rodata,"a",@progbits
	.p2align	6, 0x0
	.amdhsa_kernel _Z17wvSplitKQ_hf_sml_I6__halfN3c1015Float8_e4m3fnuzELi64ELi2ELi16ELi16ELi2ELi1EEviiiiiiPKT0_S5_PKT_PS6_PKfSB_ii
		.amdhsa_group_segment_fixed_size 65536
		.amdhsa_private_segment_fixed_size 0
		.amdhsa_kernarg_size 80
		.amdhsa_user_sgpr_count 2
		.amdhsa_user_sgpr_dispatch_ptr 0
		.amdhsa_user_sgpr_queue_ptr 0
		.amdhsa_user_sgpr_kernarg_segment_ptr 1
		.amdhsa_user_sgpr_dispatch_id 0
		.amdhsa_user_sgpr_kernarg_preload_length 0
		.amdhsa_user_sgpr_kernarg_preload_offset 0
		.amdhsa_user_sgpr_private_segment_size 0
		.amdhsa_uses_dynamic_stack 0
		.amdhsa_enable_private_segment 0
		.amdhsa_system_sgpr_workgroup_id_x 1
		.amdhsa_system_sgpr_workgroup_id_y 0
		.amdhsa_system_sgpr_workgroup_id_z 0
		.amdhsa_system_sgpr_workgroup_info 0
		.amdhsa_system_vgpr_workitem_id 1
		.amdhsa_next_free_vgpr 46
		.amdhsa_next_free_sgpr 28
		.amdhsa_accum_offset 48
		.amdhsa_reserve_vcc 1
		.amdhsa_float_round_mode_32 0
		.amdhsa_float_round_mode_16_64 0
		.amdhsa_float_denorm_mode_32 3
		.amdhsa_float_denorm_mode_16_64 3
		.amdhsa_dx10_clamp 1
		.amdhsa_ieee_mode 1
		.amdhsa_fp16_overflow 0
		.amdhsa_tg_split 0
		.amdhsa_exception_fp_ieee_invalid_op 0
		.amdhsa_exception_fp_denorm_src 0
		.amdhsa_exception_fp_ieee_div_zero 0
		.amdhsa_exception_fp_ieee_overflow 0
		.amdhsa_exception_fp_ieee_underflow 0
		.amdhsa_exception_fp_ieee_inexact 0
		.amdhsa_exception_int_div_zero 0
	.end_amdhsa_kernel
	.section	.text._Z17wvSplitKQ_hf_sml_I6__halfN3c1015Float8_e4m3fnuzELi64ELi2ELi16ELi16ELi2ELi1EEviiiiiiPKT0_S5_PKT_PS6_PKfSB_ii,"axG",@progbits,_Z17wvSplitKQ_hf_sml_I6__halfN3c1015Float8_e4m3fnuzELi64ELi2ELi16ELi16ELi2ELi1EEviiiiiiPKT0_S5_PKT_PS6_PKfSB_ii,comdat
.Lfunc_end356:
	.size	_Z17wvSplitKQ_hf_sml_I6__halfN3c1015Float8_e4m3fnuzELi64ELi2ELi16ELi16ELi2ELi1EEviiiiiiPKT0_S5_PKT_PS6_PKfSB_ii, .Lfunc_end356-_Z17wvSplitKQ_hf_sml_I6__halfN3c1015Float8_e4m3fnuzELi64ELi2ELi16ELi16ELi2ELi1EEviiiiiiPKT0_S5_PKT_PS6_PKfSB_ii
                                        ; -- End function
	.section	.AMDGPU.csdata,"",@progbits
; Kernel info:
; codeLenInByte = 1304
; NumSgprs: 34
; NumVgprs: 46
; NumAgprs: 0
; TotalNumVgprs: 46
; ScratchSize: 0
; MemoryBound: 0
; FloatMode: 240
; IeeeMode: 1
; LDSByteSize: 65536 bytes/workgroup (compile time only)
; SGPRBlocks: 4
; VGPRBlocks: 5
; NumSGPRsForWavesPerEU: 34
; NumVGPRsForWavesPerEU: 46
; AccumOffset: 48
; Occupancy: 4
; WaveLimiterHint : 0
; COMPUTE_PGM_RSRC2:SCRATCH_EN: 0
; COMPUTE_PGM_RSRC2:USER_SGPR: 2
; COMPUTE_PGM_RSRC2:TRAP_HANDLER: 0
; COMPUTE_PGM_RSRC2:TGID_X_EN: 1
; COMPUTE_PGM_RSRC2:TGID_Y_EN: 0
; COMPUTE_PGM_RSRC2:TGID_Z_EN: 0
; COMPUTE_PGM_RSRC2:TIDIG_COMP_CNT: 1
; COMPUTE_PGM_RSRC3_GFX90A:ACCUM_OFFSET: 11
; COMPUTE_PGM_RSRC3_GFX90A:TG_SPLIT: 0
	.section	.text._Z13wvSplitKQ_hf_I6__halfN3c1015Float8_e4m3fnuzELi64ELi2ELi16ELi16ELi2ELi1EEviiiiiiPKT0_S5_PKT_PS6_PKfSB_ii,"axG",@progbits,_Z13wvSplitKQ_hf_I6__halfN3c1015Float8_e4m3fnuzELi64ELi2ELi16ELi16ELi2ELi1EEviiiiiiPKT0_S5_PKT_PS6_PKfSB_ii,comdat
	.protected	_Z13wvSplitKQ_hf_I6__halfN3c1015Float8_e4m3fnuzELi64ELi2ELi16ELi16ELi2ELi1EEviiiiiiPKT0_S5_PKT_PS6_PKfSB_ii ; -- Begin function _Z13wvSplitKQ_hf_I6__halfN3c1015Float8_e4m3fnuzELi64ELi2ELi16ELi16ELi2ELi1EEviiiiiiPKT0_S5_PKT_PS6_PKfSB_ii
	.globl	_Z13wvSplitKQ_hf_I6__halfN3c1015Float8_e4m3fnuzELi64ELi2ELi16ELi16ELi2ELi1EEviiiiiiPKT0_S5_PKT_PS6_PKfSB_ii
	.p2align	8
	.type	_Z13wvSplitKQ_hf_I6__halfN3c1015Float8_e4m3fnuzELi64ELi2ELi16ELi16ELi2ELi1EEviiiiiiPKT0_S5_PKT_PS6_PKfSB_ii,@function
_Z13wvSplitKQ_hf_I6__halfN3c1015Float8_e4m3fnuzELi64ELi2ELi16ELi16ELi2ELi1EEviiiiiiPKT0_S5_PKT_PS6_PKfSB_ii: ; @_Z13wvSplitKQ_hf_I6__halfN3c1015Float8_e4m3fnuzELi64ELi2ELi16ELi16ELi2ELi1EEviiiiiiPKT0_S5_PKT_PS6_PKfSB_ii
; %bb.0:
	s_load_dwordx4 s[4:7], s[0:1], 0x0
	s_load_dword s26, s[0:1], 0x10
	s_load_dwordx4 s[12:15], s[0:1], 0x38
	s_load_dwordx4 s[8:11], s[0:1], 0x20
	v_and_b32_e32 v2, 0x3ff, v0
	v_bfe_u32 v3, v0, 10, 10
	v_lshlrev_b32_e32 v32, 4, v2
	v_lshl_add_u32 v4, v3, 10, v32
	s_waitcnt lgkmcnt(0)
	s_min_u32 s3, s5, 0x10000
	v_cmp_gt_u32_e32 vcc, s3, v4
	s_and_saveexec_b64 s[16:17], vcc
	s_cbranch_execz .LBB357_3
; %bb.1:
	v_mov_b32_e32 v1, 0
	v_lshlrev_b32_e32 v0, 10, v3
	v_mov_b32_e32 v33, v1
	v_lshl_add_u64 v[0:1], v[0:1], 0, v[32:33]
	v_lshl_add_u64 v[0:1], s[8:9], 0, v[0:1]
	s_mov_b64 s[18:19], 0
	s_mov_b64 s[20:21], 0x4000
.LBB357_2:                              ; =>This Inner Loop Header: Depth=1
	global_load_dwordx4 v[6:9], v[0:1], off
	v_lshl_add_u64 v[0:1], v[0:1], 0, s[20:21]
	s_waitcnt vmcnt(0)
	ds_write_b128 v4, v[6:9]
	v_add_u32_e32 v4, 0x4000, v4
	v_cmp_le_u32_e32 vcc, s3, v4
	s_or_b64 s[18:19], vcc, s[18:19]
	s_andn2_b64 exec, exec, s[18:19]
	s_cbranch_execnz .LBB357_2
.LBB357_3:
	s_or_b64 exec, exec, s[16:17]
	s_load_dwordx2 s[20:21], s[0:1], 0x48
	;;#ASMSTART
	s_waitcnt vmcnt(0)
	;;#ASMEND
	s_waitcnt lgkmcnt(0)
	s_barrier
	v_cmp_gt_u32_e32 vcc, s20, v3
	s_and_saveexec_b64 s[16:17], vcc
	s_cbranch_execz .LBB357_29
; %bb.4:
	s_mul_i32 s2, s2, s20
	v_add_lshl_u32 v34, s2, v3, 1
	v_cmp_gt_u32_e32 vcc, s7, v34
	s_and_b64 exec, exec, vcc
	s_cbranch_execz .LBB357_29
; %bb.5:
	v_mbcnt_lo_u32_b32 v0, -1, 0
	v_mbcnt_hi_u32_b32 v0, -1, v0
	v_and_b32_e32 v1, 63, v0
	v_cmp_lt_u32_e32 vcc, 43, v1
	s_cmp_lg_u32 s4, 0
	s_load_dword s5, s[12:13], 0x0
	s_load_dword s27, s[14:15], 0x0
	s_load_dwordx2 s[16:17], s[0:1], 0x18
	s_load_dwordx2 s[18:19], s[0:1], 0x30
	v_cndmask_b32_e64 v3, 20, 0, vcc
	v_add_lshl_u32 v33, v3, v0, 2
	v_cvt_f32_u32_e32 v3, s26
	v_cmp_lt_u32_e32 vcc, 23, v1
	s_cselect_b64 s[2:3], -1, 0
	s_add_i32 s28, s4, -16
	v_cndmask_b32_e64 v1, 40, 0, vcc
	v_add_lshl_u32 v42, v1, v0, 2
	v_rcp_iflag_f32_e32 v0, v3
	s_add_i32 s29, s7, -1
	s_mul_i32 s20, s20, s21
	s_cmp_lg_u64 s[10:11], 0
	v_mul_f32_e32 v0, 0x4f7ffffe, v0
	v_cvt_u32_f32_e32 v0, v0
	s_cselect_b64 s[14:15], -1, 0
	s_lshl_b32 s30, s20, 1
	s_sub_i32 s20, 0, s26
	v_mul_lo_u32 v1, s20, v0
	v_mul_hi_u32 v1, v0, v1
	v_add_u32_e32 v43, v0, v1
	v_cndmask_b32_e64 v0, 0, 1, s[2:3]
	v_cmp_eq_u32_e64 s[0:1], 0, v2
	s_mov_b64 s[12:13], 0
	v_mov_b32_e32 v37, 0
	v_cmp_ne_u32_e64 s[2:3], 1, v0
	s_mov_b32 s31, 0xffff
	s_branch .LBB357_7
.LBB357_6:                              ;   in Loop: Header=BB357_7 Depth=1
	s_or_b64 exec, exec, s[20:21]
	v_add_u32_e32 v34, s30, v34
	v_cmp_le_u32_e32 vcc, s7, v34
	s_or_b64 s[12:13], vcc, s[12:13]
	s_andn2_b64 exec, exec, s[12:13]
	s_cbranch_execz .LBB357_29
.LBB357_7:                              ; =>This Loop Header: Depth=1
                                        ;     Child Loop BB357_12 Depth 2
	s_and_b64 vcc, exec, s[2:3]
	v_or_b32_e32 v44, 1, v34
	v_mov_b32_e32 v7, v37
	v_mov_b32_e32 v6, v37
	s_waitcnt vmcnt(1)
	v_mov_b32_e32 v5, v37
	v_mov_b32_e32 v4, v37
	s_waitcnt lgkmcnt(0)
	v_mov_b32_e32 v3, v37
	v_mov_b32_e32 v2, v37
	;; [unrolled: 1-line block ×4, first 2 shown]
	s_cbranch_vccnz .LBB357_22
; %bb.8:                                ;   in Loop: Header=BB357_7 Depth=1
	v_min_u32_e32 v0, s29, v34
	v_mul_lo_u32 v38, v0, s6
	v_or_b32_e32 v0, 1, v34
	v_min_u32_e32 v0, s29, v0
	v_mul_lo_u32 v40, v0, s6
	v_mov_b32_e32 v0, 0
	v_mov_b32_e32 v39, v37
	;; [unrolled: 1-line block ×3, first 2 shown]
	s_mov_b32 s33, 0
	v_mov_b32_e32 v1, v0
	v_mov_b32_e32 v2, v0
	;; [unrolled: 1-line block ×7, first 2 shown]
	s_branch .LBB357_12
.LBB357_9:                              ;   in Loop: Header=BB357_12 Depth=2
	s_or_b64 exec, exec, s[24:25]
.LBB357_10:                             ;   in Loop: Header=BB357_12 Depth=2
	s_or_b64 exec, exec, s[22:23]
.LBB357_11:                             ;   in Loop: Header=BB357_12 Depth=2
	s_or_b64 exec, exec, s[20:21]
	s_waitcnt vmcnt(0) lgkmcnt(0)
	v_mfma_f32_16x16x32_fp8_fp8 v[4:7], v[24:25], v[20:21], v[4:7]
	s_addk_i32 s33, 0x800
	s_cmp_ge_u32 s33, s4
	v_mfma_f32_16x16x32_fp8_fp8 v[0:3], v[24:25], v[16:17], v[0:3]
	v_mfma_f32_16x16x32_fp8_fp8 v[4:7], v[26:27], v[22:23], v[4:7]
	;; [unrolled: 1-line block ×7, first 2 shown]
	s_cbranch_scc1 .LBB357_22
.LBB357_12:                             ;   Parent Loop BB357_7 Depth=1
                                        ; =>  This Inner Loop Header: Depth=2
	v_add_u32_e32 v35, s33, v32
	v_min_u32_e32 v36, s28, v35
	s_waitcnt lgkmcnt(0)
	v_lshl_add_u64 v[8:9], s[16:17], 0, v[36:37]
	v_add_u32_e32 v45, 0x400, v35
	v_lshl_add_u64 v[10:11], v[8:9], 0, v[38:39]
	v_lshl_add_u64 v[8:9], v[8:9], 0, v[40:41]
	v_min_u32_e32 v36, s28, v45
	global_load_dwordx4 v[20:23], v[10:11], off nt
	global_load_dwordx4 v[16:19], v[8:9], off nt
	v_lshl_add_u64 v[8:9], s[16:17], 0, v[36:37]
	v_lshl_add_u64 v[24:25], v[8:9], 0, v[38:39]
	;; [unrolled: 1-line block ×3, first 2 shown]
	global_load_dwordx4 v[12:15], v[24:25], off nt
	global_load_dwordx4 v[8:11], v[26:27], off nt
	v_mov_b64_e32 v[30:31], 0
	v_cmp_gt_u32_e32 vcc, s4, v35
	v_mov_b64_e32 v[28:29], v[30:31]
	v_mov_b64_e32 v[26:27], v[30:31]
	v_mov_b64_e32 v[24:25], v[30:31]
	s_and_saveexec_b64 s[20:21], vcc
	s_cbranch_execz .LBB357_11
; %bb.13:                               ;   in Loop: Header=BB357_12 Depth=2
	v_cmp_lt_u32_e32 vcc, s31, v35
                                        ; implicit-def: $vgpr26_vgpr27
	s_and_saveexec_b64 s[22:23], vcc
	s_xor_b64 s[22:23], exec, s[22:23]
	s_cbranch_execz .LBB357_15
; %bb.14:                               ;   in Loop: Header=BB357_12 Depth=2
	global_load_dwordx4 v[24:27], v35, s[8:9]
.LBB357_15:                             ;   in Loop: Header=BB357_12 Depth=2
	s_andn2_saveexec_b64 s[22:23], s[22:23]
	s_cbranch_execz .LBB357_17
; %bb.16:                               ;   in Loop: Header=BB357_12 Depth=2
	s_waitcnt vmcnt(0)
	ds_read_b128 v[24:27], v35
.LBB357_17:                             ;   in Loop: Header=BB357_12 Depth=2
	s_or_b64 exec, exec, s[22:23]
	v_mov_b64_e32 v[30:31], 0
	v_cmp_gt_u32_e32 vcc, s4, v45
	v_mov_b64_e32 v[28:29], v[30:31]
	s_and_saveexec_b64 s[22:23], vcc
	s_cbranch_execz .LBB357_10
; %bb.18:                               ;   in Loop: Header=BB357_12 Depth=2
	v_cmp_lt_u32_e32 vcc, s31, v45
                                        ; implicit-def: $vgpr30_vgpr31
	s_and_saveexec_b64 s[24:25], vcc
	s_xor_b64 s[24:25], exec, s[24:25]
	s_cbranch_execz .LBB357_20
; %bb.19:                               ;   in Loop: Header=BB357_12 Depth=2
	global_load_dwordx4 v[28:31], v45, s[8:9]
                                        ; implicit-def: $vgpr35
.LBB357_20:                             ;   in Loop: Header=BB357_12 Depth=2
	s_andn2_saveexec_b64 s[24:25], s[24:25]
	s_cbranch_execz .LBB357_9
; %bb.21:                               ;   in Loop: Header=BB357_12 Depth=2
	s_waitcnt vmcnt(0)
	ds_read_b128 v[28:31], v35 offset:1024
	s_branch .LBB357_9
.LBB357_22:                             ;   in Loop: Header=BB357_7 Depth=1
	s_nop 4
	v_cvt_i32_f32_e32 v5, v5
	v_cvt_i32_f32_e32 v1, v1
	;; [unrolled: 1-line block ×6, first 2 shown]
	v_cvt_f32_i32_dpp v5, v5 row_shl:1 row_mask:0xf bank_mask:0xf bound_ctrl:1
	v_cvt_f32_i32_dpp v1, v1 row_shl:1 row_mask:0xf bank_mask:0xf bound_ctrl:1
	;; [unrolled: 1-line block ×6, first 2 shown]
	v_add_f32_e32 v4, v4, v5
	v_add_f32_e32 v0, v0, v1
	v_add_f32_e32 v4, v4, v6
	v_add_f32_e32 v0, v0, v2
	v_add_f32_e32 v4, v4, v7
	v_add_f32_e32 v2, v0, v3
	ds_bpermute_b32 v5, v33, v4
	ds_bpermute_b32 v3, v33, v2
	s_waitcnt lgkmcnt(0)
	v_add_f32_e32 v0, v4, v5
	v_add_f32_e32 v2, v2, v3
	ds_bpermute_b32 v1, v42, v0
	ds_bpermute_b32 v3, v42, v2
	s_and_saveexec_b64 s[20:21], s[0:1]
	s_cbranch_execz .LBB357_6
; %bb.23:                               ;   in Loop: Header=BB357_7 Depth=1
	s_and_b64 vcc, exec, s[14:15]
	s_cbranch_vccz .LBB357_28
; %bb.24:                               ;   in Loop: Header=BB357_7 Depth=1
	v_mul_hi_u32 v4, v34, v43
	v_mul_lo_u32 v4, v4, s26
	v_sub_u32_e32 v4, v34, v4
	v_subrev_u32_e32 v5, s26, v4
	v_cmp_le_u32_e32 vcc, s26, v4
	v_mov_b32_e32 v35, v37
	s_nop 0
	v_cndmask_b32_e32 v4, v4, v5, vcc
	v_subrev_u32_e32 v5, s26, v4
	v_cmp_le_u32_e32 vcc, s26, v4
	s_nop 1
	v_cndmask_b32_e32 v36, v4, v5, vcc
	v_or_b32_e32 v4, 1, v34
	v_mul_hi_u32 v5, v4, v43
	v_mul_lo_u32 v5, v5, s26
	v_sub_u32_e32 v5, v4, v5
	v_subrev_u32_e32 v6, s26, v5
	v_cmp_le_u32_e32 vcc, s26, v5
	v_lshl_add_u64 v[8:9], v[36:37], 1, s[10:11]
	s_nop 0
	v_cndmask_b32_e32 v5, v5, v6, vcc
	v_subrev_u32_e32 v6, s26, v5
	v_cmp_le_u32_e32 vcc, s26, v5
	s_nop 1
	v_cndmask_b32_e32 v36, v5, v6, vcc
	v_lshl_add_u64 v[10:11], v[36:37], 1, s[10:11]
	global_load_ushort v6, v[8:9], off
	global_load_ushort v5, v[10:11], off
	s_cbranch_execnz .LBB357_26
.LBB357_25:                             ;   in Loop: Header=BB357_7 Depth=1
	v_mov_b32_e32 v35, v37
	s_waitcnt vmcnt(0)
	v_mov_b32_e32 v5, 0
	v_mov_b32_e32 v4, v44
	;; [unrolled: 1-line block ×3, first 2 shown]
.LBB357_26:                             ;   in Loop: Header=BB357_7 Depth=1
	s_waitcnt lgkmcnt(1)
	v_add_f32_e32 v0, v0, v1
	v_mul_f32_e32 v0, s5, v0
	s_waitcnt vmcnt(1)
	v_fma_mixlo_f16 v6, s27, v0, v6 op_sel_hi:[0,0,1]
	v_lshl_add_u64 v[0:1], v[34:35], 1, s[18:19]
	v_cmp_gt_u32_e32 vcc, s7, v4
	global_store_short v[0:1], v6, off
	s_and_b64 exec, exec, vcc
	s_cbranch_execz .LBB357_6
; %bb.27:                               ;   in Loop: Header=BB357_7 Depth=1
	s_waitcnt lgkmcnt(0)
	v_add_f32_e32 v2, v2, v3
	v_mul_f32_e32 v2, s5, v2
	s_waitcnt vmcnt(1)
	v_fma_mixlo_f16 v2, s27, v2, v5 op_sel_hi:[0,0,1]
	global_store_short v[0:1], v2, off offset:2
	s_branch .LBB357_6
.LBB357_28:                             ;   in Loop: Header=BB357_7 Depth=1
                                        ; implicit-def: $vgpr6
                                        ; implicit-def: $vgpr5
                                        ; implicit-def: $vgpr4
	s_branch .LBB357_25
.LBB357_29:
	s_endpgm
	.section	.rodata,"a",@progbits
	.p2align	6, 0x0
	.amdhsa_kernel _Z13wvSplitKQ_hf_I6__halfN3c1015Float8_e4m3fnuzELi64ELi2ELi16ELi16ELi2ELi1EEviiiiiiPKT0_S5_PKT_PS6_PKfSB_ii
		.amdhsa_group_segment_fixed_size 65536
		.amdhsa_private_segment_fixed_size 0
		.amdhsa_kernarg_size 80
		.amdhsa_user_sgpr_count 2
		.amdhsa_user_sgpr_dispatch_ptr 0
		.amdhsa_user_sgpr_queue_ptr 0
		.amdhsa_user_sgpr_kernarg_segment_ptr 1
		.amdhsa_user_sgpr_dispatch_id 0
		.amdhsa_user_sgpr_kernarg_preload_length 0
		.amdhsa_user_sgpr_kernarg_preload_offset 0
		.amdhsa_user_sgpr_private_segment_size 0
		.amdhsa_uses_dynamic_stack 0
		.amdhsa_enable_private_segment 0
		.amdhsa_system_sgpr_workgroup_id_x 1
		.amdhsa_system_sgpr_workgroup_id_y 0
		.amdhsa_system_sgpr_workgroup_id_z 0
		.amdhsa_system_sgpr_workgroup_info 0
		.amdhsa_system_vgpr_workitem_id 1
		.amdhsa_next_free_vgpr 46
		.amdhsa_next_free_sgpr 34
		.amdhsa_accum_offset 48
		.amdhsa_reserve_vcc 1
		.amdhsa_float_round_mode_32 0
		.amdhsa_float_round_mode_16_64 0
		.amdhsa_float_denorm_mode_32 3
		.amdhsa_float_denorm_mode_16_64 3
		.amdhsa_dx10_clamp 1
		.amdhsa_ieee_mode 1
		.amdhsa_fp16_overflow 0
		.amdhsa_tg_split 0
		.amdhsa_exception_fp_ieee_invalid_op 0
		.amdhsa_exception_fp_denorm_src 0
		.amdhsa_exception_fp_ieee_div_zero 0
		.amdhsa_exception_fp_ieee_overflow 0
		.amdhsa_exception_fp_ieee_underflow 0
		.amdhsa_exception_fp_ieee_inexact 0
		.amdhsa_exception_int_div_zero 0
	.end_amdhsa_kernel
	.section	.text._Z13wvSplitKQ_hf_I6__halfN3c1015Float8_e4m3fnuzELi64ELi2ELi16ELi16ELi2ELi1EEviiiiiiPKT0_S5_PKT_PS6_PKfSB_ii,"axG",@progbits,_Z13wvSplitKQ_hf_I6__halfN3c1015Float8_e4m3fnuzELi64ELi2ELi16ELi16ELi2ELi1EEviiiiiiPKT0_S5_PKT_PS6_PKfSB_ii,comdat
.Lfunc_end357:
	.size	_Z13wvSplitKQ_hf_I6__halfN3c1015Float8_e4m3fnuzELi64ELi2ELi16ELi16ELi2ELi1EEviiiiiiPKT0_S5_PKT_PS6_PKfSB_ii, .Lfunc_end357-_Z13wvSplitKQ_hf_I6__halfN3c1015Float8_e4m3fnuzELi64ELi2ELi16ELi16ELi2ELi1EEviiiiiiPKT0_S5_PKT_PS6_PKfSB_ii
                                        ; -- End function
	.section	.AMDGPU.csdata,"",@progbits
; Kernel info:
; codeLenInByte = 1368
; NumSgprs: 40
; NumVgprs: 46
; NumAgprs: 0
; TotalNumVgprs: 46
; ScratchSize: 0
; MemoryBound: 1
; FloatMode: 240
; IeeeMode: 1
; LDSByteSize: 65536 bytes/workgroup (compile time only)
; SGPRBlocks: 4
; VGPRBlocks: 5
; NumSGPRsForWavesPerEU: 40
; NumVGPRsForWavesPerEU: 46
; AccumOffset: 48
; Occupancy: 4
; WaveLimiterHint : 0
; COMPUTE_PGM_RSRC2:SCRATCH_EN: 0
; COMPUTE_PGM_RSRC2:USER_SGPR: 2
; COMPUTE_PGM_RSRC2:TRAP_HANDLER: 0
; COMPUTE_PGM_RSRC2:TGID_X_EN: 1
; COMPUTE_PGM_RSRC2:TGID_Y_EN: 0
; COMPUTE_PGM_RSRC2:TGID_Z_EN: 0
; COMPUTE_PGM_RSRC2:TIDIG_COMP_CNT: 1
; COMPUTE_PGM_RSRC3_GFX90A:ACCUM_OFFSET: 11
; COMPUTE_PGM_RSRC3_GFX90A:TG_SPLIT: 0
	.section	.text._Z17wvSplitKQ_hf_sml_I6__halfN3c1015Float8_e4m3fnuzELi32ELi2ELi16ELi16ELi2ELi2EEviiiiiiPKT0_S5_PKT_PS6_PKfSB_ii,"axG",@progbits,_Z17wvSplitKQ_hf_sml_I6__halfN3c1015Float8_e4m3fnuzELi32ELi2ELi16ELi16ELi2ELi2EEviiiiiiPKT0_S5_PKT_PS6_PKfSB_ii,comdat
	.protected	_Z17wvSplitKQ_hf_sml_I6__halfN3c1015Float8_e4m3fnuzELi32ELi2ELi16ELi16ELi2ELi2EEviiiiiiPKT0_S5_PKT_PS6_PKfSB_ii ; -- Begin function _Z17wvSplitKQ_hf_sml_I6__halfN3c1015Float8_e4m3fnuzELi32ELi2ELi16ELi16ELi2ELi2EEviiiiiiPKT0_S5_PKT_PS6_PKfSB_ii
	.globl	_Z17wvSplitKQ_hf_sml_I6__halfN3c1015Float8_e4m3fnuzELi32ELi2ELi16ELi16ELi2ELi2EEviiiiiiPKT0_S5_PKT_PS6_PKfSB_ii
	.p2align	8
	.type	_Z17wvSplitKQ_hf_sml_I6__halfN3c1015Float8_e4m3fnuzELi32ELi2ELi16ELi16ELi2ELi2EEviiiiiiPKT0_S5_PKT_PS6_PKfSB_ii,@function
_Z17wvSplitKQ_hf_sml_I6__halfN3c1015Float8_e4m3fnuzELi32ELi2ELi16ELi16ELi2ELi2EEviiiiiiPKT0_S5_PKT_PS6_PKfSB_ii: ; @_Z17wvSplitKQ_hf_sml_I6__halfN3c1015Float8_e4m3fnuzELi32ELi2ELi16ELi16ELi2ELi2EEviiiiiiPKT0_S5_PKT_PS6_PKfSB_ii
; %bb.0:
	s_load_dwordx4 s[12:15], s[0:1], 0x0
	v_and_b32_e32 v4, 0x3ff, v0
	v_bfe_u32 v5, v0, 10, 10
	v_lshlrev_b32_e32 v56, 4, v4
	v_lshl_add_u32 v0, v5, 9, v56
	s_waitcnt lgkmcnt(0)
	s_lshl_b32 s3, s13, 1
	s_min_u32 s3, s3, 0x10000
	v_cmp_gt_u32_e32 vcc, s3, v0
	s_and_saveexec_b64 s[4:5], vcc
	s_cbranch_execz .LBB358_9
; %bb.1:
	s_load_dwordx2 s[6:7], s[0:1], 0x20
	v_add_u32_e32 v1, 0x2000, v0
	v_cmp_gt_u32_e32 vcc, s3, v1
	s_waitcnt lgkmcnt(0)
	global_load_dwordx4 v[6:9], v0, s[6:7]
	s_waitcnt vmcnt(0)
	ds_write_b128 v0, v[6:9]
	s_and_saveexec_b64 s[8:9], vcc
	s_xor_b64 s[8:9], exec, s[8:9]
	s_cbranch_execz .LBB358_9
; %bb.2:
	v_mov_b32_e32 v1, 0
	v_lshl_add_u64 v[2:3], s[6:7], 0, v[0:1]
	v_add_co_u32_e32 v6, vcc, 0x2000, v2
	v_add_u32_e32 v1, 0x4000, v0
	s_nop 0
	v_addc_co_u32_e32 v7, vcc, 0, v3, vcc
	global_load_dwordx4 v[6:9], v[6:7], off
	v_cmp_gt_u32_e32 vcc, s3, v1
	s_waitcnt vmcnt(0)
	ds_write_b128 v0, v[6:9] offset:8192
	s_and_saveexec_b64 s[6:7], vcc
	s_xor_b64 s[6:7], exec, s[6:7]
	s_cbranch_execz .LBB358_9
; %bb.3:
	v_add_co_u32_e32 v6, vcc, 0x4000, v2
	v_add_u32_e32 v1, 0x6000, v0
	s_nop 0
	v_addc_co_u32_e32 v7, vcc, 0, v3, vcc
	global_load_dwordx4 v[6:9], v[6:7], off
	v_cmp_gt_u32_e32 vcc, s3, v1
	s_waitcnt vmcnt(0)
	ds_write_b128 v0, v[6:9] offset:16384
	s_and_saveexec_b64 s[6:7], vcc
	s_xor_b64 s[6:7], exec, s[6:7]
	s_cbranch_execz .LBB358_9
; %bb.4:
	;; [unrolled: 12-line block ×6, first 2 shown]
	v_add_co_u32_e32 v2, vcc, 0xe000, v2
	s_nop 1
	v_addc_co_u32_e32 v3, vcc, 0, v3, vcc
	global_load_dwordx4 v[6:9], v[2:3], off
	s_waitcnt vmcnt(0)
	ds_write_b128 v0, v[6:9] offset:57344
.LBB358_9:
	s_or_b64 exec, exec, s[4:5]
	s_load_dwordx2 s[20:21], s[0:1], 0x48
	;;#ASMSTART
	s_waitcnt vmcnt(0)
	;;#ASMEND
	s_waitcnt lgkmcnt(0)
	s_barrier
	v_cmp_gt_u32_e32 vcc, s20, v5
	s_and_saveexec_b64 s[4:5], vcc
	s_cbranch_execz .LBB358_29
; %bb.10:
	s_load_dwordx2 s[16:17], s[0:1], 0x10
	s_mul_i32 s2, s2, s20
	v_add_lshl_u32 v48, s2, v5, 1
	v_cmp_gt_u32_e32 vcc, s15, v48
	s_and_b64 exec, exec, vcc
	s_cbranch_execz .LBB358_29
; %bb.11:
	v_mbcnt_lo_u32_b32 v0, -1, 0
	v_mbcnt_hi_u32_b32 v0, -1, v0
	v_and_b32_e32 v1, 63, v0
	v_cmp_lt_u32_e32 vcc, 43, v1
	s_load_dwordx8 s[4:11], s[0:1], 0x28
	s_load_dwordx2 s[18:19], s[0:1], 0x18
	v_cndmask_b32_e64 v2, 20, 0, vcc
	v_add_lshl_u32 v57, v2, v0, 2
	s_waitcnt lgkmcnt(0)
	v_cvt_f32_u32_e32 v2, s16
	v_cmp_lt_u32_e32 vcc, 23, v1
	s_cmp_lg_u32 s12, 0
	s_cselect_b64 s[2:3], -1, 0
	v_cndmask_b32_e64 v1, 40, 0, vcc
	v_add_lshl_u32 v58, v1, v0, 2
	v_rcp_iflag_f32_e32 v0, v2
	s_add_i32 s26, s12, -16
	s_add_i32 s27, s15, -1
	s_mul_i32 s20, s20, s21
	v_mul_f32_e32 v0, 0x4f7ffffe, v0
	v_cvt_u32_f32_e32 v0, v0
	s_cmp_lg_u64 s[4:5], 0
	s_load_dword s24, s[8:9], 0x0
	s_load_dword s25, s[10:11], 0x0
	s_cselect_b64 s[10:11], -1, 0
	s_lshl_b32 s28, s20, 1
	s_sub_i32 s20, 0, s16
	s_abs_i32 s17, s17
	v_mul_lo_u32 v1, s20, v0
	s_sub_i32 s20, 1, s17
	s_cmp_lt_u32 s17, 2
	s_cselect_b32 s20, s20, 1
	s_sub_i32 s21, s20, s17
	v_mul_hi_u32 v1, v0, v1
	s_cmp_ge_u32 s20, s17
	v_add_u32_e32 v59, v0, v1
	s_cselect_b32 s17, s21, s20
	v_cndmask_b32_e64 v0, 0, 1, s[2:3]
	v_cmp_eq_u32_e64 s[0:1], 0, v4
	s_mov_b64 s[8:9], 0
	v_mov_b32_e32 v51, 0
	s_mul_i32 s17, s17, s16
	v_add_u32_e32 v60, s13, v56
	v_cmp_ne_u32_e64 s[2:3], 1, v0
	s_branch .LBB358_13
.LBB358_12:                             ;   in Loop: Header=BB358_13 Depth=1
	s_or_b64 exec, exec, s[20:21]
	v_add_u32_e32 v48, s28, v48
	v_cmp_le_u32_e32 vcc, s15, v48
	s_or_b64 s[8:9], vcc, s[8:9]
	s_andn2_b64 exec, exec, s[8:9]
	s_cbranch_execz .LBB358_29
.LBB358_13:                             ; =>This Loop Header: Depth=1
                                        ;     Child Loop BB358_17 Depth 2
	s_and_b64 vcc, exec, s[2:3]
	v_or_b32_e32 v61, 1, v48
	v_mov_b32_e32 v15, v51
	v_mov_b32_e32 v14, v51
	;; [unrolled: 1-line block ×4, first 2 shown]
	s_waitcnt vmcnt(2)
	v_mov_b32_e32 v11, v51
	v_mov_b32_e32 v10, v51
	s_waitcnt lgkmcnt(0)
	v_mov_b32_e32 v9, v51
	v_mov_b32_e32 v8, v51
	;; [unrolled: 1-line block ×10, first 2 shown]
	s_cbranch_vccnz .LBB358_20
; %bb.14:                               ;   in Loop: Header=BB358_13 Depth=1
	v_min_u32_e32 v0, s27, v48
	v_mul_lo_u32 v52, v0, s14
	v_or_b32_e32 v0, 1, v48
	v_min_u32_e32 v0, s27, v0
	v_mul_lo_u32 v54, v0, s14
	v_mov_b32_e32 v0, 0
	v_mov_b32_e32 v53, v51
	;; [unrolled: 1-line block ×3, first 2 shown]
	s_mov_b32 s13, 0
	v_mov_b32_e32 v1, v0
	v_mov_b32_e32 v2, v0
	;; [unrolled: 1-line block ×15, first 2 shown]
	s_branch .LBB358_17
.LBB358_15:                             ;   in Loop: Header=BB358_17 Depth=2
	s_or_b64 exec, exec, s[22:23]
.LBB358_16:                             ;   in Loop: Header=BB358_17 Depth=2
	s_or_b64 exec, exec, s[20:21]
	s_waitcnt vmcnt(3) lgkmcnt(0)
	v_mfma_f32_16x16x32_fp8_fp8 v[12:15], v[40:41], v[28:29], v[12:15]
	s_addk_i32 s13, 0x400
	s_cmp_ge_u32 s13, s12
	s_waitcnt vmcnt(2)
	v_mfma_f32_16x16x32_fp8_fp8 v[8:11], v[40:41], v[32:33], v[8:11]
	v_mfma_f32_16x16x32_fp8_fp8 v[4:7], v[44:45], v[28:29], v[4:7]
	;; [unrolled: 1-line block ×7, first 2 shown]
	s_waitcnt vmcnt(1)
	v_mfma_f32_16x16x32_fp8_fp8 v[12:15], v[36:37], v[20:21], v[12:15]
	s_waitcnt vmcnt(0)
	v_mfma_f32_16x16x32_fp8_fp8 v[8:11], v[36:37], v[16:17], v[8:11]
	v_mfma_f32_16x16x32_fp8_fp8 v[4:7], v[24:25], v[20:21], v[4:7]
	;; [unrolled: 1-line block ×7, first 2 shown]
	s_cbranch_scc1 .LBB358_20
.LBB358_17:                             ;   Parent Loop BB358_13 Depth=1
                                        ; =>  This Inner Loop Header: Depth=2
	v_add_u32_e32 v49, s13, v56
	v_min_u32_e32 v50, s26, v49
	v_lshl_add_u64 v[16:17], s[18:19], 0, v[50:51]
	v_add_u32_e32 v62, 0x200, v49
	v_lshl_add_u64 v[18:19], v[16:17], 0, v[52:53]
	v_lshl_add_u64 v[16:17], v[16:17], 0, v[54:55]
	v_min_u32_e32 v50, s26, v62
	global_load_dwordx4 v[28:31], v[18:19], off nt
	global_load_dwordx4 v[32:35], v[16:17], off nt
	v_lshl_add_u64 v[16:17], s[18:19], 0, v[50:51]
	v_lshl_add_u64 v[24:25], v[16:17], 0, v[52:53]
	;; [unrolled: 1-line block ×3, first 2 shown]
	global_load_dwordx4 v[20:23], v[24:25], off nt
	global_load_dwordx4 v[16:19], v[26:27], off nt
	v_mov_b64_e32 v[40:41], 0
	v_cmp_gt_u32_e32 vcc, s12, v49
	v_mov_b64_e32 v[42:43], v[40:41]
	v_mov_b64_e32 v[36:37], v[40:41]
	;; [unrolled: 1-line block ×7, first 2 shown]
	s_and_saveexec_b64 s[20:21], vcc
	s_cbranch_execz .LBB358_16
; %bb.18:                               ;   in Loop: Header=BB358_17 Depth=2
	v_add_u32_e32 v50, s13, v60
	ds_read_b128 v[40:43], v49
	ds_read_b128 v[44:47], v50
	v_mov_b64_e32 v[26:27], 0
	v_cmp_gt_u32_e32 vcc, s12, v62
	v_mov_b64_e32 v[24:25], v[26:27]
	v_mov_b64_e32 v[38:39], v[26:27]
	v_mov_b64_e32 v[36:37], v[26:27]
	s_and_saveexec_b64 s[22:23], vcc
	s_cbranch_execz .LBB358_15
; %bb.19:                               ;   in Loop: Header=BB358_17 Depth=2
	ds_read_b128 v[36:39], v49 offset:512
	ds_read_b128 v[24:27], v50 offset:512
	s_branch .LBB358_15
.LBB358_20:                             ;   in Loop: Header=BB358_13 Depth=1
	s_nop 4
	v_cvt_i32_f32_e32 v5, v5
	v_cvt_i32_f32_e32 v13, v13
	;; [unrolled: 1-line block ×10, first 2 shown]
	v_cvt_f32_i32_dpp v5, v5 row_shl:1 row_mask:0xf bank_mask:0xf bound_ctrl:1
	v_cvt_i32_f32_e32 v7, v7
	v_cvt_i32_f32_e32 v3, v3
	v_cvt_f32_i32_dpp v13, v13 row_shl:1 row_mask:0xf bank_mask:0xf bound_ctrl:1
	v_cvt_f32_i32_dpp v14, v14 row_shl:2 row_mask:0xf bank_mask:0xf bound_ctrl:1
	;; [unrolled: 1-line block ×9, first 2 shown]
	v_add_f32_e32 v4, v4, v5
	v_cvt_f32_i32_dpp v5, v7 row_shl:3 row_mask:0xf bank_mask:0xf bound_ctrl:1
	v_cvt_f32_i32_dpp v3, v3 row_shl:3 row_mask:0xf bank_mask:0xf bound_ctrl:1
	v_add_f32_e32 v12, v12, v13
	v_add_f32_e32 v12, v12, v14
	;; [unrolled: 1-line block ×11, first 2 shown]
	ds_bpermute_b32 v13, v57, v12
	ds_bpermute_b32 v11, v57, v10
	;; [unrolled: 1-line block ×4, first 2 shown]
	s_waitcnt lgkmcnt(0)
	v_add_f32_e32 v8, v12, v13
	v_add_f32_e32 v6, v10, v11
	;; [unrolled: 1-line block ×4, first 2 shown]
	ds_bpermute_b32 v9, v58, v8
	ds_bpermute_b32 v7, v58, v6
	;; [unrolled: 1-line block ×4, first 2 shown]
	s_and_saveexec_b64 s[20:21], s[0:1]
	s_cbranch_execz .LBB358_12
; %bb.21:                               ;   in Loop: Header=BB358_13 Depth=1
	s_and_b64 vcc, exec, s[10:11]
	s_cbranch_vccz .LBB358_28
; %bb.22:                               ;   in Loop: Header=BB358_13 Depth=1
	v_mul_hi_u32 v0, v48, v59
	v_mul_lo_u32 v0, v0, s16
	v_sub_u32_e32 v0, v48, v0
	v_subrev_u32_e32 v1, s16, v0
	v_cmp_le_u32_e32 vcc, s16, v0
	v_or_b32_e32 v10, 1, v48
	v_mov_b32_e32 v49, v51
	v_cndmask_b32_e32 v0, v0, v1, vcc
	v_subrev_u32_e32 v1, s16, v0
	v_cmp_le_u32_e32 vcc, s16, v0
	s_nop 1
	v_cndmask_b32_e32 v50, v0, v1, vcc
	v_mul_hi_u32 v0, v10, v59
	v_mul_lo_u32 v0, v0, s16
	v_sub_u32_e32 v0, v10, v0
	v_subrev_u32_e32 v1, s16, v0
	v_cmp_le_u32_e32 vcc, s16, v0
	v_lshl_add_u64 v[14:15], v[50:51], 1, s[4:5]
	v_add_u32_e32 v50, s17, v50
	v_cndmask_b32_e32 v0, v0, v1, vcc
	v_subrev_u32_e32 v1, s16, v0
	v_cmp_le_u32_e32 vcc, s16, v0
	v_lshl_add_u64 v[18:19], v[50:51], 1, s[4:5]
	s_nop 0
	v_cndmask_b32_e32 v0, v0, v1, vcc
	v_mov_b32_e32 v1, v51
	v_add_u32_e32 v50, s17, v0
	v_lshl_add_u64 v[16:17], v[0:1], 1, s[4:5]
	v_lshl_add_u64 v[20:21], v[50:51], 1, s[4:5]
	global_load_ushort v0, v[14:15], off
	global_load_ushort v13, v[16:17], off
	;; [unrolled: 1-line block ×4, first 2 shown]
	s_cbranch_execnz .LBB358_24
.LBB358_23:                             ;   in Loop: Header=BB358_13 Depth=1
	v_mov_b32_e32 v49, v51
	s_waitcnt vmcnt(0)
	v_mov_b32_e32 v11, 0
	v_mov_b32_e32 v10, v61
	;; [unrolled: 1-line block ×5, first 2 shown]
.LBB358_24:                             ;   in Loop: Header=BB358_13 Depth=1
	s_waitcnt lgkmcnt(3)
	v_add_f32_e32 v1, v8, v9
	v_mul_f32_e32 v1, s24, v1
	s_waitcnt vmcnt(3)
	v_fma_mixlo_f16 v8, s25, v1, v0 op_sel_hi:[0,0,1]
	v_lshl_add_u64 v[0:1], v[48:49], 1, s[6:7]
	v_cmp_gt_u32_e32 vcc, s15, v10
	global_store_short v[0:1], v8, off
	s_and_saveexec_b64 s[22:23], vcc
	s_cbranch_execz .LBB358_26
; %bb.25:                               ;   in Loop: Header=BB358_13 Depth=1
	s_waitcnt lgkmcnt(2)
	v_add_f32_e32 v6, v6, v7
	v_mul_f32_e32 v6, s24, v6
	s_waitcnt vmcnt(3)
	v_fma_mixlo_f16 v6, s25, v6, v13 op_sel_hi:[0,0,1]
	global_store_short v[0:1], v6, off offset:2
.LBB358_26:                             ;   in Loop: Header=BB358_13 Depth=1
	s_or_b64 exec, exec, s[22:23]
	s_waitcnt lgkmcnt(1)
	v_add_f32_e32 v0, v4, v5
	v_mul_f32_e32 v0, s24, v0
	v_add_u32_e32 v50, s15, v48
	s_waitcnt vmcnt(2)
	v_fma_mixlo_f16 v4, s25, v0, v12 op_sel_hi:[0,0,1]
	v_lshl_add_u64 v[0:1], v[50:51], 1, s[6:7]
	global_store_short v[0:1], v4, off
	s_and_b64 exec, exec, vcc
	s_cbranch_execz .LBB358_12
; %bb.27:                               ;   in Loop: Header=BB358_13 Depth=1
	s_waitcnt lgkmcnt(0)
	v_add_f32_e32 v0, v2, v3
	v_mul_f32_e32 v0, s24, v0
	v_add_u32_e32 v50, s15, v10
	s_waitcnt vmcnt(2)
	v_fma_mixlo_f16 v2, s25, v0, v11 op_sel_hi:[0,0,1]
	v_lshl_add_u64 v[0:1], v[50:51], 1, s[6:7]
	global_store_short v[0:1], v2, off
	s_branch .LBB358_12
.LBB358_28:                             ;   in Loop: Header=BB358_13 Depth=1
                                        ; implicit-def: $vgpr0
                                        ; implicit-def: $vgpr13
                                        ; implicit-def: $vgpr12
                                        ; implicit-def: $vgpr11
                                        ; implicit-def: $vgpr10
	s_branch .LBB358_23
.LBB358_29:
	s_endpgm
	.section	.rodata,"a",@progbits
	.p2align	6, 0x0
	.amdhsa_kernel _Z17wvSplitKQ_hf_sml_I6__halfN3c1015Float8_e4m3fnuzELi32ELi2ELi16ELi16ELi2ELi2EEviiiiiiPKT0_S5_PKT_PS6_PKfSB_ii
		.amdhsa_group_segment_fixed_size 65536
		.amdhsa_private_segment_fixed_size 0
		.amdhsa_kernarg_size 80
		.amdhsa_user_sgpr_count 2
		.amdhsa_user_sgpr_dispatch_ptr 0
		.amdhsa_user_sgpr_queue_ptr 0
		.amdhsa_user_sgpr_kernarg_segment_ptr 1
		.amdhsa_user_sgpr_dispatch_id 0
		.amdhsa_user_sgpr_kernarg_preload_length 0
		.amdhsa_user_sgpr_kernarg_preload_offset 0
		.amdhsa_user_sgpr_private_segment_size 0
		.amdhsa_uses_dynamic_stack 0
		.amdhsa_enable_private_segment 0
		.amdhsa_system_sgpr_workgroup_id_x 1
		.amdhsa_system_sgpr_workgroup_id_y 0
		.amdhsa_system_sgpr_workgroup_id_z 0
		.amdhsa_system_sgpr_workgroup_info 0
		.amdhsa_system_vgpr_workitem_id 1
		.amdhsa_next_free_vgpr 63
		.amdhsa_next_free_sgpr 29
		.amdhsa_accum_offset 64
		.amdhsa_reserve_vcc 1
		.amdhsa_float_round_mode_32 0
		.amdhsa_float_round_mode_16_64 0
		.amdhsa_float_denorm_mode_32 3
		.amdhsa_float_denorm_mode_16_64 3
		.amdhsa_dx10_clamp 1
		.amdhsa_ieee_mode 1
		.amdhsa_fp16_overflow 0
		.amdhsa_tg_split 0
		.amdhsa_exception_fp_ieee_invalid_op 0
		.amdhsa_exception_fp_denorm_src 0
		.amdhsa_exception_fp_ieee_div_zero 0
		.amdhsa_exception_fp_ieee_overflow 0
		.amdhsa_exception_fp_ieee_underflow 0
		.amdhsa_exception_fp_ieee_inexact 0
		.amdhsa_exception_int_div_zero 0
	.end_amdhsa_kernel
	.section	.text._Z17wvSplitKQ_hf_sml_I6__halfN3c1015Float8_e4m3fnuzELi32ELi2ELi16ELi16ELi2ELi2EEviiiiiiPKT0_S5_PKT_PS6_PKfSB_ii,"axG",@progbits,_Z17wvSplitKQ_hf_sml_I6__halfN3c1015Float8_e4m3fnuzELi32ELi2ELi16ELi16ELi2ELi2EEviiiiiiPKT0_S5_PKT_PS6_PKfSB_ii,comdat
.Lfunc_end358:
	.size	_Z17wvSplitKQ_hf_sml_I6__halfN3c1015Float8_e4m3fnuzELi32ELi2ELi16ELi16ELi2ELi2EEviiiiiiPKT0_S5_PKT_PS6_PKfSB_ii, .Lfunc_end358-_Z17wvSplitKQ_hf_sml_I6__halfN3c1015Float8_e4m3fnuzELi32ELi2ELi16ELi16ELi2ELi2EEviiiiiiPKT0_S5_PKT_PS6_PKfSB_ii
                                        ; -- End function
	.section	.AMDGPU.csdata,"",@progbits
; Kernel info:
; codeLenInByte = 2140
; NumSgprs: 35
; NumVgprs: 63
; NumAgprs: 0
; TotalNumVgprs: 63
; ScratchSize: 0
; MemoryBound: 0
; FloatMode: 240
; IeeeMode: 1
; LDSByteSize: 65536 bytes/workgroup (compile time only)
; SGPRBlocks: 4
; VGPRBlocks: 7
; NumSGPRsForWavesPerEU: 35
; NumVGPRsForWavesPerEU: 63
; AccumOffset: 64
; Occupancy: 2
; WaveLimiterHint : 0
; COMPUTE_PGM_RSRC2:SCRATCH_EN: 0
; COMPUTE_PGM_RSRC2:USER_SGPR: 2
; COMPUTE_PGM_RSRC2:TRAP_HANDLER: 0
; COMPUTE_PGM_RSRC2:TGID_X_EN: 1
; COMPUTE_PGM_RSRC2:TGID_Y_EN: 0
; COMPUTE_PGM_RSRC2:TGID_Z_EN: 0
; COMPUTE_PGM_RSRC2:TIDIG_COMP_CNT: 1
; COMPUTE_PGM_RSRC3_GFX90A:ACCUM_OFFSET: 15
; COMPUTE_PGM_RSRC3_GFX90A:TG_SPLIT: 0
	.section	.text._Z13wvSplitKQ_hf_I6__halfN3c1015Float8_e4m3fnuzELi32ELi2ELi16ELi16ELi2ELi2EEviiiiiiPKT0_S5_PKT_PS6_PKfSB_ii,"axG",@progbits,_Z13wvSplitKQ_hf_I6__halfN3c1015Float8_e4m3fnuzELi32ELi2ELi16ELi16ELi2ELi2EEviiiiiiPKT0_S5_PKT_PS6_PKfSB_ii,comdat
	.protected	_Z13wvSplitKQ_hf_I6__halfN3c1015Float8_e4m3fnuzELi32ELi2ELi16ELi16ELi2ELi2EEviiiiiiPKT0_S5_PKT_PS6_PKfSB_ii ; -- Begin function _Z13wvSplitKQ_hf_I6__halfN3c1015Float8_e4m3fnuzELi32ELi2ELi16ELi16ELi2ELi2EEviiiiiiPKT0_S5_PKT_PS6_PKfSB_ii
	.globl	_Z13wvSplitKQ_hf_I6__halfN3c1015Float8_e4m3fnuzELi32ELi2ELi16ELi16ELi2ELi2EEviiiiiiPKT0_S5_PKT_PS6_PKfSB_ii
	.p2align	8
	.type	_Z13wvSplitKQ_hf_I6__halfN3c1015Float8_e4m3fnuzELi32ELi2ELi16ELi16ELi2ELi2EEviiiiiiPKT0_S5_PKT_PS6_PKfSB_ii,@function
_Z13wvSplitKQ_hf_I6__halfN3c1015Float8_e4m3fnuzELi32ELi2ELi16ELi16ELi2ELi2EEviiiiiiPKT0_S5_PKT_PS6_PKfSB_ii: ; @_Z13wvSplitKQ_hf_I6__halfN3c1015Float8_e4m3fnuzELi32ELi2ELi16ELi16ELi2ELi2EEviiiiiiPKT0_S5_PKT_PS6_PKfSB_ii
; %bb.0:
	s_load_dwordx4 s[12:15], s[0:1], 0x0
	s_load_dwordx2 s[16:17], s[0:1], 0x20
	v_and_b32_e32 v4, 0x3ff, v0
	v_bfe_u32 v5, v0, 10, 10
	v_lshlrev_b32_e32 v56, 4, v4
	s_waitcnt lgkmcnt(0)
	s_lshl_b32 s3, s13, 1
	v_lshl_add_u32 v0, v5, 9, v56
	s_min_u32 s3, s3, 0x10000
	v_cmp_gt_u32_e32 vcc, s3, v0
	s_and_saveexec_b64 s[4:5], vcc
	s_cbranch_execz .LBB359_9
; %bb.1:
	global_load_dwordx4 v[6:9], v0, s[16:17]
	v_add_u32_e32 v1, 0x2000, v0
	v_cmp_gt_u32_e32 vcc, s3, v1
	s_waitcnt vmcnt(0)
	ds_write_b128 v0, v[6:9]
	s_and_saveexec_b64 s[6:7], vcc
	s_xor_b64 s[6:7], exec, s[6:7]
	s_cbranch_execz .LBB359_9
; %bb.2:
	v_mov_b32_e32 v1, 0
	v_lshl_add_u64 v[2:3], s[16:17], 0, v[0:1]
	v_add_co_u32_e32 v6, vcc, 0x2000, v2
	v_add_u32_e32 v1, 0x4000, v0
	s_nop 0
	v_addc_co_u32_e32 v7, vcc, 0, v3, vcc
	global_load_dwordx4 v[6:9], v[6:7], off
	v_cmp_gt_u32_e32 vcc, s3, v1
	s_waitcnt vmcnt(0)
	ds_write_b128 v0, v[6:9] offset:8192
	s_and_saveexec_b64 s[6:7], vcc
	s_xor_b64 s[6:7], exec, s[6:7]
	s_cbranch_execz .LBB359_9
; %bb.3:
	v_add_co_u32_e32 v6, vcc, 0x4000, v2
	v_add_u32_e32 v1, 0x6000, v0
	s_nop 0
	v_addc_co_u32_e32 v7, vcc, 0, v3, vcc
	global_load_dwordx4 v[6:9], v[6:7], off
	v_cmp_gt_u32_e32 vcc, s3, v1
	s_waitcnt vmcnt(0)
	ds_write_b128 v0, v[6:9] offset:16384
	s_and_saveexec_b64 s[6:7], vcc
	s_xor_b64 s[6:7], exec, s[6:7]
	s_cbranch_execz .LBB359_9
; %bb.4:
	;; [unrolled: 12-line block ×6, first 2 shown]
	v_add_co_u32_e32 v2, vcc, 0xe000, v2
	s_nop 1
	v_addc_co_u32_e32 v3, vcc, 0, v3, vcc
	global_load_dwordx4 v[6:9], v[2:3], off
	s_waitcnt vmcnt(0)
	ds_write_b128 v0, v[6:9] offset:57344
.LBB359_9:
	s_or_b64 exec, exec, s[4:5]
	s_load_dwordx2 s[22:23], s[0:1], 0x48
	;;#ASMSTART
	s_waitcnt vmcnt(0)
	;;#ASMEND
	s_waitcnt lgkmcnt(0)
	s_barrier
	v_cmp_gt_u32_e32 vcc, s22, v5
	s_and_saveexec_b64 s[4:5], vcc
	s_cbranch_execz .LBB359_45
; %bb.10:
	s_load_dwordx2 s[18:19], s[0:1], 0x10
	s_mul_i32 s2, s2, s22
	v_add_lshl_u32 v48, s2, v5, 1
	v_cmp_gt_u32_e32 vcc, s15, v48
	s_and_b64 exec, exec, vcc
	s_cbranch_execz .LBB359_45
; %bb.11:
	v_mbcnt_lo_u32_b32 v0, -1, 0
	v_mbcnt_hi_u32_b32 v0, -1, v0
	v_and_b32_e32 v1, 63, v0
	v_cmp_lt_u32_e32 vcc, 43, v1
	s_load_dwordx8 s[4:11], s[0:1], 0x28
	s_load_dwordx2 s[20:21], s[0:1], 0x18
	v_cndmask_b32_e64 v2, 20, 0, vcc
	v_add_lshl_u32 v57, v2, v0, 2
	s_waitcnt lgkmcnt(0)
	v_cvt_f32_u32_e32 v2, s18
	v_cmp_lt_u32_e32 vcc, 23, v1
	s_cmp_lg_u32 s12, 0
	s_cselect_b64 s[2:3], -1, 0
	v_cndmask_b32_e64 v1, 40, 0, vcc
	v_add_lshl_u32 v58, v1, v0, 2
	v_rcp_iflag_f32_e32 v0, v2
	s_add_i32 s30, s12, -16
	s_add_i32 s31, s15, -1
	s_mul_i32 s22, s22, s23
	v_mul_f32_e32 v0, 0x4f7ffffe, v0
	v_cvt_u32_f32_e32 v0, v0
	s_cmp_lg_u64 s[4:5], 0
	s_load_dword s28, s[8:9], 0x0
	s_load_dword s29, s[10:11], 0x0
	s_cselect_b64 s[10:11], -1, 0
	s_lshl_b32 s33, s22, 1
	s_sub_i32 s22, 0, s18
	s_abs_i32 s19, s19
	v_mul_lo_u32 v1, s22, v0
	s_sub_i32 s22, 1, s19
	s_cmp_lt_u32 s19, 2
	s_cselect_b32 s22, s22, 1
	s_sub_i32 s23, s22, s19
	v_mul_hi_u32 v1, v0, v1
	s_cmp_ge_u32 s22, s19
	v_add_u32_e32 v59, v0, v1
	s_cselect_b32 s19, s23, s22
	v_cndmask_b32_e64 v0, 0, 1, s[2:3]
	v_cmp_eq_u32_e64 s[0:1], 0, v4
	s_mov_b64 s[8:9], 0
	v_mov_b32_e32 v51, 0
	s_mul_i32 s19, s19, s18
	v_cmp_ne_u32_e64 s[2:3], 1, v0
	s_mov_b32 s34, 0xffff
	s_branch .LBB359_13
.LBB359_12:                             ;   in Loop: Header=BB359_13 Depth=1
	s_or_b64 exec, exec, s[22:23]
	v_add_u32_e32 v48, s33, v48
	v_cmp_le_u32_e32 vcc, s15, v48
	s_or_b64 s[8:9], vcc, s[8:9]
	s_andn2_b64 exec, exec, s[8:9]
	s_cbranch_execz .LBB359_45
.LBB359_13:                             ; =>This Loop Header: Depth=1
                                        ;     Child Loop BB359_18 Depth 2
	s_and_b64 vcc, exec, s[2:3]
	v_or_b32_e32 v60, 1, v48
	v_mov_b32_e32 v15, v51
	v_mov_b32_e32 v14, v51
	;; [unrolled: 1-line block ×4, first 2 shown]
	s_waitcnt vmcnt(2)
	v_mov_b32_e32 v11, v51
	v_mov_b32_e32 v10, v51
	s_waitcnt lgkmcnt(0)
	v_mov_b32_e32 v9, v51
	v_mov_b32_e32 v8, v51
	;; [unrolled: 1-line block ×10, first 2 shown]
	s_cbranch_vccnz .LBB359_36
; %bb.14:                               ;   in Loop: Header=BB359_13 Depth=1
	v_min_u32_e32 v0, s31, v48
	v_mul_lo_u32 v52, v0, s14
	v_or_b32_e32 v0, 1, v48
	v_min_u32_e32 v0, s31, v0
	v_mul_lo_u32 v54, v0, s14
	v_mov_b32_e32 v0, 0
	v_mov_b32_e32 v53, v51
	;; [unrolled: 1-line block ×3, first 2 shown]
	s_mov_b32 s35, 0
	v_mov_b32_e32 v1, v0
	v_mov_b32_e32 v2, v0
	;; [unrolled: 1-line block ×15, first 2 shown]
	s_branch .LBB359_18
.LBB359_15:                             ;   in Loop: Header=BB359_18 Depth=2
	s_or_b64 exec, exec, s[26:27]
.LBB359_16:                             ;   in Loop: Header=BB359_18 Depth=2
	s_or_b64 exec, exec, s[24:25]
.LBB359_17:                             ;   in Loop: Header=BB359_18 Depth=2
	s_or_b64 exec, exec, s[22:23]
	s_waitcnt vmcnt(0) lgkmcnt(0)
	v_mfma_f32_16x16x32_fp8_fp8 v[12:15], v[32:33], v[24:25], v[12:15]
	s_addk_i32 s35, 0x400
	s_cmp_ge_u32 s35, s12
	v_mfma_f32_16x16x32_fp8_fp8 v[8:11], v[32:33], v[28:29], v[8:11]
	v_mfma_f32_16x16x32_fp8_fp8 v[4:7], v[36:37], v[24:25], v[4:7]
	;; [unrolled: 1-line block ×15, first 2 shown]
	s_cbranch_scc1 .LBB359_36
.LBB359_18:                             ;   Parent Loop BB359_13 Depth=1
                                        ; =>  This Inner Loop Header: Depth=2
	v_add_u32_e32 v61, s35, v56
	v_min_u32_e32 v50, s30, v61
	v_lshl_add_u64 v[16:17], s[20:21], 0, v[50:51]
	v_add_u32_e32 v49, 0x200, v61
	v_lshl_add_u64 v[18:19], v[16:17], 0, v[52:53]
	v_lshl_add_u64 v[16:17], v[16:17], 0, v[54:55]
	v_min_u32_e32 v50, s30, v49
	global_load_dwordx4 v[24:27], v[18:19], off nt
	global_load_dwordx4 v[28:31], v[16:17], off nt
	v_lshl_add_u64 v[16:17], s[20:21], 0, v[50:51]
	v_lshl_add_u64 v[32:33], v[16:17], 0, v[52:53]
	;; [unrolled: 1-line block ×3, first 2 shown]
	global_load_dwordx4 v[20:23], v[32:33], off nt
	global_load_dwordx4 v[16:19], v[34:35], off nt
	v_mov_b64_e32 v[46:47], 0
	v_cmp_gt_u32_e32 vcc, s12, v61
	v_mov_b64_e32 v[44:45], v[46:47]
	v_mov_b64_e32 v[38:39], v[46:47]
	;; [unrolled: 1-line block ×7, first 2 shown]
	s_and_saveexec_b64 s[22:23], vcc
	s_cbranch_execz .LBB359_17
; %bb.19:                               ;   in Loop: Header=BB359_18 Depth=2
	v_cmp_lt_u32_e32 vcc, s34, v61
                                        ; implicit-def: $vgpr34_vgpr35
	s_and_saveexec_b64 s[24:25], vcc
	s_xor_b64 s[24:25], exec, s[24:25]
	s_cbranch_execz .LBB359_21
; %bb.20:                               ;   in Loop: Header=BB359_18 Depth=2
	global_load_dwordx4 v[32:35], v61, s[16:17]
.LBB359_21:                             ;   in Loop: Header=BB359_18 Depth=2
	s_andn2_saveexec_b64 s[24:25], s[24:25]
	s_cbranch_execz .LBB359_23
; %bb.22:                               ;   in Loop: Header=BB359_18 Depth=2
	s_waitcnt vmcnt(0)
	ds_read_b128 v[32:35], v61
.LBB359_23:                             ;   in Loop: Header=BB359_18 Depth=2
	s_or_b64 exec, exec, s[24:25]
	v_add_u32_e32 v50, s13, v61
	v_cmp_lt_u32_e32 vcc, s34, v50
                                        ; implicit-def: $vgpr38_vgpr39
	s_and_saveexec_b64 s[24:25], vcc
	s_xor_b64 s[24:25], exec, s[24:25]
	s_cbranch_execz .LBB359_25
; %bb.24:                               ;   in Loop: Header=BB359_18 Depth=2
	global_load_dwordx4 v[36:39], v50, s[16:17]
.LBB359_25:                             ;   in Loop: Header=BB359_18 Depth=2
	s_andn2_saveexec_b64 s[24:25], s[24:25]
	s_cbranch_execz .LBB359_27
; %bb.26:                               ;   in Loop: Header=BB359_18 Depth=2
	s_waitcnt vmcnt(0)
	ds_read_b128 v[36:39], v50
.LBB359_27:                             ;   in Loop: Header=BB359_18 Depth=2
	s_or_b64 exec, exec, s[24:25]
	v_mov_b64_e32 v[46:47], 0
	v_cmp_gt_u32_e32 vcc, s12, v49
	v_mov_b64_e32 v[44:45], v[46:47]
	v_mov_b64_e32 v[42:43], v[46:47]
	;; [unrolled: 1-line block ×3, first 2 shown]
	s_and_saveexec_b64 s[24:25], vcc
	s_cbranch_execz .LBB359_16
; %bb.28:                               ;   in Loop: Header=BB359_18 Depth=2
	v_cmp_lt_u32_e32 vcc, s34, v49
                                        ; implicit-def: $vgpr42_vgpr43
	s_and_saveexec_b64 s[26:27], vcc
	s_xor_b64 s[26:27], exec, s[26:27]
	s_cbranch_execz .LBB359_30
; %bb.29:                               ;   in Loop: Header=BB359_18 Depth=2
	global_load_dwordx4 v[40:43], v49, s[16:17]
                                        ; implicit-def: $vgpr61
.LBB359_30:                             ;   in Loop: Header=BB359_18 Depth=2
	s_andn2_saveexec_b64 s[26:27], s[26:27]
	s_cbranch_execz .LBB359_32
; %bb.31:                               ;   in Loop: Header=BB359_18 Depth=2
	s_waitcnt vmcnt(0)
	ds_read_b128 v[40:43], v61 offset:512
.LBB359_32:                             ;   in Loop: Header=BB359_18 Depth=2
	s_or_b64 exec, exec, s[26:27]
	v_add_u32_e32 v44, s13, v49
	v_cmp_lt_u32_e32 vcc, s34, v44
                                        ; implicit-def: $vgpr46_vgpr47
	s_and_saveexec_b64 s[26:27], vcc
	s_xor_b64 s[26:27], exec, s[26:27]
	s_cbranch_execz .LBB359_34
; %bb.33:                               ;   in Loop: Header=BB359_18 Depth=2
	global_load_dwordx4 v[44:47], v44, s[16:17]
                                        ; implicit-def: $vgpr50
.LBB359_34:                             ;   in Loop: Header=BB359_18 Depth=2
	s_andn2_saveexec_b64 s[26:27], s[26:27]
	s_cbranch_execz .LBB359_15
; %bb.35:                               ;   in Loop: Header=BB359_18 Depth=2
	s_waitcnt vmcnt(0)
	ds_read_b128 v[44:47], v50 offset:512
	s_branch .LBB359_15
.LBB359_36:                             ;   in Loop: Header=BB359_13 Depth=1
	s_nop 4
	v_cvt_i32_f32_e32 v5, v5
	v_cvt_i32_f32_e32 v13, v13
	;; [unrolled: 1-line block ×10, first 2 shown]
	v_cvt_f32_i32_dpp v5, v5 row_shl:1 row_mask:0xf bank_mask:0xf bound_ctrl:1
	v_cvt_i32_f32_e32 v7, v7
	v_cvt_i32_f32_e32 v3, v3
	v_cvt_f32_i32_dpp v13, v13 row_shl:1 row_mask:0xf bank_mask:0xf bound_ctrl:1
	v_cvt_f32_i32_dpp v14, v14 row_shl:2 row_mask:0xf bank_mask:0xf bound_ctrl:1
	;; [unrolled: 1-line block ×9, first 2 shown]
	v_add_f32_e32 v4, v4, v5
	v_cvt_f32_i32_dpp v5, v7 row_shl:3 row_mask:0xf bank_mask:0xf bound_ctrl:1
	v_cvt_f32_i32_dpp v3, v3 row_shl:3 row_mask:0xf bank_mask:0xf bound_ctrl:1
	v_add_f32_e32 v12, v12, v13
	v_add_f32_e32 v12, v12, v14
	;; [unrolled: 1-line block ×11, first 2 shown]
	ds_bpermute_b32 v13, v57, v12
	ds_bpermute_b32 v11, v57, v10
	;; [unrolled: 1-line block ×4, first 2 shown]
	s_waitcnt lgkmcnt(0)
	v_add_f32_e32 v8, v12, v13
	v_add_f32_e32 v6, v10, v11
	;; [unrolled: 1-line block ×4, first 2 shown]
	ds_bpermute_b32 v9, v58, v8
	ds_bpermute_b32 v7, v58, v6
	;; [unrolled: 1-line block ×4, first 2 shown]
	s_and_saveexec_b64 s[22:23], s[0:1]
	s_cbranch_execz .LBB359_12
; %bb.37:                               ;   in Loop: Header=BB359_13 Depth=1
	s_and_b64 vcc, exec, s[10:11]
	s_cbranch_vccz .LBB359_44
; %bb.38:                               ;   in Loop: Header=BB359_13 Depth=1
	v_mul_hi_u32 v0, v48, v59
	v_mul_lo_u32 v0, v0, s18
	v_sub_u32_e32 v0, v48, v0
	v_subrev_u32_e32 v1, s18, v0
	v_cmp_le_u32_e32 vcc, s18, v0
	v_or_b32_e32 v10, 1, v48
	v_mov_b32_e32 v49, v51
	v_cndmask_b32_e32 v0, v0, v1, vcc
	v_subrev_u32_e32 v1, s18, v0
	v_cmp_le_u32_e32 vcc, s18, v0
	s_nop 1
	v_cndmask_b32_e32 v50, v0, v1, vcc
	v_mul_hi_u32 v0, v10, v59
	v_mul_lo_u32 v0, v0, s18
	v_sub_u32_e32 v0, v10, v0
	v_subrev_u32_e32 v1, s18, v0
	v_cmp_le_u32_e32 vcc, s18, v0
	v_lshl_add_u64 v[14:15], v[50:51], 1, s[4:5]
	v_add_u32_e32 v50, s19, v50
	v_cndmask_b32_e32 v0, v0, v1, vcc
	v_subrev_u32_e32 v1, s18, v0
	v_cmp_le_u32_e32 vcc, s18, v0
	v_lshl_add_u64 v[18:19], v[50:51], 1, s[4:5]
	s_nop 0
	v_cndmask_b32_e32 v0, v0, v1, vcc
	v_mov_b32_e32 v1, v51
	v_add_u32_e32 v50, s19, v0
	v_lshl_add_u64 v[16:17], v[0:1], 1, s[4:5]
	v_lshl_add_u64 v[20:21], v[50:51], 1, s[4:5]
	global_load_ushort v0, v[14:15], off
	global_load_ushort v13, v[16:17], off
	;; [unrolled: 1-line block ×4, first 2 shown]
	s_cbranch_execnz .LBB359_40
.LBB359_39:                             ;   in Loop: Header=BB359_13 Depth=1
	v_mov_b32_e32 v49, v51
	s_waitcnt vmcnt(0)
	v_mov_b32_e32 v11, 0
	v_mov_b32_e32 v10, v60
	;; [unrolled: 1-line block ×5, first 2 shown]
.LBB359_40:                             ;   in Loop: Header=BB359_13 Depth=1
	s_waitcnt lgkmcnt(3)
	v_add_f32_e32 v1, v8, v9
	v_mul_f32_e32 v1, s28, v1
	s_waitcnt vmcnt(3)
	v_fma_mixlo_f16 v8, s29, v1, v0 op_sel_hi:[0,0,1]
	v_lshl_add_u64 v[0:1], v[48:49], 1, s[6:7]
	v_cmp_gt_u32_e32 vcc, s15, v10
	global_store_short v[0:1], v8, off
	s_and_saveexec_b64 s[24:25], vcc
	s_cbranch_execz .LBB359_42
; %bb.41:                               ;   in Loop: Header=BB359_13 Depth=1
	s_waitcnt lgkmcnt(2)
	v_add_f32_e32 v6, v6, v7
	v_mul_f32_e32 v6, s28, v6
	s_waitcnt vmcnt(3)
	v_fma_mixlo_f16 v6, s29, v6, v13 op_sel_hi:[0,0,1]
	global_store_short v[0:1], v6, off offset:2
.LBB359_42:                             ;   in Loop: Header=BB359_13 Depth=1
	s_or_b64 exec, exec, s[24:25]
	s_waitcnt lgkmcnt(1)
	v_add_f32_e32 v0, v4, v5
	v_mul_f32_e32 v0, s28, v0
	v_add_u32_e32 v50, s15, v48
	s_waitcnt vmcnt(2)
	v_fma_mixlo_f16 v4, s29, v0, v12 op_sel_hi:[0,0,1]
	v_lshl_add_u64 v[0:1], v[50:51], 1, s[6:7]
	global_store_short v[0:1], v4, off
	s_and_b64 exec, exec, vcc
	s_cbranch_execz .LBB359_12
; %bb.43:                               ;   in Loop: Header=BB359_13 Depth=1
	s_waitcnt lgkmcnt(0)
	v_add_f32_e32 v0, v2, v3
	v_mul_f32_e32 v0, s28, v0
	v_add_u32_e32 v50, s15, v10
	s_waitcnt vmcnt(2)
	v_fma_mixlo_f16 v2, s29, v0, v11 op_sel_hi:[0,0,1]
	v_lshl_add_u64 v[0:1], v[50:51], 1, s[6:7]
	global_store_short v[0:1], v2, off
	s_branch .LBB359_12
.LBB359_44:                             ;   in Loop: Header=BB359_13 Depth=1
                                        ; implicit-def: $vgpr0
                                        ; implicit-def: $vgpr13
                                        ; implicit-def: $vgpr12
                                        ; implicit-def: $vgpr11
                                        ; implicit-def: $vgpr10
	s_branch .LBB359_39
.LBB359_45:
	s_endpgm
	.section	.rodata,"a",@progbits
	.p2align	6, 0x0
	.amdhsa_kernel _Z13wvSplitKQ_hf_I6__halfN3c1015Float8_e4m3fnuzELi32ELi2ELi16ELi16ELi2ELi2EEviiiiiiPKT0_S5_PKT_PS6_PKfSB_ii
		.amdhsa_group_segment_fixed_size 65536
		.amdhsa_private_segment_fixed_size 0
		.amdhsa_kernarg_size 80
		.amdhsa_user_sgpr_count 2
		.amdhsa_user_sgpr_dispatch_ptr 0
		.amdhsa_user_sgpr_queue_ptr 0
		.amdhsa_user_sgpr_kernarg_segment_ptr 1
		.amdhsa_user_sgpr_dispatch_id 0
		.amdhsa_user_sgpr_kernarg_preload_length 0
		.amdhsa_user_sgpr_kernarg_preload_offset 0
		.amdhsa_user_sgpr_private_segment_size 0
		.amdhsa_uses_dynamic_stack 0
		.amdhsa_enable_private_segment 0
		.amdhsa_system_sgpr_workgroup_id_x 1
		.amdhsa_system_sgpr_workgroup_id_y 0
		.amdhsa_system_sgpr_workgroup_id_z 0
		.amdhsa_system_sgpr_workgroup_info 0
		.amdhsa_system_vgpr_workitem_id 1
		.amdhsa_next_free_vgpr 62
		.amdhsa_next_free_sgpr 36
		.amdhsa_accum_offset 64
		.amdhsa_reserve_vcc 1
		.amdhsa_float_round_mode_32 0
		.amdhsa_float_round_mode_16_64 0
		.amdhsa_float_denorm_mode_32 3
		.amdhsa_float_denorm_mode_16_64 3
		.amdhsa_dx10_clamp 1
		.amdhsa_ieee_mode 1
		.amdhsa_fp16_overflow 0
		.amdhsa_tg_split 0
		.amdhsa_exception_fp_ieee_invalid_op 0
		.amdhsa_exception_fp_denorm_src 0
		.amdhsa_exception_fp_ieee_div_zero 0
		.amdhsa_exception_fp_ieee_overflow 0
		.amdhsa_exception_fp_ieee_underflow 0
		.amdhsa_exception_fp_ieee_inexact 0
		.amdhsa_exception_int_div_zero 0
	.end_amdhsa_kernel
	.section	.text._Z13wvSplitKQ_hf_I6__halfN3c1015Float8_e4m3fnuzELi32ELi2ELi16ELi16ELi2ELi2EEviiiiiiPKT0_S5_PKT_PS6_PKfSB_ii,"axG",@progbits,_Z13wvSplitKQ_hf_I6__halfN3c1015Float8_e4m3fnuzELi32ELi2ELi16ELi16ELi2ELi2EEviiiiiiPKT0_S5_PKT_PS6_PKfSB_ii,comdat
.Lfunc_end359:
	.size	_Z13wvSplitKQ_hf_I6__halfN3c1015Float8_e4m3fnuzELi32ELi2ELi16ELi16ELi2ELi2EEviiiiiiPKT0_S5_PKT_PS6_PKfSB_ii, .Lfunc_end359-_Z13wvSplitKQ_hf_I6__halfN3c1015Float8_e4m3fnuzELi32ELi2ELi16ELi16ELi2ELi2EEviiiiiiPKT0_S5_PKT_PS6_PKfSB_ii
                                        ; -- End function
	.section	.AMDGPU.csdata,"",@progbits
; Kernel info:
; codeLenInByte = 2292
; NumSgprs: 42
; NumVgprs: 62
; NumAgprs: 0
; TotalNumVgprs: 62
; ScratchSize: 0
; MemoryBound: 1
; FloatMode: 240
; IeeeMode: 1
; LDSByteSize: 65536 bytes/workgroup (compile time only)
; SGPRBlocks: 5
; VGPRBlocks: 7
; NumSGPRsForWavesPerEU: 42
; NumVGPRsForWavesPerEU: 62
; AccumOffset: 64
; Occupancy: 2
; WaveLimiterHint : 0
; COMPUTE_PGM_RSRC2:SCRATCH_EN: 0
; COMPUTE_PGM_RSRC2:USER_SGPR: 2
; COMPUTE_PGM_RSRC2:TRAP_HANDLER: 0
; COMPUTE_PGM_RSRC2:TGID_X_EN: 1
; COMPUTE_PGM_RSRC2:TGID_Y_EN: 0
; COMPUTE_PGM_RSRC2:TGID_Z_EN: 0
; COMPUTE_PGM_RSRC2:TIDIG_COMP_CNT: 1
; COMPUTE_PGM_RSRC3_GFX90A:ACCUM_OFFSET: 15
; COMPUTE_PGM_RSRC3_GFX90A:TG_SPLIT: 0
	.section	.text._Z17wvSplitKQ_hf_sml_I6__halfN3c1015Float8_e4m3fnuzELi64ELi2ELi16ELi16ELi2ELi2EEviiiiiiPKT0_S5_PKT_PS6_PKfSB_ii,"axG",@progbits,_Z17wvSplitKQ_hf_sml_I6__halfN3c1015Float8_e4m3fnuzELi64ELi2ELi16ELi16ELi2ELi2EEviiiiiiPKT0_S5_PKT_PS6_PKfSB_ii,comdat
	.protected	_Z17wvSplitKQ_hf_sml_I6__halfN3c1015Float8_e4m3fnuzELi64ELi2ELi16ELi16ELi2ELi2EEviiiiiiPKT0_S5_PKT_PS6_PKfSB_ii ; -- Begin function _Z17wvSplitKQ_hf_sml_I6__halfN3c1015Float8_e4m3fnuzELi64ELi2ELi16ELi16ELi2ELi2EEviiiiiiPKT0_S5_PKT_PS6_PKfSB_ii
	.globl	_Z17wvSplitKQ_hf_sml_I6__halfN3c1015Float8_e4m3fnuzELi64ELi2ELi16ELi16ELi2ELi2EEviiiiiiPKT0_S5_PKT_PS6_PKfSB_ii
	.p2align	8
	.type	_Z17wvSplitKQ_hf_sml_I6__halfN3c1015Float8_e4m3fnuzELi64ELi2ELi16ELi16ELi2ELi2EEviiiiiiPKT0_S5_PKT_PS6_PKfSB_ii,@function
_Z17wvSplitKQ_hf_sml_I6__halfN3c1015Float8_e4m3fnuzELi64ELi2ELi16ELi16ELi2ELi2EEviiiiiiPKT0_S5_PKT_PS6_PKfSB_ii: ; @_Z17wvSplitKQ_hf_sml_I6__halfN3c1015Float8_e4m3fnuzELi64ELi2ELi16ELi16ELi2ELi2EEviiiiiiPKT0_S5_PKT_PS6_PKfSB_ii
; %bb.0:
	s_load_dwordx4 s[4:7], s[0:1], 0x0
	s_load_dwordx2 s[12:13], s[0:1], 0x10
	s_load_dwordx4 s[8:11], s[0:1], 0x38
	s_load_dwordx2 s[14:15], s[0:1], 0x28
	v_and_b32_e32 v2, 0x3ff, v0
	v_bfe_u32 v3, v0, 10, 10
	v_lshlrev_b32_e32 v48, 4, v2
	s_waitcnt lgkmcnt(0)
	s_lshl_b32 s3, s5, 1
	v_lshl_add_u32 v4, v3, 10, v48
	s_min_u32 s3, s3, 0x10000
	v_cmp_gt_u32_e32 vcc, s3, v4
	s_and_saveexec_b64 s[16:17], vcc
	s_cbranch_execz .LBB360_3
; %bb.1:
	s_load_dwordx2 s[18:19], s[0:1], 0x20
	v_mov_b32_e32 v1, 0
	v_lshlrev_b32_e32 v0, 10, v3
	v_mov_b32_e32 v49, v1
	v_lshl_add_u64 v[0:1], v[0:1], 0, v[48:49]
	s_waitcnt lgkmcnt(0)
	v_lshl_add_u64 v[0:1], s[18:19], 0, v[0:1]
	s_mov_b64 s[18:19], 0
	s_mov_b64 s[20:21], 0x4000
.LBB360_2:                              ; =>This Inner Loop Header: Depth=1
	global_load_dwordx4 v[6:9], v[0:1], off
	v_lshl_add_u64 v[0:1], v[0:1], 0, s[20:21]
	s_waitcnt vmcnt(0)
	ds_write_b128 v4, v[6:9]
	v_add_u32_e32 v4, 0x4000, v4
	v_cmp_le_u32_e32 vcc, s3, v4
	s_or_b64 s[18:19], vcc, s[18:19]
	s_andn2_b64 exec, exec, s[18:19]
	s_cbranch_execnz .LBB360_2
.LBB360_3:
	s_or_b64 exec, exec, s[16:17]
	s_load_dwordx2 s[20:21], s[0:1], 0x48
	;;#ASMSTART
	s_waitcnt vmcnt(0)
	;;#ASMEND
	s_waitcnt lgkmcnt(0)
	s_barrier
	v_cmp_gt_u32_e32 vcc, s20, v3
	s_and_saveexec_b64 s[16:17], vcc
	s_cbranch_execz .LBB360_23
; %bb.4:
	s_mul_i32 s2, s2, s20
	v_add_lshl_u32 v50, s2, v3, 1
	v_cmp_gt_u32_e32 vcc, s7, v50
	s_and_b64 exec, exec, vcc
	s_cbranch_execz .LBB360_23
; %bb.5:
	v_mbcnt_lo_u32_b32 v0, -1, 0
	v_mbcnt_hi_u32_b32 v0, -1, v0
	v_and_b32_e32 v1, 63, v0
	v_cmp_lt_u32_e32 vcc, 43, v1
	s_cmp_lg_u32 s4, 0
	s_cselect_b64 s[2:3], -1, 0
	v_cndmask_b32_e64 v3, 20, 0, vcc
	v_add_lshl_u32 v49, v3, v0, 2
	v_cvt_f32_u32_e32 v3, s12
	v_cmp_lt_u32_e32 vcc, 23, v1
	s_add_i32 s26, s4, -16
	s_add_i32 s27, s7, -1
	v_cndmask_b32_e64 v1, 40, 0, vcc
	v_add_lshl_u32 v58, v1, v0, 2
	v_rcp_iflag_f32_e32 v0, v3
	s_mul_i32 s20, s20, s21
	s_cmp_lg_u64 s[14:15], 0
	s_load_dword s24, s[8:9], 0x0
	s_load_dword s25, s[10:11], 0x0
	s_load_dwordx2 s[16:17], s[0:1], 0x18
	s_load_dwordx2 s[18:19], s[0:1], 0x30
	v_mul_f32_e32 v0, 0x4f7ffffe, v0
	v_cvt_u32_f32_e32 v0, v0
	s_cselect_b64 s[10:11], -1, 0
	s_lshl_b32 s28, s20, 1
	s_sub_i32 s20, 0, s12
	s_abs_i32 s13, s13
	v_mul_lo_u32 v1, s20, v0
	s_sub_i32 s20, 1, s13
	s_cmp_lt_u32 s13, 2
	s_cselect_b32 s20, s20, 1
	s_sub_i32 s21, s20, s13
	v_mul_hi_u32 v1, v0, v1
	s_cmp_ge_u32 s20, s13
	v_add_u32_e32 v59, v0, v1
	s_cselect_b32 s13, s21, s20
	v_cndmask_b32_e64 v0, 0, 1, s[2:3]
	v_cmp_eq_u32_e64 s[0:1], 0, v2
	s_mov_b64 s[8:9], 0
	v_mov_b32_e32 v53, 0
	s_mul_i32 s13, s13, s12
	v_add_u32_e32 v60, s5, v48
	v_cmp_ne_u32_e64 s[2:3], 1, v0
	s_branch .LBB360_7
.LBB360_6:                              ;   in Loop: Header=BB360_7 Depth=1
	s_or_b64 exec, exec, s[20:21]
	v_add_u32_e32 v50, s28, v50
	v_cmp_le_u32_e32 vcc, s7, v50
	s_or_b64 s[8:9], vcc, s[8:9]
	s_andn2_b64 exec, exec, s[8:9]
	s_cbranch_execz .LBB360_23
.LBB360_7:                              ; =>This Loop Header: Depth=1
                                        ;     Child Loop BB360_11 Depth 2
	s_and_b64 vcc, exec, s[2:3]
	v_or_b32_e32 v61, 1, v50
	v_mov_b32_e32 v15, v53
	v_mov_b32_e32 v14, v53
	;; [unrolled: 1-line block ×4, first 2 shown]
	s_waitcnt vmcnt(2)
	v_mov_b32_e32 v11, v53
	v_mov_b32_e32 v10, v53
	s_waitcnt lgkmcnt(0)
	v_mov_b32_e32 v9, v53
	v_mov_b32_e32 v8, v53
	;; [unrolled: 1-line block ×10, first 2 shown]
	s_cbranch_vccnz .LBB360_14
; %bb.8:                                ;   in Loop: Header=BB360_7 Depth=1
	v_min_u32_e32 v0, s27, v50
	v_mul_lo_u32 v54, v0, s6
	v_or_b32_e32 v0, 1, v50
	v_min_u32_e32 v0, s27, v0
	v_mul_lo_u32 v56, v0, s6
	v_mov_b32_e32 v0, 0
	v_mov_b32_e32 v55, v53
	;; [unrolled: 1-line block ×3, first 2 shown]
	s_mov_b32 s5, 0
	v_mov_b32_e32 v1, v0
	v_mov_b32_e32 v2, v0
	;; [unrolled: 1-line block ×15, first 2 shown]
	s_branch .LBB360_11
.LBB360_9:                              ;   in Loop: Header=BB360_11 Depth=2
	s_or_b64 exec, exec, s[22:23]
.LBB360_10:                             ;   in Loop: Header=BB360_11 Depth=2
	s_or_b64 exec, exec, s[20:21]
	s_waitcnt vmcnt(3) lgkmcnt(1)
	v_mfma_f32_16x16x32_fp8_fp8 v[12:15], v[40:41], v[28:29], v[12:15]
	s_addk_i32 s5, 0x800
	s_cmp_ge_u32 s5, s4
	s_waitcnt vmcnt(2)
	v_mfma_f32_16x16x32_fp8_fp8 v[8:11], v[40:41], v[32:33], v[8:11]
	s_waitcnt lgkmcnt(0)
	v_mfma_f32_16x16x32_fp8_fp8 v[4:7], v[44:45], v[28:29], v[4:7]
	v_mfma_f32_16x16x32_fp8_fp8 v[0:3], v[44:45], v[32:33], v[0:3]
	;; [unrolled: 1-line block ×6, first 2 shown]
	s_waitcnt vmcnt(1)
	v_mfma_f32_16x16x32_fp8_fp8 v[12:15], v[36:37], v[20:21], v[12:15]
	s_waitcnt vmcnt(0)
	v_mfma_f32_16x16x32_fp8_fp8 v[8:11], v[36:37], v[16:17], v[8:11]
	v_mfma_f32_16x16x32_fp8_fp8 v[4:7], v[24:25], v[20:21], v[4:7]
	;; [unrolled: 1-line block ×7, first 2 shown]
	s_cbranch_scc1 .LBB360_14
.LBB360_11:                             ;   Parent Loop BB360_7 Depth=1
                                        ; =>  This Inner Loop Header: Depth=2
	v_add_u32_e32 v51, s5, v48
	v_min_u32_e32 v52, s26, v51
	s_waitcnt lgkmcnt(0)
	v_lshl_add_u64 v[16:17], s[16:17], 0, v[52:53]
	v_add_u32_e32 v62, 0x400, v51
	v_lshl_add_u64 v[18:19], v[16:17], 0, v[54:55]
	v_lshl_add_u64 v[16:17], v[16:17], 0, v[56:57]
	v_min_u32_e32 v52, s26, v62
	global_load_dwordx4 v[28:31], v[18:19], off nt
	global_load_dwordx4 v[32:35], v[16:17], off nt
	v_lshl_add_u64 v[16:17], s[16:17], 0, v[52:53]
	v_lshl_add_u64 v[24:25], v[16:17], 0, v[54:55]
	;; [unrolled: 1-line block ×3, first 2 shown]
	global_load_dwordx4 v[20:23], v[24:25], off nt
	global_load_dwordx4 v[16:19], v[26:27], off nt
	v_mov_b64_e32 v[40:41], 0
	v_cmp_gt_u32_e32 vcc, s4, v51
	v_mov_b64_e32 v[42:43], v[40:41]
	v_mov_b64_e32 v[36:37], v[40:41]
	;; [unrolled: 1-line block ×7, first 2 shown]
	s_and_saveexec_b64 s[20:21], vcc
	s_cbranch_execz .LBB360_10
; %bb.12:                               ;   in Loop: Header=BB360_11 Depth=2
	v_add_u32_e32 v52, s5, v60
	ds_read_b128 v[40:43], v51
	ds_read_b128 v[44:47], v52
	v_mov_b64_e32 v[26:27], 0
	v_cmp_gt_u32_e32 vcc, s4, v62
	v_mov_b64_e32 v[24:25], v[26:27]
	v_mov_b64_e32 v[38:39], v[26:27]
	;; [unrolled: 1-line block ×3, first 2 shown]
	s_and_saveexec_b64 s[22:23], vcc
	s_cbranch_execz .LBB360_9
; %bb.13:                               ;   in Loop: Header=BB360_11 Depth=2
	ds_read_b128 v[36:39], v51 offset:1024
	ds_read_b128 v[24:27], v52 offset:1024
	s_branch .LBB360_9
.LBB360_14:                             ;   in Loop: Header=BB360_7 Depth=1
	s_nop 4
	v_cvt_i32_f32_e32 v5, v5
	v_cvt_i32_f32_e32 v13, v13
	v_cvt_i32_f32_e32 v14, v14
	v_cvt_i32_f32_e32 v9, v9
	v_cvt_i32_f32_e32 v1, v1
	v_cvt_i32_f32_e32 v10, v10
	v_cvt_i32_f32_e32 v6, v6
	v_cvt_i32_f32_e32 v2, v2
	v_cvt_i32_f32_e32 v15, v15
	v_cvt_i32_f32_e32 v11, v11
	v_cvt_f32_i32_dpp v5, v5 row_shl:1 row_mask:0xf bank_mask:0xf bound_ctrl:1
	v_cvt_i32_f32_e32 v7, v7
	v_cvt_i32_f32_e32 v3, v3
	v_cvt_f32_i32_dpp v13, v13 row_shl:1 row_mask:0xf bank_mask:0xf bound_ctrl:1
	v_cvt_f32_i32_dpp v14, v14 row_shl:2 row_mask:0xf bank_mask:0xf bound_ctrl:1
	;; [unrolled: 1-line block ×9, first 2 shown]
	v_add_f32_e32 v4, v4, v5
	v_cvt_f32_i32_dpp v5, v7 row_shl:3 row_mask:0xf bank_mask:0xf bound_ctrl:1
	v_cvt_f32_i32_dpp v3, v3 row_shl:3 row_mask:0xf bank_mask:0xf bound_ctrl:1
	v_add_f32_e32 v12, v12, v13
	v_add_f32_e32 v12, v12, v14
	;; [unrolled: 1-line block ×11, first 2 shown]
	ds_bpermute_b32 v13, v49, v12
	ds_bpermute_b32 v11, v49, v10
	ds_bpermute_b32 v5, v49, v4
	ds_bpermute_b32 v1, v49, v0
	s_waitcnt lgkmcnt(0)
	v_add_f32_e32 v8, v12, v13
	v_add_f32_e32 v6, v10, v11
	;; [unrolled: 1-line block ×4, first 2 shown]
	ds_bpermute_b32 v9, v58, v8
	ds_bpermute_b32 v7, v58, v6
	;; [unrolled: 1-line block ×4, first 2 shown]
	s_and_saveexec_b64 s[20:21], s[0:1]
	s_cbranch_execz .LBB360_6
; %bb.15:                               ;   in Loop: Header=BB360_7 Depth=1
	s_and_b64 vcc, exec, s[10:11]
	s_cbranch_vccz .LBB360_22
; %bb.16:                               ;   in Loop: Header=BB360_7 Depth=1
	v_mul_hi_u32 v0, v50, v59
	v_mul_lo_u32 v0, v0, s12
	v_sub_u32_e32 v0, v50, v0
	v_subrev_u32_e32 v1, s12, v0
	v_cmp_le_u32_e32 vcc, s12, v0
	v_or_b32_e32 v10, 1, v50
	v_mov_b32_e32 v51, v53
	v_cndmask_b32_e32 v0, v0, v1, vcc
	v_subrev_u32_e32 v1, s12, v0
	v_cmp_le_u32_e32 vcc, s12, v0
	s_nop 1
	v_cndmask_b32_e32 v52, v0, v1, vcc
	v_mul_hi_u32 v0, v10, v59
	v_mul_lo_u32 v0, v0, s12
	v_sub_u32_e32 v0, v10, v0
	v_subrev_u32_e32 v1, s12, v0
	v_cmp_le_u32_e32 vcc, s12, v0
	v_lshl_add_u64 v[14:15], v[52:53], 1, s[14:15]
	v_add_u32_e32 v52, s13, v52
	v_cndmask_b32_e32 v0, v0, v1, vcc
	v_subrev_u32_e32 v1, s12, v0
	v_cmp_le_u32_e32 vcc, s12, v0
	v_lshl_add_u64 v[18:19], v[52:53], 1, s[14:15]
	s_nop 0
	v_cndmask_b32_e32 v0, v0, v1, vcc
	v_mov_b32_e32 v1, v53
	v_add_u32_e32 v52, s13, v0
	v_lshl_add_u64 v[16:17], v[0:1], 1, s[14:15]
	v_lshl_add_u64 v[20:21], v[52:53], 1, s[14:15]
	global_load_ushort v0, v[14:15], off
	global_load_ushort v13, v[16:17], off
	;; [unrolled: 1-line block ×4, first 2 shown]
	s_cbranch_execnz .LBB360_18
.LBB360_17:                             ;   in Loop: Header=BB360_7 Depth=1
	v_mov_b32_e32 v51, v53
	s_waitcnt vmcnt(0)
	v_mov_b32_e32 v11, 0
	v_mov_b32_e32 v10, v61
	;; [unrolled: 1-line block ×5, first 2 shown]
.LBB360_18:                             ;   in Loop: Header=BB360_7 Depth=1
	s_waitcnt lgkmcnt(3)
	v_add_f32_e32 v1, v8, v9
	v_mul_f32_e32 v1, s24, v1
	s_waitcnt vmcnt(3)
	v_fma_mixlo_f16 v8, s25, v1, v0 op_sel_hi:[0,0,1]
	v_lshl_add_u64 v[0:1], v[50:51], 1, s[18:19]
	v_cmp_gt_u32_e32 vcc, s7, v10
	global_store_short v[0:1], v8, off
	s_and_saveexec_b64 s[22:23], vcc
	s_cbranch_execz .LBB360_20
; %bb.19:                               ;   in Loop: Header=BB360_7 Depth=1
	s_waitcnt lgkmcnt(2)
	v_add_f32_e32 v6, v6, v7
	v_mul_f32_e32 v6, s24, v6
	s_waitcnt vmcnt(3)
	v_fma_mixlo_f16 v6, s25, v6, v13 op_sel_hi:[0,0,1]
	global_store_short v[0:1], v6, off offset:2
.LBB360_20:                             ;   in Loop: Header=BB360_7 Depth=1
	s_or_b64 exec, exec, s[22:23]
	s_waitcnt lgkmcnt(1)
	v_add_f32_e32 v0, v4, v5
	v_mul_f32_e32 v0, s24, v0
	v_add_u32_e32 v52, s7, v50
	s_waitcnt vmcnt(2)
	v_fma_mixlo_f16 v4, s25, v0, v12 op_sel_hi:[0,0,1]
	v_lshl_add_u64 v[0:1], v[52:53], 1, s[18:19]
	global_store_short v[0:1], v4, off
	s_and_b64 exec, exec, vcc
	s_cbranch_execz .LBB360_6
; %bb.21:                               ;   in Loop: Header=BB360_7 Depth=1
	s_waitcnt lgkmcnt(0)
	v_add_f32_e32 v0, v2, v3
	v_mul_f32_e32 v0, s24, v0
	v_add_u32_e32 v52, s7, v10
	s_waitcnt vmcnt(2)
	v_fma_mixlo_f16 v2, s25, v0, v11 op_sel_hi:[0,0,1]
	v_lshl_add_u64 v[0:1], v[52:53], 1, s[18:19]
	global_store_short v[0:1], v2, off
	s_branch .LBB360_6
.LBB360_22:                             ;   in Loop: Header=BB360_7 Depth=1
                                        ; implicit-def: $vgpr0
                                        ; implicit-def: $vgpr13
                                        ; implicit-def: $vgpr12
                                        ; implicit-def: $vgpr11
                                        ; implicit-def: $vgpr10
	s_branch .LBB360_17
.LBB360_23:
	s_endpgm
	.section	.rodata,"a",@progbits
	.p2align	6, 0x0
	.amdhsa_kernel _Z17wvSplitKQ_hf_sml_I6__halfN3c1015Float8_e4m3fnuzELi64ELi2ELi16ELi16ELi2ELi2EEviiiiiiPKT0_S5_PKT_PS6_PKfSB_ii
		.amdhsa_group_segment_fixed_size 65536
		.amdhsa_private_segment_fixed_size 0
		.amdhsa_kernarg_size 80
		.amdhsa_user_sgpr_count 2
		.amdhsa_user_sgpr_dispatch_ptr 0
		.amdhsa_user_sgpr_queue_ptr 0
		.amdhsa_user_sgpr_kernarg_segment_ptr 1
		.amdhsa_user_sgpr_dispatch_id 0
		.amdhsa_user_sgpr_kernarg_preload_length 0
		.amdhsa_user_sgpr_kernarg_preload_offset 0
		.amdhsa_user_sgpr_private_segment_size 0
		.amdhsa_uses_dynamic_stack 0
		.amdhsa_enable_private_segment 0
		.amdhsa_system_sgpr_workgroup_id_x 1
		.amdhsa_system_sgpr_workgroup_id_y 0
		.amdhsa_system_sgpr_workgroup_id_z 0
		.amdhsa_system_sgpr_workgroup_info 0
		.amdhsa_system_vgpr_workitem_id 1
		.amdhsa_next_free_vgpr 63
		.amdhsa_next_free_sgpr 29
		.amdhsa_accum_offset 64
		.amdhsa_reserve_vcc 1
		.amdhsa_float_round_mode_32 0
		.amdhsa_float_round_mode_16_64 0
		.amdhsa_float_denorm_mode_32 3
		.amdhsa_float_denorm_mode_16_64 3
		.amdhsa_dx10_clamp 1
		.amdhsa_ieee_mode 1
		.amdhsa_fp16_overflow 0
		.amdhsa_tg_split 0
		.amdhsa_exception_fp_ieee_invalid_op 0
		.amdhsa_exception_fp_denorm_src 0
		.amdhsa_exception_fp_ieee_div_zero 0
		.amdhsa_exception_fp_ieee_overflow 0
		.amdhsa_exception_fp_ieee_underflow 0
		.amdhsa_exception_fp_ieee_inexact 0
		.amdhsa_exception_int_div_zero 0
	.end_amdhsa_kernel
	.section	.text._Z17wvSplitKQ_hf_sml_I6__halfN3c1015Float8_e4m3fnuzELi64ELi2ELi16ELi16ELi2ELi2EEviiiiiiPKT0_S5_PKT_PS6_PKfSB_ii,"axG",@progbits,_Z17wvSplitKQ_hf_sml_I6__halfN3c1015Float8_e4m3fnuzELi64ELi2ELi16ELi16ELi2ELi2EEviiiiiiPKT0_S5_PKT_PS6_PKfSB_ii,comdat
.Lfunc_end360:
	.size	_Z17wvSplitKQ_hf_sml_I6__halfN3c1015Float8_e4m3fnuzELi64ELi2ELi16ELi16ELi2ELi2EEviiiiiiPKT0_S5_PKT_PS6_PKfSB_ii, .Lfunc_end360-_Z17wvSplitKQ_hf_sml_I6__halfN3c1015Float8_e4m3fnuzELi64ELi2ELi16ELi16ELi2ELi2EEviiiiiiPKT0_S5_PKT_PS6_PKfSB_ii
                                        ; -- End function
	.section	.AMDGPU.csdata,"",@progbits
; Kernel info:
; codeLenInByte = 1800
; NumSgprs: 35
; NumVgprs: 63
; NumAgprs: 0
; TotalNumVgprs: 63
; ScratchSize: 0
; MemoryBound: 0
; FloatMode: 240
; IeeeMode: 1
; LDSByteSize: 65536 bytes/workgroup (compile time only)
; SGPRBlocks: 4
; VGPRBlocks: 7
; NumSGPRsForWavesPerEU: 35
; NumVGPRsForWavesPerEU: 63
; AccumOffset: 64
; Occupancy: 4
; WaveLimiterHint : 0
; COMPUTE_PGM_RSRC2:SCRATCH_EN: 0
; COMPUTE_PGM_RSRC2:USER_SGPR: 2
; COMPUTE_PGM_RSRC2:TRAP_HANDLER: 0
; COMPUTE_PGM_RSRC2:TGID_X_EN: 1
; COMPUTE_PGM_RSRC2:TGID_Y_EN: 0
; COMPUTE_PGM_RSRC2:TGID_Z_EN: 0
; COMPUTE_PGM_RSRC2:TIDIG_COMP_CNT: 1
; COMPUTE_PGM_RSRC3_GFX90A:ACCUM_OFFSET: 15
; COMPUTE_PGM_RSRC3_GFX90A:TG_SPLIT: 0
	.section	.text._Z13wvSplitKQ_hf_I6__halfN3c1015Float8_e4m3fnuzELi64ELi2ELi16ELi16ELi2ELi2EEviiiiiiPKT0_S5_PKT_PS6_PKfSB_ii,"axG",@progbits,_Z13wvSplitKQ_hf_I6__halfN3c1015Float8_e4m3fnuzELi64ELi2ELi16ELi16ELi2ELi2EEviiiiiiPKT0_S5_PKT_PS6_PKfSB_ii,comdat
	.protected	_Z13wvSplitKQ_hf_I6__halfN3c1015Float8_e4m3fnuzELi64ELi2ELi16ELi16ELi2ELi2EEviiiiiiPKT0_S5_PKT_PS6_PKfSB_ii ; -- Begin function _Z13wvSplitKQ_hf_I6__halfN3c1015Float8_e4m3fnuzELi64ELi2ELi16ELi16ELi2ELi2EEviiiiiiPKT0_S5_PKT_PS6_PKfSB_ii
	.globl	_Z13wvSplitKQ_hf_I6__halfN3c1015Float8_e4m3fnuzELi64ELi2ELi16ELi16ELi2ELi2EEviiiiiiPKT0_S5_PKT_PS6_PKfSB_ii
	.p2align	8
	.type	_Z13wvSplitKQ_hf_I6__halfN3c1015Float8_e4m3fnuzELi64ELi2ELi16ELi16ELi2ELi2EEviiiiiiPKT0_S5_PKT_PS6_PKfSB_ii,@function
_Z13wvSplitKQ_hf_I6__halfN3c1015Float8_e4m3fnuzELi64ELi2ELi16ELi16ELi2ELi2EEviiiiiiPKT0_S5_PKT_PS6_PKfSB_ii: ; @_Z13wvSplitKQ_hf_I6__halfN3c1015Float8_e4m3fnuzELi64ELi2ELi16ELi16ELi2ELi2EEviiiiiiPKT0_S5_PKT_PS6_PKfSB_ii
; %bb.0:
	s_load_dwordx4 s[4:7], s[0:1], 0x0
	s_load_dwordx2 s[16:17], s[0:1], 0x10
	s_load_dwordx4 s[12:15], s[0:1], 0x38
	s_load_dwordx4 s[8:11], s[0:1], 0x20
	v_and_b32_e32 v2, 0x3ff, v0
	v_bfe_u32 v3, v0, 10, 10
	v_lshlrev_b32_e32 v48, 4, v2
	s_waitcnt lgkmcnt(0)
	s_lshl_b32 s3, s5, 1
	v_lshl_add_u32 v4, v3, 10, v48
	s_min_u32 s3, s3, 0x10000
	v_cmp_gt_u32_e32 vcc, s3, v4
	s_and_saveexec_b64 s[18:19], vcc
	s_cbranch_execz .LBB361_3
; %bb.1:
	v_mov_b32_e32 v1, 0
	v_lshlrev_b32_e32 v0, 10, v3
	v_mov_b32_e32 v49, v1
	v_lshl_add_u64 v[0:1], v[0:1], 0, v[48:49]
	v_lshl_add_u64 v[0:1], s[8:9], 0, v[0:1]
	s_mov_b64 s[20:21], 0
	s_mov_b64 s[22:23], 0x4000
.LBB361_2:                              ; =>This Inner Loop Header: Depth=1
	global_load_dwordx4 v[6:9], v[0:1], off
	v_lshl_add_u64 v[0:1], v[0:1], 0, s[22:23]
	s_waitcnt vmcnt(0)
	ds_write_b128 v4, v[6:9]
	v_add_u32_e32 v4, 0x4000, v4
	v_cmp_le_u32_e32 vcc, s3, v4
	s_or_b64 s[20:21], vcc, s[20:21]
	s_andn2_b64 exec, exec, s[20:21]
	s_cbranch_execnz .LBB361_2
.LBB361_3:
	s_or_b64 exec, exec, s[18:19]
	s_load_dwordx2 s[22:23], s[0:1], 0x48
	;;#ASMSTART
	s_waitcnt vmcnt(0)
	;;#ASMEND
	s_waitcnt lgkmcnt(0)
	s_barrier
	v_cmp_gt_u32_e32 vcc, s22, v3
	s_and_saveexec_b64 s[18:19], vcc
	s_cbranch_execz .LBB361_39
; %bb.4:
	s_mul_i32 s2, s2, s22
	v_add_lshl_u32 v50, s2, v3, 1
	v_cmp_gt_u32_e32 vcc, s7, v50
	s_and_b64 exec, exec, vcc
	s_cbranch_execz .LBB361_39
; %bb.5:
	v_mbcnt_lo_u32_b32 v0, -1, 0
	v_mbcnt_hi_u32_b32 v0, -1, v0
	v_and_b32_e32 v1, 63, v0
	v_cmp_lt_u32_e32 vcc, 43, v1
	s_cmp_lg_u32 s4, 0
	s_cselect_b64 s[2:3], -1, 0
	v_cndmask_b32_e64 v3, 20, 0, vcc
	v_add_lshl_u32 v49, v3, v0, 2
	v_cvt_f32_u32_e32 v3, s16
	v_cmp_lt_u32_e32 vcc, 23, v1
	s_add_i32 s30, s4, -16
	s_add_i32 s31, s7, -1
	v_cndmask_b32_e64 v1, 40, 0, vcc
	v_add_lshl_u32 v58, v1, v0, 2
	v_rcp_iflag_f32_e32 v0, v3
	s_mul_i32 s22, s22, s23
	s_cmp_lg_u64 s[10:11], 0
	s_load_dword s28, s[12:13], 0x0
	s_load_dword s29, s[14:15], 0x0
	s_load_dwordx2 s[18:19], s[0:1], 0x18
	s_load_dwordx2 s[20:21], s[0:1], 0x30
	v_mul_f32_e32 v0, 0x4f7ffffe, v0
	v_cvt_u32_f32_e32 v0, v0
	s_cselect_b64 s[14:15], -1, 0
	s_lshl_b32 s33, s22, 1
	s_sub_i32 s22, 0, s16
	s_abs_i32 s17, s17
	v_mul_lo_u32 v1, s22, v0
	s_sub_i32 s22, 1, s17
	s_cmp_lt_u32 s17, 2
	s_cselect_b32 s22, s22, 1
	s_sub_i32 s23, s22, s17
	v_mul_hi_u32 v1, v0, v1
	s_cmp_ge_u32 s22, s17
	v_add_u32_e32 v59, v0, v1
	s_cselect_b32 s17, s23, s22
	v_cndmask_b32_e64 v0, 0, 1, s[2:3]
	v_cmp_eq_u32_e64 s[0:1], 0, v2
	s_mov_b64 s[12:13], 0
	v_mov_b32_e32 v53, 0
	s_mul_i32 s17, s17, s16
	v_cmp_ne_u32_e64 s[2:3], 1, v0
	s_mov_b32 s34, 0xffff
	s_branch .LBB361_7
.LBB361_6:                              ;   in Loop: Header=BB361_7 Depth=1
	s_or_b64 exec, exec, s[22:23]
	v_add_u32_e32 v50, s33, v50
	v_cmp_le_u32_e32 vcc, s7, v50
	s_or_b64 s[12:13], vcc, s[12:13]
	s_andn2_b64 exec, exec, s[12:13]
	s_cbranch_execz .LBB361_39
.LBB361_7:                              ; =>This Loop Header: Depth=1
                                        ;     Child Loop BB361_12 Depth 2
	s_and_b64 vcc, exec, s[2:3]
	v_or_b32_e32 v60, 1, v50
	v_mov_b32_e32 v15, v53
	v_mov_b32_e32 v14, v53
	;; [unrolled: 1-line block ×4, first 2 shown]
	s_waitcnt vmcnt(2)
	v_mov_b32_e32 v11, v53
	v_mov_b32_e32 v10, v53
	s_waitcnt lgkmcnt(0)
	v_mov_b32_e32 v9, v53
	v_mov_b32_e32 v8, v53
	;; [unrolled: 1-line block ×10, first 2 shown]
	s_cbranch_vccnz .LBB361_30
; %bb.8:                                ;   in Loop: Header=BB361_7 Depth=1
	v_min_u32_e32 v0, s31, v50
	v_mul_lo_u32 v54, v0, s6
	v_or_b32_e32 v0, 1, v50
	v_min_u32_e32 v0, s31, v0
	v_mul_lo_u32 v56, v0, s6
	v_mov_b32_e32 v0, 0
	v_mov_b32_e32 v55, v53
	;; [unrolled: 1-line block ×3, first 2 shown]
	s_mov_b32 s35, 0
	v_mov_b32_e32 v1, v0
	v_mov_b32_e32 v2, v0
	;; [unrolled: 1-line block ×15, first 2 shown]
	s_branch .LBB361_12
.LBB361_9:                              ;   in Loop: Header=BB361_12 Depth=2
	s_or_b64 exec, exec, s[26:27]
.LBB361_10:                             ;   in Loop: Header=BB361_12 Depth=2
	s_or_b64 exec, exec, s[24:25]
.LBB361_11:                             ;   in Loop: Header=BB361_12 Depth=2
	s_or_b64 exec, exec, s[22:23]
	s_waitcnt vmcnt(0) lgkmcnt(0)
	v_mfma_f32_16x16x32_fp8_fp8 v[12:15], v[32:33], v[24:25], v[12:15]
	s_addk_i32 s35, 0x800
	s_cmp_ge_u32 s35, s4
	v_mfma_f32_16x16x32_fp8_fp8 v[8:11], v[32:33], v[28:29], v[8:11]
	v_mfma_f32_16x16x32_fp8_fp8 v[4:7], v[36:37], v[24:25], v[4:7]
	;; [unrolled: 1-line block ×15, first 2 shown]
	s_cbranch_scc1 .LBB361_30
.LBB361_12:                             ;   Parent Loop BB361_7 Depth=1
                                        ; =>  This Inner Loop Header: Depth=2
	v_add_u32_e32 v61, s35, v48
	v_min_u32_e32 v52, s30, v61
	s_waitcnt lgkmcnt(0)
	v_lshl_add_u64 v[16:17], s[18:19], 0, v[52:53]
	v_add_u32_e32 v51, 0x400, v61
	v_lshl_add_u64 v[18:19], v[16:17], 0, v[54:55]
	v_lshl_add_u64 v[16:17], v[16:17], 0, v[56:57]
	v_min_u32_e32 v52, s30, v51
	global_load_dwordx4 v[24:27], v[18:19], off nt
	global_load_dwordx4 v[28:31], v[16:17], off nt
	v_lshl_add_u64 v[16:17], s[18:19], 0, v[52:53]
	v_lshl_add_u64 v[32:33], v[16:17], 0, v[54:55]
	;; [unrolled: 1-line block ×3, first 2 shown]
	global_load_dwordx4 v[20:23], v[32:33], off nt
	global_load_dwordx4 v[16:19], v[34:35], off nt
	v_mov_b64_e32 v[46:47], 0
	v_cmp_gt_u32_e32 vcc, s4, v61
	v_mov_b64_e32 v[44:45], v[46:47]
	v_mov_b64_e32 v[38:39], v[46:47]
	;; [unrolled: 1-line block ×7, first 2 shown]
	s_and_saveexec_b64 s[22:23], vcc
	s_cbranch_execz .LBB361_11
; %bb.13:                               ;   in Loop: Header=BB361_12 Depth=2
	v_cmp_lt_u32_e32 vcc, s34, v61
                                        ; implicit-def: $vgpr34_vgpr35
	s_and_saveexec_b64 s[24:25], vcc
	s_xor_b64 s[24:25], exec, s[24:25]
	s_cbranch_execz .LBB361_15
; %bb.14:                               ;   in Loop: Header=BB361_12 Depth=2
	global_load_dwordx4 v[32:35], v61, s[8:9]
.LBB361_15:                             ;   in Loop: Header=BB361_12 Depth=2
	s_andn2_saveexec_b64 s[24:25], s[24:25]
	s_cbranch_execz .LBB361_17
; %bb.16:                               ;   in Loop: Header=BB361_12 Depth=2
	s_waitcnt vmcnt(0)
	ds_read_b128 v[32:35], v61
.LBB361_17:                             ;   in Loop: Header=BB361_12 Depth=2
	s_or_b64 exec, exec, s[24:25]
	v_add_u32_e32 v52, s5, v61
	v_cmp_lt_u32_e32 vcc, s34, v52
                                        ; implicit-def: $vgpr38_vgpr39
	s_and_saveexec_b64 s[24:25], vcc
	s_xor_b64 s[24:25], exec, s[24:25]
	s_cbranch_execz .LBB361_19
; %bb.18:                               ;   in Loop: Header=BB361_12 Depth=2
	global_load_dwordx4 v[36:39], v52, s[8:9]
.LBB361_19:                             ;   in Loop: Header=BB361_12 Depth=2
	s_andn2_saveexec_b64 s[24:25], s[24:25]
	s_cbranch_execz .LBB361_21
; %bb.20:                               ;   in Loop: Header=BB361_12 Depth=2
	s_waitcnt vmcnt(0)
	ds_read_b128 v[36:39], v52
.LBB361_21:                             ;   in Loop: Header=BB361_12 Depth=2
	s_or_b64 exec, exec, s[24:25]
	v_mov_b64_e32 v[46:47], 0
	v_cmp_gt_u32_e32 vcc, s4, v51
	v_mov_b64_e32 v[44:45], v[46:47]
	v_mov_b64_e32 v[42:43], v[46:47]
	;; [unrolled: 1-line block ×3, first 2 shown]
	s_and_saveexec_b64 s[24:25], vcc
	s_cbranch_execz .LBB361_10
; %bb.22:                               ;   in Loop: Header=BB361_12 Depth=2
	v_cmp_lt_u32_e32 vcc, s34, v51
                                        ; implicit-def: $vgpr42_vgpr43
	s_and_saveexec_b64 s[26:27], vcc
	s_xor_b64 s[26:27], exec, s[26:27]
	s_cbranch_execz .LBB361_24
; %bb.23:                               ;   in Loop: Header=BB361_12 Depth=2
	global_load_dwordx4 v[40:43], v51, s[8:9]
                                        ; implicit-def: $vgpr61
.LBB361_24:                             ;   in Loop: Header=BB361_12 Depth=2
	s_andn2_saveexec_b64 s[26:27], s[26:27]
	s_cbranch_execz .LBB361_26
; %bb.25:                               ;   in Loop: Header=BB361_12 Depth=2
	s_waitcnt vmcnt(0)
	ds_read_b128 v[40:43], v61 offset:1024
.LBB361_26:                             ;   in Loop: Header=BB361_12 Depth=2
	s_or_b64 exec, exec, s[26:27]
	v_add_u32_e32 v44, s5, v51
	v_cmp_lt_u32_e32 vcc, s34, v44
                                        ; implicit-def: $vgpr46_vgpr47
	s_and_saveexec_b64 s[26:27], vcc
	s_xor_b64 s[26:27], exec, s[26:27]
	s_cbranch_execz .LBB361_28
; %bb.27:                               ;   in Loop: Header=BB361_12 Depth=2
	global_load_dwordx4 v[44:47], v44, s[8:9]
                                        ; implicit-def: $vgpr52
.LBB361_28:                             ;   in Loop: Header=BB361_12 Depth=2
	s_andn2_saveexec_b64 s[26:27], s[26:27]
	s_cbranch_execz .LBB361_9
; %bb.29:                               ;   in Loop: Header=BB361_12 Depth=2
	s_waitcnt vmcnt(0)
	ds_read_b128 v[44:47], v52 offset:1024
	s_branch .LBB361_9
.LBB361_30:                             ;   in Loop: Header=BB361_7 Depth=1
	s_nop 4
	v_cvt_i32_f32_e32 v5, v5
	v_cvt_i32_f32_e32 v13, v13
	;; [unrolled: 1-line block ×10, first 2 shown]
	v_cvt_f32_i32_dpp v5, v5 row_shl:1 row_mask:0xf bank_mask:0xf bound_ctrl:1
	v_cvt_i32_f32_e32 v7, v7
	v_cvt_i32_f32_e32 v3, v3
	v_cvt_f32_i32_dpp v13, v13 row_shl:1 row_mask:0xf bank_mask:0xf bound_ctrl:1
	v_cvt_f32_i32_dpp v14, v14 row_shl:2 row_mask:0xf bank_mask:0xf bound_ctrl:1
	;; [unrolled: 1-line block ×9, first 2 shown]
	v_add_f32_e32 v4, v4, v5
	v_cvt_f32_i32_dpp v5, v7 row_shl:3 row_mask:0xf bank_mask:0xf bound_ctrl:1
	v_cvt_f32_i32_dpp v3, v3 row_shl:3 row_mask:0xf bank_mask:0xf bound_ctrl:1
	v_add_f32_e32 v12, v12, v13
	v_add_f32_e32 v12, v12, v14
	;; [unrolled: 1-line block ×11, first 2 shown]
	ds_bpermute_b32 v13, v49, v12
	ds_bpermute_b32 v11, v49, v10
	;; [unrolled: 1-line block ×4, first 2 shown]
	s_waitcnt lgkmcnt(0)
	v_add_f32_e32 v8, v12, v13
	v_add_f32_e32 v6, v10, v11
	;; [unrolled: 1-line block ×4, first 2 shown]
	ds_bpermute_b32 v9, v58, v8
	ds_bpermute_b32 v7, v58, v6
	;; [unrolled: 1-line block ×4, first 2 shown]
	s_and_saveexec_b64 s[22:23], s[0:1]
	s_cbranch_execz .LBB361_6
; %bb.31:                               ;   in Loop: Header=BB361_7 Depth=1
	s_and_b64 vcc, exec, s[14:15]
	s_cbranch_vccz .LBB361_38
; %bb.32:                               ;   in Loop: Header=BB361_7 Depth=1
	v_mul_hi_u32 v0, v50, v59
	v_mul_lo_u32 v0, v0, s16
	v_sub_u32_e32 v0, v50, v0
	v_subrev_u32_e32 v1, s16, v0
	v_cmp_le_u32_e32 vcc, s16, v0
	v_or_b32_e32 v10, 1, v50
	v_mov_b32_e32 v51, v53
	v_cndmask_b32_e32 v0, v0, v1, vcc
	v_subrev_u32_e32 v1, s16, v0
	v_cmp_le_u32_e32 vcc, s16, v0
	s_nop 1
	v_cndmask_b32_e32 v52, v0, v1, vcc
	v_mul_hi_u32 v0, v10, v59
	v_mul_lo_u32 v0, v0, s16
	v_sub_u32_e32 v0, v10, v0
	v_subrev_u32_e32 v1, s16, v0
	v_cmp_le_u32_e32 vcc, s16, v0
	v_lshl_add_u64 v[14:15], v[52:53], 1, s[10:11]
	v_add_u32_e32 v52, s17, v52
	v_cndmask_b32_e32 v0, v0, v1, vcc
	v_subrev_u32_e32 v1, s16, v0
	v_cmp_le_u32_e32 vcc, s16, v0
	v_lshl_add_u64 v[18:19], v[52:53], 1, s[10:11]
	s_nop 0
	v_cndmask_b32_e32 v0, v0, v1, vcc
	v_mov_b32_e32 v1, v53
	v_add_u32_e32 v52, s17, v0
	v_lshl_add_u64 v[16:17], v[0:1], 1, s[10:11]
	v_lshl_add_u64 v[20:21], v[52:53], 1, s[10:11]
	global_load_ushort v0, v[14:15], off
	global_load_ushort v13, v[16:17], off
	global_load_ushort v12, v[18:19], off
	global_load_ushort v11, v[20:21], off
	s_cbranch_execnz .LBB361_34
.LBB361_33:                             ;   in Loop: Header=BB361_7 Depth=1
	v_mov_b32_e32 v51, v53
	s_waitcnt vmcnt(0)
	v_mov_b32_e32 v11, 0
	v_mov_b32_e32 v10, v60
	;; [unrolled: 1-line block ×5, first 2 shown]
.LBB361_34:                             ;   in Loop: Header=BB361_7 Depth=1
	s_waitcnt lgkmcnt(3)
	v_add_f32_e32 v1, v8, v9
	v_mul_f32_e32 v1, s28, v1
	s_waitcnt vmcnt(3)
	v_fma_mixlo_f16 v8, s29, v1, v0 op_sel_hi:[0,0,1]
	v_lshl_add_u64 v[0:1], v[50:51], 1, s[20:21]
	v_cmp_gt_u32_e32 vcc, s7, v10
	global_store_short v[0:1], v8, off
	s_and_saveexec_b64 s[24:25], vcc
	s_cbranch_execz .LBB361_36
; %bb.35:                               ;   in Loop: Header=BB361_7 Depth=1
	s_waitcnt lgkmcnt(2)
	v_add_f32_e32 v6, v6, v7
	v_mul_f32_e32 v6, s28, v6
	s_waitcnt vmcnt(3)
	v_fma_mixlo_f16 v6, s29, v6, v13 op_sel_hi:[0,0,1]
	global_store_short v[0:1], v6, off offset:2
.LBB361_36:                             ;   in Loop: Header=BB361_7 Depth=1
	s_or_b64 exec, exec, s[24:25]
	s_waitcnt lgkmcnt(1)
	v_add_f32_e32 v0, v4, v5
	v_mul_f32_e32 v0, s28, v0
	v_add_u32_e32 v52, s7, v50
	s_waitcnt vmcnt(2)
	v_fma_mixlo_f16 v4, s29, v0, v12 op_sel_hi:[0,0,1]
	v_lshl_add_u64 v[0:1], v[52:53], 1, s[20:21]
	global_store_short v[0:1], v4, off
	s_and_b64 exec, exec, vcc
	s_cbranch_execz .LBB361_6
; %bb.37:                               ;   in Loop: Header=BB361_7 Depth=1
	s_waitcnt lgkmcnt(0)
	v_add_f32_e32 v0, v2, v3
	v_mul_f32_e32 v0, s28, v0
	v_add_u32_e32 v52, s7, v10
	s_waitcnt vmcnt(2)
	v_fma_mixlo_f16 v2, s29, v0, v11 op_sel_hi:[0,0,1]
	v_lshl_add_u64 v[0:1], v[52:53], 1, s[20:21]
	global_store_short v[0:1], v2, off
	s_branch .LBB361_6
.LBB361_38:                             ;   in Loop: Header=BB361_7 Depth=1
                                        ; implicit-def: $vgpr0
                                        ; implicit-def: $vgpr13
                                        ; implicit-def: $vgpr12
                                        ; implicit-def: $vgpr11
                                        ; implicit-def: $vgpr10
	s_branch .LBB361_33
.LBB361_39:
	s_endpgm
	.section	.rodata,"a",@progbits
	.p2align	6, 0x0
	.amdhsa_kernel _Z13wvSplitKQ_hf_I6__halfN3c1015Float8_e4m3fnuzELi64ELi2ELi16ELi16ELi2ELi2EEviiiiiiPKT0_S5_PKT_PS6_PKfSB_ii
		.amdhsa_group_segment_fixed_size 65536
		.amdhsa_private_segment_fixed_size 0
		.amdhsa_kernarg_size 80
		.amdhsa_user_sgpr_count 2
		.amdhsa_user_sgpr_dispatch_ptr 0
		.amdhsa_user_sgpr_queue_ptr 0
		.amdhsa_user_sgpr_kernarg_segment_ptr 1
		.amdhsa_user_sgpr_dispatch_id 0
		.amdhsa_user_sgpr_kernarg_preload_length 0
		.amdhsa_user_sgpr_kernarg_preload_offset 0
		.amdhsa_user_sgpr_private_segment_size 0
		.amdhsa_uses_dynamic_stack 0
		.amdhsa_enable_private_segment 0
		.amdhsa_system_sgpr_workgroup_id_x 1
		.amdhsa_system_sgpr_workgroup_id_y 0
		.amdhsa_system_sgpr_workgroup_id_z 0
		.amdhsa_system_sgpr_workgroup_info 0
		.amdhsa_system_vgpr_workitem_id 1
		.amdhsa_next_free_vgpr 62
		.amdhsa_next_free_sgpr 36
		.amdhsa_accum_offset 64
		.amdhsa_reserve_vcc 1
		.amdhsa_float_round_mode_32 0
		.amdhsa_float_round_mode_16_64 0
		.amdhsa_float_denorm_mode_32 3
		.amdhsa_float_denorm_mode_16_64 3
		.amdhsa_dx10_clamp 1
		.amdhsa_ieee_mode 1
		.amdhsa_fp16_overflow 0
		.amdhsa_tg_split 0
		.amdhsa_exception_fp_ieee_invalid_op 0
		.amdhsa_exception_fp_denorm_src 0
		.amdhsa_exception_fp_ieee_div_zero 0
		.amdhsa_exception_fp_ieee_overflow 0
		.amdhsa_exception_fp_ieee_underflow 0
		.amdhsa_exception_fp_ieee_inexact 0
		.amdhsa_exception_int_div_zero 0
	.end_amdhsa_kernel
	.section	.text._Z13wvSplitKQ_hf_I6__halfN3c1015Float8_e4m3fnuzELi64ELi2ELi16ELi16ELi2ELi2EEviiiiiiPKT0_S5_PKT_PS6_PKfSB_ii,"axG",@progbits,_Z13wvSplitKQ_hf_I6__halfN3c1015Float8_e4m3fnuzELi64ELi2ELi16ELi16ELi2ELi2EEviiiiiiPKT0_S5_PKT_PS6_PKfSB_ii,comdat
.Lfunc_end361:
	.size	_Z13wvSplitKQ_hf_I6__halfN3c1015Float8_e4m3fnuzELi64ELi2ELi16ELi16ELi2ELi2EEviiiiiiPKT0_S5_PKT_PS6_PKfSB_ii, .Lfunc_end361-_Z13wvSplitKQ_hf_I6__halfN3c1015Float8_e4m3fnuzELi64ELi2ELi16ELi16ELi2ELi2EEviiiiiiPKT0_S5_PKT_PS6_PKfSB_ii
                                        ; -- End function
	.section	.AMDGPU.csdata,"",@progbits
; Kernel info:
; codeLenInByte = 1940
; NumSgprs: 42
; NumVgprs: 62
; NumAgprs: 0
; TotalNumVgprs: 62
; ScratchSize: 0
; MemoryBound: 1
; FloatMode: 240
; IeeeMode: 1
; LDSByteSize: 65536 bytes/workgroup (compile time only)
; SGPRBlocks: 5
; VGPRBlocks: 7
; NumSGPRsForWavesPerEU: 42
; NumVGPRsForWavesPerEU: 62
; AccumOffset: 64
; Occupancy: 4
; WaveLimiterHint : 0
; COMPUTE_PGM_RSRC2:SCRATCH_EN: 0
; COMPUTE_PGM_RSRC2:USER_SGPR: 2
; COMPUTE_PGM_RSRC2:TRAP_HANDLER: 0
; COMPUTE_PGM_RSRC2:TGID_X_EN: 1
; COMPUTE_PGM_RSRC2:TGID_Y_EN: 0
; COMPUTE_PGM_RSRC2:TGID_Z_EN: 0
; COMPUTE_PGM_RSRC2:TIDIG_COMP_CNT: 1
; COMPUTE_PGM_RSRC3_GFX90A:ACCUM_OFFSET: 15
; COMPUTE_PGM_RSRC3_GFX90A:TG_SPLIT: 0
	.section	.text._Z17wvSplitKQ_hf_sml_I6__halfN3c1015Float8_e4m3fnuzELi32ELi2ELi16ELi16ELi1ELi3EEviiiiiiPKT0_S5_PKT_PS6_PKfSB_ii,"axG",@progbits,_Z17wvSplitKQ_hf_sml_I6__halfN3c1015Float8_e4m3fnuzELi32ELi2ELi16ELi16ELi1ELi3EEviiiiiiPKT0_S5_PKT_PS6_PKfSB_ii,comdat
	.protected	_Z17wvSplitKQ_hf_sml_I6__halfN3c1015Float8_e4m3fnuzELi32ELi2ELi16ELi16ELi1ELi3EEviiiiiiPKT0_S5_PKT_PS6_PKfSB_ii ; -- Begin function _Z17wvSplitKQ_hf_sml_I6__halfN3c1015Float8_e4m3fnuzELi32ELi2ELi16ELi16ELi1ELi3EEviiiiiiPKT0_S5_PKT_PS6_PKfSB_ii
	.globl	_Z17wvSplitKQ_hf_sml_I6__halfN3c1015Float8_e4m3fnuzELi32ELi2ELi16ELi16ELi1ELi3EEviiiiiiPKT0_S5_PKT_PS6_PKfSB_ii
	.p2align	8
	.type	_Z17wvSplitKQ_hf_sml_I6__halfN3c1015Float8_e4m3fnuzELi32ELi2ELi16ELi16ELi1ELi3EEviiiiiiPKT0_S5_PKT_PS6_PKfSB_ii,@function
_Z17wvSplitKQ_hf_sml_I6__halfN3c1015Float8_e4m3fnuzELi32ELi2ELi16ELi16ELi1ELi3EEviiiiiiPKT0_S5_PKT_PS6_PKfSB_ii: ; @_Z17wvSplitKQ_hf_sml_I6__halfN3c1015Float8_e4m3fnuzELi32ELi2ELi16ELi16ELi1ELi3EEviiiiiiPKT0_S5_PKT_PS6_PKfSB_ii
; %bb.0:
	s_load_dwordx4 s[12:15], s[0:1], 0x0
	v_and_b32_e32 v4, 0x3ff, v0
	v_bfe_u32 v5, v0, 10, 10
	v_lshlrev_b32_e32 v52, 4, v4
	v_lshl_add_u32 v0, v5, 9, v52
	s_waitcnt lgkmcnt(0)
	s_mul_i32 s3, s13, 3
	s_min_u32 s3, s3, 0x10000
	v_cmp_gt_u32_e32 vcc, s3, v0
	s_and_saveexec_b64 s[4:5], vcc
	s_cbranch_execz .LBB362_9
; %bb.1:
	s_load_dwordx2 s[6:7], s[0:1], 0x20
	v_add_u32_e32 v1, 0x2000, v0
	v_cmp_gt_u32_e32 vcc, s3, v1
	s_waitcnt lgkmcnt(0)
	global_load_dwordx4 v[6:9], v0, s[6:7]
	s_waitcnt vmcnt(0)
	ds_write_b128 v0, v[6:9]
	s_and_saveexec_b64 s[8:9], vcc
	s_xor_b64 s[8:9], exec, s[8:9]
	s_cbranch_execz .LBB362_9
; %bb.2:
	v_mov_b32_e32 v1, 0
	v_lshl_add_u64 v[2:3], s[6:7], 0, v[0:1]
	v_add_co_u32_e32 v6, vcc, 0x2000, v2
	v_add_u32_e32 v1, 0x4000, v0
	s_nop 0
	v_addc_co_u32_e32 v7, vcc, 0, v3, vcc
	global_load_dwordx4 v[6:9], v[6:7], off
	v_cmp_gt_u32_e32 vcc, s3, v1
	s_waitcnt vmcnt(0)
	ds_write_b128 v0, v[6:9] offset:8192
	s_and_saveexec_b64 s[6:7], vcc
	s_xor_b64 s[6:7], exec, s[6:7]
	s_cbranch_execz .LBB362_9
; %bb.3:
	v_add_co_u32_e32 v6, vcc, 0x4000, v2
	v_add_u32_e32 v1, 0x6000, v0
	s_nop 0
	v_addc_co_u32_e32 v7, vcc, 0, v3, vcc
	global_load_dwordx4 v[6:9], v[6:7], off
	v_cmp_gt_u32_e32 vcc, s3, v1
	s_waitcnt vmcnt(0)
	ds_write_b128 v0, v[6:9] offset:16384
	s_and_saveexec_b64 s[6:7], vcc
	s_xor_b64 s[6:7], exec, s[6:7]
	s_cbranch_execz .LBB362_9
; %bb.4:
	;; [unrolled: 12-line block ×6, first 2 shown]
	v_add_co_u32_e32 v2, vcc, 0xe000, v2
	s_nop 1
	v_addc_co_u32_e32 v3, vcc, 0, v3, vcc
	global_load_dwordx4 v[6:9], v[2:3], off
	s_waitcnt vmcnt(0)
	ds_write_b128 v0, v[6:9] offset:57344
.LBB362_9:
	s_or_b64 exec, exec, s[4:5]
	s_load_dwordx2 s[20:21], s[0:1], 0x48
	;;#ASMSTART
	s_waitcnt vmcnt(0)
	;;#ASMEND
	s_waitcnt lgkmcnt(0)
	s_barrier
	v_cmp_gt_u32_e32 vcc, s20, v5
	s_and_saveexec_b64 s[4:5], vcc
	s_cbranch_execz .LBB362_29
; %bb.10:
	s_load_dwordx2 s[16:17], s[0:1], 0x10
	s_mul_i32 s2, s2, s20
	v_add_lshl_u32 v44, s2, v5, 1
	v_cmp_gt_u32_e32 vcc, s15, v44
	s_and_b64 exec, exec, vcc
	s_cbranch_execz .LBB362_29
; %bb.11:
	s_load_dwordx8 s[4:11], s[0:1], 0x28
	s_load_dwordx2 s[18:19], s[0:1], 0x18
	v_mbcnt_lo_u32_b32 v0, -1, 0
	v_mbcnt_hi_u32_b32 v0, -1, v0
	s_cmp_lg_u32 s12, 0
	v_and_b32_e32 v1, 63, v0
	s_cselect_b64 s[2:3], -1, 0
	s_add_i32 s26, s12, -16
	s_add_i32 s27, s15, -1
	v_cmp_lt_u32_e32 vcc, 43, v1
	s_mul_i32 s20, s20, s21
	s_waitcnt lgkmcnt(0)
	s_cmp_lg_u64 s[4:5], 0
	v_cndmask_b32_e64 v2, 20, 0, vcc
	v_cmp_lt_u32_e32 vcc, 23, v1
	s_load_dword s24, s[8:9], 0x0
	s_load_dword s25, s[10:11], 0x0
	v_cndmask_b32_e64 v1, 40, 0, vcc
	s_cselect_b64 s[10:11], -1, 0
	s_lshl_b32 s28, s20, 1
	s_abs_i32 s20, s17
	v_add_lshl_u32 v53, v2, v0, 2
	v_add_lshl_u32 v54, v1, v0, 2
	v_cvt_f32_u32_e32 v0, s16
	v_cvt_f32_u32_e32 v1, s20
	s_sub_i32 s21, 0, s16
	s_lshl_b32 s17, s15, 1
	v_rcp_iflag_f32_e32 v0, v0
	v_rcp_iflag_f32_e32 v1, v1
	v_cmp_eq_u32_e64 s[0:1], 0, v4
	s_mov_b64 s[8:9], 0
	v_mul_f32_e32 v0, 0x4f7ffffe, v0
	v_mul_f32_e32 v1, 0x4f7ffffe, v1
	v_cvt_u32_f32_e32 v0, v0
	v_cvt_u32_f32_e32 v1, v1
	v_mov_b32_e32 v47, 0
	v_lshl_add_u32 v56, s13, 1, v52
	v_mul_lo_u32 v2, s21, v0
	s_sub_i32 s21, 0, s20
	v_readfirstlane_b32 s22, v1
	s_mul_i32 s21, s21, s22
	s_mul_hi_u32 s21, s22, s21
	s_add_i32 s22, s22, s21
	s_sub_i32 s21, 1, s20
	s_cmp_lt_u32 s20, 2
	s_cselect_b32 s21, s21, 1
	s_sub_i32 s23, s21, s20
	s_cmp_ge_u32 s21, s20
	s_cselect_b32 s29, s23, s21
	s_lshr_b32 s21, s22, 31
	s_mul_i32 s21, s21, s20
	s_sub_i32 s21, 2, s21
	s_sub_i32 s22, s21, s20
	s_cmp_ge_u32 s21, s20
	s_cselect_b32 s21, s22, s21
	s_sub_i32 s22, s21, s20
	v_mul_hi_u32 v2, v0, v2
	s_cmp_ge_u32 s21, s20
	v_add_u32_e32 v55, v0, v2
	s_cselect_b32 s30, s22, s21
	v_cndmask_b32_e64 v0, 0, 1, s[2:3]
	s_mul_i32 s29, s29, s16
	s_mul_i32 s30, s30, s16
	v_add_u32_e32 v57, s13, v52
	v_cmp_ne_u32_e64 s[2:3], 1, v0
	s_branch .LBB362_13
.LBB362_12:                             ;   in Loop: Header=BB362_13 Depth=1
	s_or_b64 exec, exec, s[20:21]
	v_add_u32_e32 v44, s28, v44
	v_cmp_le_u32_e32 vcc, s15, v44
	s_or_b64 s[8:9], vcc, s[8:9]
	s_andn2_b64 exec, exec, s[8:9]
	s_cbranch_execz .LBB362_29
.LBB362_13:                             ; =>This Loop Header: Depth=1
                                        ;     Child Loop BB362_16 Depth 2
	s_and_b64 vcc, exec, s[2:3]
	v_or_b32_e32 v58, 1, v44
	v_mov_b32_e32 v23, v47
	v_mov_b32_e32 v22, v47
	v_mov_b32_e32 v21, v47
	v_mov_b32_e32 v20, v47
	v_mov_b32_e32 v19, v47
	v_mov_b32_e32 v18, v47
	v_mov_b32_e32 v17, v47
	v_mov_b32_e32 v16, v47
	v_mov_b32_e32 v15, v47
	s_waitcnt lgkmcnt(0)
	v_mov_b32_e32 v14, v47
	v_mov_b32_e32 v13, v47
	;; [unrolled: 1-line block ×3, first 2 shown]
	s_waitcnt vmcnt(3)
	v_mov_b32_e32 v11, v47
	v_mov_b32_e32 v10, v47
	v_mov_b32_e32 v9, v47
	v_mov_b32_e32 v8, v47
	v_mov_b32_e32 v3, v47
	v_mov_b32_e32 v2, v47
	v_mov_b32_e32 v1, v47
	v_mov_b32_e32 v0, v47
	v_mov_b32_e32 v7, v47
	v_mov_b32_e32 v6, v47
	v_mov_b32_e32 v5, v47
	v_mov_b32_e32 v4, v47
	s_cbranch_vccnz .LBB362_18
; %bb.14:                               ;   in Loop: Header=BB362_13 Depth=1
	v_min_u32_e32 v0, s27, v44
	v_mul_lo_u32 v48, v0, s14
	v_or_b32_e32 v0, 1, v44
	v_min_u32_e32 v0, s27, v0
	v_mov_b32_e32 v4, 0
	v_mov_b32_e32 v49, v47
	v_mul_lo_u32 v50, v0, s14
	v_mov_b32_e32 v51, v47
	s_mov_b32 s13, 0
	v_mov_b32_e32 v5, v4
	v_mov_b32_e32 v6, v4
	;; [unrolled: 1-line block ×23, first 2 shown]
	s_branch .LBB362_16
.LBB362_15:                             ;   in Loop: Header=BB362_16 Depth=2
	s_or_b64 exec, exec, s[20:21]
	s_waitcnt vmcnt(1) lgkmcnt(0)
	v_mfma_f32_16x16x32_fp8_fp8 v[20:23], v[36:37], v[28:29], v[20:23]
	s_addk_i32 s13, 0x200
	s_cmp_ge_u32 s13, s12
	s_waitcnt vmcnt(0)
	v_mfma_f32_16x16x32_fp8_fp8 v[16:19], v[36:37], v[24:25], v[16:19]
	v_mfma_f32_16x16x32_fp8_fp8 v[12:15], v[40:41], v[28:29], v[12:15]
	;; [unrolled: 1-line block ×11, first 2 shown]
	s_cbranch_scc1 .LBB362_18
.LBB362_16:                             ;   Parent Loop BB362_13 Depth=1
                                        ; =>  This Inner Loop Header: Depth=2
	v_add_u32_e32 v45, s13, v52
	v_min_u32_e32 v46, s26, v45
	v_lshl_add_u64 v[24:25], s[18:19], 0, v[46:47]
	v_lshl_add_u64 v[32:33], v[24:25], 0, v[48:49]
	;; [unrolled: 1-line block ×3, first 2 shown]
	global_load_dwordx4 v[28:31], v[32:33], off nt
	global_load_dwordx4 v[24:27], v[34:35], off nt
	v_mov_b64_e32 v[36:37], 0
	v_cmp_gt_u32_e32 vcc, s12, v45
	v_mov_b64_e32 v[38:39], v[36:37]
	v_mov_b64_e32 v[40:41], v[36:37]
	;; [unrolled: 1-line block ×5, first 2 shown]
	s_and_saveexec_b64 s[20:21], vcc
	s_cbranch_execz .LBB362_15
; %bb.17:                               ;   in Loop: Header=BB362_16 Depth=2
	v_add_u32_e32 v32, s13, v57
	ds_read_b128 v[36:39], v45
	ds_read_b128 v[40:43], v32
	v_add_u32_e32 v32, s13, v56
	ds_read_b128 v[32:35], v32
	s_branch .LBB362_15
.LBB362_18:                             ;   in Loop: Header=BB362_13 Depth=1
	s_nop 0
	v_cvt_i32_f32_e32 v21, v21
	v_cvt_i32_f32_e32 v22, v22
	v_cvt_i32_f32_e32 v17, v17
	v_cvt_i32_f32_e32 v23, v23
	v_cvt_i32_f32_e32 v18, v18
	v_cvt_f32_i32_dpp v21, v21 row_shl:1 row_mask:0xf bank_mask:0xf bound_ctrl:1
	v_cvt_i32_f32_e32 v13, v13
	v_cvt_f32_i32_dpp v22, v22 row_shl:2 row_mask:0xf bank_mask:0xf bound_ctrl:1
	v_cvt_f32_i32_dpp v17, v17 row_shl:1 row_mask:0xf bank_mask:0xf bound_ctrl:1
	v_cvt_i32_f32_e32 v14, v14
	v_cvt_f32_i32_dpp v23, v23 row_shl:3 row_mask:0xf bank_mask:0xf bound_ctrl:1
	v_cvt_f32_i32_dpp v18, v18 row_shl:2 row_mask:0xf bank_mask:0xf bound_ctrl:1
	v_cvt_i32_f32_e32 v19, v19
	v_cvt_i32_f32_e32 v15, v15
	v_add_f32_e32 v20, v20, v21
	v_cvt_f32_i32_dpp v13, v13 row_shl:1 row_mask:0xf bank_mask:0xf bound_ctrl:1
	v_add_f32_e32 v20, v20, v22
	v_add_f32_e32 v17, v16, v17
	v_cvt_f32_i32_dpp v14, v14 row_shl:2 row_mask:0xf bank_mask:0xf bound_ctrl:1
	v_add_f32_e32 v20, v20, v23
	v_add_f32_e32 v17, v17, v18
	v_cvt_f32_i32_dpp v18, v19 row_shl:3 row_mask:0xf bank_mask:0xf bound_ctrl:1
	v_cvt_f32_i32_dpp v15, v15 row_shl:3 row_mask:0xf bank_mask:0xf bound_ctrl:1
	v_cvt_i32_f32_e32 v1, v1
	ds_bpermute_b32 v21, v53, v20
	v_cvt_i32_f32_e32 v2, v2
	v_add_f32_e32 v12, v12, v13
	v_add_f32_e32 v12, v12, v14
	;; [unrolled: 1-line block ×4, first 2 shown]
	v_cvt_f32_i32_dpp v1, v1 row_shl:1 row_mask:0xf bank_mask:0xf bound_ctrl:1
	ds_bpermute_b32 v18, v53, v17
	ds_bpermute_b32 v19, v53, v15
	v_cvt_f32_i32_dpp v2, v2 row_shl:2 row_mask:0xf bank_mask:0xf bound_ctrl:1
	v_cvt_i32_f32_e32 v3, v3
	s_waitcnt lgkmcnt(0)
	v_add_f32_e32 v16, v20, v21
	v_cvt_i32_f32_e32 v20, v9
	v_add_f32_e32 v0, v0, v1
	v_add_f32_e32 v0, v0, v2
	v_cvt_f32_i32_dpp v1, v3 row_shl:3 row_mask:0xf bank_mask:0xf bound_ctrl:1
	v_cvt_i32_f32_e32 v2, v5
	v_add_f32_e32 v12, v17, v18
	v_add_f32_e32 v9, v15, v19
	v_cvt_f32_i32_dpp v15, v20 row_shl:1 row_mask:0xf bank_mask:0xf bound_ctrl:1
	v_cvt_i32_f32_e32 v17, v10
	v_cvt_i32_f32_e32 v3, v6
	;; [unrolled: 1-line block ×4, first 2 shown]
	v_add_f32_e32 v0, v0, v1
	v_cvt_f32_i32_dpp v1, v2 row_shl:1 row_mask:0xf bank_mask:0xf bound_ctrl:1
	v_add_f32_e32 v8, v8, v15
	v_cvt_f32_i32_dpp v15, v17 row_shl:2 row_mask:0xf bank_mask:0xf bound_ctrl:1
	v_cvt_f32_i32_dpp v2, v3 row_shl:2 row_mask:0xf bank_mask:0xf bound_ctrl:1
	;; [unrolled: 1-line block ×4, first 2 shown]
	v_add_f32_e32 v1, v4, v1
	v_add_f32_e32 v8, v8, v15
	;; [unrolled: 1-line block ×5, first 2 shown]
	ds_bpermute_b32 v11, v53, v8
	ds_bpermute_b32 v5, v53, v0
	;; [unrolled: 1-line block ×5, first 2 shown]
	s_waitcnt lgkmcnt(4)
	v_add_f32_e32 v6, v8, v11
	s_waitcnt lgkmcnt(3)
	v_add_f32_e32 v4, v0, v5
	;; [unrolled: 2-line block ×3, first 2 shown]
	ds_bpermute_b32 v10, v54, v9
	ds_bpermute_b32 v7, v54, v6
	;; [unrolled: 1-line block ×4, first 2 shown]
	s_and_saveexec_b64 s[20:21], s[0:1]
	s_cbranch_execz .LBB362_12
; %bb.19:                               ;   in Loop: Header=BB362_13 Depth=1
	s_and_b64 vcc, exec, s[10:11]
	s_cbranch_vccz .LBB362_28
; %bb.20:                               ;   in Loop: Header=BB362_13 Depth=1
	v_mul_hi_u32 v0, v44, v55
	v_mul_lo_u32 v0, v0, s16
	v_sub_u32_e32 v0, v44, v0
	v_subrev_u32_e32 v1, s16, v0
	v_cmp_le_u32_e32 vcc, s16, v0
	v_or_b32_e32 v8, 1, v44
	v_mov_b32_e32 v19, v47
	v_cndmask_b32_e32 v0, v0, v1, vcc
	v_subrev_u32_e32 v1, s16, v0
	v_cmp_le_u32_e32 vcc, s16, v0
	v_mov_b32_e32 v45, v47
	s_nop 0
	v_cndmask_b32_e32 v46, v0, v1, vcc
	v_mul_hi_u32 v0, v8, v55
	v_mul_lo_u32 v0, v0, s16
	v_sub_u32_e32 v0, v8, v0
	v_subrev_u32_e32 v1, s16, v0
	v_cmp_le_u32_e32 vcc, s16, v0
	v_lshl_add_u64 v[20:21], v[46:47], 1, s[4:5]
	v_add_u32_e32 v18, s29, v46
	v_cndmask_b32_e32 v0, v0, v1, vcc
	v_subrev_u32_e32 v1, s16, v0
	v_cmp_le_u32_e32 vcc, s16, v0
	v_add_u32_e32 v46, s30, v46
	v_lshl_add_u64 v[24:25], v[18:19], 1, s[4:5]
	v_cndmask_b32_e32 v0, v0, v1, vcc
	v_mov_b32_e32 v1, v47
	v_add_u32_e32 v18, s29, v0
	v_lshl_add_u64 v[28:29], v[46:47], 1, s[4:5]
	v_add_u32_e32 v46, s30, v0
	v_lshl_add_u64 v[22:23], v[0:1], 1, s[4:5]
	v_lshl_add_u64 v[26:27], v[18:19], 1, s[4:5]
	v_lshl_add_u64 v[30:31], v[46:47], 1, s[4:5]
	global_load_ushort v0, v[20:21], off
	global_load_ushort v19, v[22:23], off
	;; [unrolled: 1-line block ×6, first 2 shown]
	s_cbranch_execnz .LBB362_22
.LBB362_21:                             ;   in Loop: Header=BB362_13 Depth=1
	v_mov_b32_e32 v45, v47
	s_waitcnt vmcnt(5)
	v_mov_b32_e32 v0, 0
	v_mov_b32_e32 v8, v58
	s_waitcnt vmcnt(4)
	v_mov_b32_e32 v19, 0
	s_waitcnt vmcnt(3)
	;; [unrolled: 2-line block ×5, first 2 shown]
	v_mov_b32_e32 v11, 0
.LBB362_22:                             ;   in Loop: Header=BB362_13 Depth=1
	s_waitcnt lgkmcnt(5)
	v_add_f32_e32 v1, v16, v14
	v_mul_f32_e32 v1, s24, v1
	s_waitcnt vmcnt(5)
	v_fma_mixlo_f16 v14, s25, v1, v0 op_sel_hi:[0,0,1]
	v_lshl_add_u64 v[0:1], v[44:45], 1, s[6:7]
	v_cmp_gt_u32_e32 vcc, s15, v8
	global_store_short v[0:1], v14, off
	s_and_saveexec_b64 s[22:23], vcc
	s_cbranch_execz .LBB362_24
; %bb.23:                               ;   in Loop: Header=BB362_13 Depth=1
	s_waitcnt lgkmcnt(4)
	v_add_f32_e32 v12, v12, v13
	v_mul_f32_e32 v12, s24, v12
	s_waitcnt vmcnt(5)
	v_fma_mixlo_f16 v12, s25, v12, v19 op_sel_hi:[0,0,1]
	global_store_short v[0:1], v12, off offset:2
.LBB362_24:                             ;   in Loop: Header=BB362_13 Depth=1
	s_or_b64 exec, exec, s[22:23]
	s_waitcnt lgkmcnt(3)
	v_add_f32_e32 v0, v9, v10
	v_mul_f32_e32 v0, s24, v0
	v_add_u32_e32 v46, s15, v44
	s_waitcnt vmcnt(4)
	v_fma_mixlo_f16 v9, s25, v0, v18 op_sel_hi:[0,0,1]
	v_lshl_add_u64 v[0:1], v[46:47], 1, s[6:7]
	global_store_short v[0:1], v9, off
	s_and_saveexec_b64 s[22:23], vcc
	s_cbranch_execz .LBB362_26
; %bb.25:                               ;   in Loop: Header=BB362_13 Depth=1
	s_waitcnt lgkmcnt(2)
	v_add_f32_e32 v0, v6, v7
	v_mul_f32_e32 v0, s24, v0
	s_waitcnt vmcnt(4)
	v_fma_mixlo_f16 v6, s25, v0, v17 op_sel_hi:[0,0,1]
	v_add_u32_e32 v0, s15, v8
	v_mov_b32_e32 v1, v47
	v_lshl_add_u64 v[0:1], v[0:1], 1, s[6:7]
	global_store_short v[0:1], v6, off
.LBB362_26:                             ;   in Loop: Header=BB362_13 Depth=1
	s_or_b64 exec, exec, s[22:23]
	s_waitcnt lgkmcnt(1)
	v_add_f32_e32 v0, v4, v5
	v_mul_f32_e32 v0, s24, v0
	v_add_u32_e32 v46, s15, v46
	s_waitcnt vmcnt(3)
	v_fma_mixlo_f16 v4, s25, v0, v15 op_sel_hi:[0,0,1]
	v_lshl_add_u64 v[0:1], v[46:47], 1, s[6:7]
	global_store_short v[0:1], v4, off
	s_and_b64 exec, exec, vcc
	s_cbranch_execz .LBB362_12
; %bb.27:                               ;   in Loop: Header=BB362_13 Depth=1
	s_waitcnt lgkmcnt(0)
	v_add_f32_e32 v0, v2, v3
	v_mul_f32_e32 v0, s24, v0
	v_add_u32_e32 v46, s17, v8
	s_waitcnt vmcnt(3)
	v_fma_mixlo_f16 v2, s25, v0, v11 op_sel_hi:[0,0,1]
	v_lshl_add_u64 v[0:1], v[46:47], 1, s[6:7]
	global_store_short v[0:1], v2, off
	s_branch .LBB362_12
.LBB362_28:                             ;   in Loop: Header=BB362_13 Depth=1
                                        ; implicit-def: $vgpr11
                                        ; implicit-def: $vgpr15
                                        ; implicit-def: $vgpr17
                                        ; implicit-def: $vgpr18
                                        ; implicit-def: $vgpr19
                                        ; implicit-def: $vgpr0
                                        ; implicit-def: $vgpr8
	s_branch .LBB362_21
.LBB362_29:
	s_endpgm
	.section	.rodata,"a",@progbits
	.p2align	6, 0x0
	.amdhsa_kernel _Z17wvSplitKQ_hf_sml_I6__halfN3c1015Float8_e4m3fnuzELi32ELi2ELi16ELi16ELi1ELi3EEviiiiiiPKT0_S5_PKT_PS6_PKfSB_ii
		.amdhsa_group_segment_fixed_size 65536
		.amdhsa_private_segment_fixed_size 0
		.amdhsa_kernarg_size 80
		.amdhsa_user_sgpr_count 2
		.amdhsa_user_sgpr_dispatch_ptr 0
		.amdhsa_user_sgpr_queue_ptr 0
		.amdhsa_user_sgpr_kernarg_segment_ptr 1
		.amdhsa_user_sgpr_dispatch_id 0
		.amdhsa_user_sgpr_kernarg_preload_length 0
		.amdhsa_user_sgpr_kernarg_preload_offset 0
		.amdhsa_user_sgpr_private_segment_size 0
		.amdhsa_uses_dynamic_stack 0
		.amdhsa_enable_private_segment 0
		.amdhsa_system_sgpr_workgroup_id_x 1
		.amdhsa_system_sgpr_workgroup_id_y 0
		.amdhsa_system_sgpr_workgroup_id_z 0
		.amdhsa_system_sgpr_workgroup_info 0
		.amdhsa_system_vgpr_workitem_id 1
		.amdhsa_next_free_vgpr 59
		.amdhsa_next_free_sgpr 31
		.amdhsa_accum_offset 60
		.amdhsa_reserve_vcc 1
		.amdhsa_float_round_mode_32 0
		.amdhsa_float_round_mode_16_64 0
		.amdhsa_float_denorm_mode_32 3
		.amdhsa_float_denorm_mode_16_64 3
		.amdhsa_dx10_clamp 1
		.amdhsa_ieee_mode 1
		.amdhsa_fp16_overflow 0
		.amdhsa_tg_split 0
		.amdhsa_exception_fp_ieee_invalid_op 0
		.amdhsa_exception_fp_denorm_src 0
		.amdhsa_exception_fp_ieee_div_zero 0
		.amdhsa_exception_fp_ieee_overflow 0
		.amdhsa_exception_fp_ieee_underflow 0
		.amdhsa_exception_fp_ieee_inexact 0
		.amdhsa_exception_int_div_zero 0
	.end_amdhsa_kernel
	.section	.text._Z17wvSplitKQ_hf_sml_I6__halfN3c1015Float8_e4m3fnuzELi32ELi2ELi16ELi16ELi1ELi3EEviiiiiiPKT0_S5_PKT_PS6_PKfSB_ii,"axG",@progbits,_Z17wvSplitKQ_hf_sml_I6__halfN3c1015Float8_e4m3fnuzELi32ELi2ELi16ELi16ELi1ELi3EEviiiiiiPKT0_S5_PKT_PS6_PKfSB_ii,comdat
.Lfunc_end362:
	.size	_Z17wvSplitKQ_hf_sml_I6__halfN3c1015Float8_e4m3fnuzELi32ELi2ELi16ELi16ELi1ELi3EEviiiiiiPKT0_S5_PKT_PS6_PKfSB_ii, .Lfunc_end362-_Z17wvSplitKQ_hf_sml_I6__halfN3c1015Float8_e4m3fnuzELi32ELi2ELi16ELi16ELi1ELi3EEviiiiiiPKT0_S5_PKT_PS6_PKfSB_ii
                                        ; -- End function
	.section	.AMDGPU.csdata,"",@progbits
; Kernel info:
; codeLenInByte = 2480
; NumSgprs: 37
; NumVgprs: 59
; NumAgprs: 0
; TotalNumVgprs: 59
; ScratchSize: 0
; MemoryBound: 0
; FloatMode: 240
; IeeeMode: 1
; LDSByteSize: 65536 bytes/workgroup (compile time only)
; SGPRBlocks: 4
; VGPRBlocks: 7
; NumSGPRsForWavesPerEU: 37
; NumVGPRsForWavesPerEU: 59
; AccumOffset: 60
; Occupancy: 2
; WaveLimiterHint : 0
; COMPUTE_PGM_RSRC2:SCRATCH_EN: 0
; COMPUTE_PGM_RSRC2:USER_SGPR: 2
; COMPUTE_PGM_RSRC2:TRAP_HANDLER: 0
; COMPUTE_PGM_RSRC2:TGID_X_EN: 1
; COMPUTE_PGM_RSRC2:TGID_Y_EN: 0
; COMPUTE_PGM_RSRC2:TGID_Z_EN: 0
; COMPUTE_PGM_RSRC2:TIDIG_COMP_CNT: 1
; COMPUTE_PGM_RSRC3_GFX90A:ACCUM_OFFSET: 14
; COMPUTE_PGM_RSRC3_GFX90A:TG_SPLIT: 0
	.section	.text._Z13wvSplitKQ_hf_I6__halfN3c1015Float8_e4m3fnuzELi32ELi2ELi16ELi16ELi1ELi3EEviiiiiiPKT0_S5_PKT_PS6_PKfSB_ii,"axG",@progbits,_Z13wvSplitKQ_hf_I6__halfN3c1015Float8_e4m3fnuzELi32ELi2ELi16ELi16ELi1ELi3EEviiiiiiPKT0_S5_PKT_PS6_PKfSB_ii,comdat
	.protected	_Z13wvSplitKQ_hf_I6__halfN3c1015Float8_e4m3fnuzELi32ELi2ELi16ELi16ELi1ELi3EEviiiiiiPKT0_S5_PKT_PS6_PKfSB_ii ; -- Begin function _Z13wvSplitKQ_hf_I6__halfN3c1015Float8_e4m3fnuzELi32ELi2ELi16ELi16ELi1ELi3EEviiiiiiPKT0_S5_PKT_PS6_PKfSB_ii
	.globl	_Z13wvSplitKQ_hf_I6__halfN3c1015Float8_e4m3fnuzELi32ELi2ELi16ELi16ELi1ELi3EEviiiiiiPKT0_S5_PKT_PS6_PKfSB_ii
	.p2align	8
	.type	_Z13wvSplitKQ_hf_I6__halfN3c1015Float8_e4m3fnuzELi32ELi2ELi16ELi16ELi1ELi3EEviiiiiiPKT0_S5_PKT_PS6_PKfSB_ii,@function
_Z13wvSplitKQ_hf_I6__halfN3c1015Float8_e4m3fnuzELi32ELi2ELi16ELi16ELi1ELi3EEviiiiiiPKT0_S5_PKT_PS6_PKfSB_ii: ; @_Z13wvSplitKQ_hf_I6__halfN3c1015Float8_e4m3fnuzELi32ELi2ELi16ELi16ELi1ELi3EEviiiiiiPKT0_S5_PKT_PS6_PKfSB_ii
; %bb.0:
	s_load_dwordx4 s[12:15], s[0:1], 0x0
	s_load_dwordx2 s[16:17], s[0:1], 0x20
	v_and_b32_e32 v4, 0x3ff, v0
	v_bfe_u32 v5, v0, 10, 10
	v_lshlrev_b32_e32 v52, 4, v4
	s_waitcnt lgkmcnt(0)
	s_mul_i32 s3, s13, 3
	v_lshl_add_u32 v0, v5, 9, v52
	s_min_u32 s3, s3, 0x10000
	v_cmp_gt_u32_e32 vcc, s3, v0
	s_and_saveexec_b64 s[4:5], vcc
	s_cbranch_execz .LBB363_9
; %bb.1:
	global_load_dwordx4 v[6:9], v0, s[16:17]
	v_add_u32_e32 v1, 0x2000, v0
	v_cmp_gt_u32_e32 vcc, s3, v1
	s_waitcnt vmcnt(0)
	ds_write_b128 v0, v[6:9]
	s_and_saveexec_b64 s[6:7], vcc
	s_xor_b64 s[6:7], exec, s[6:7]
	s_cbranch_execz .LBB363_9
; %bb.2:
	v_mov_b32_e32 v1, 0
	v_lshl_add_u64 v[2:3], s[16:17], 0, v[0:1]
	v_add_co_u32_e32 v6, vcc, 0x2000, v2
	v_add_u32_e32 v1, 0x4000, v0
	s_nop 0
	v_addc_co_u32_e32 v7, vcc, 0, v3, vcc
	global_load_dwordx4 v[6:9], v[6:7], off
	v_cmp_gt_u32_e32 vcc, s3, v1
	s_waitcnt vmcnt(0)
	ds_write_b128 v0, v[6:9] offset:8192
	s_and_saveexec_b64 s[6:7], vcc
	s_xor_b64 s[6:7], exec, s[6:7]
	s_cbranch_execz .LBB363_9
; %bb.3:
	v_add_co_u32_e32 v6, vcc, 0x4000, v2
	v_add_u32_e32 v1, 0x6000, v0
	s_nop 0
	v_addc_co_u32_e32 v7, vcc, 0, v3, vcc
	global_load_dwordx4 v[6:9], v[6:7], off
	v_cmp_gt_u32_e32 vcc, s3, v1
	s_waitcnt vmcnt(0)
	ds_write_b128 v0, v[6:9] offset:16384
	s_and_saveexec_b64 s[6:7], vcc
	s_xor_b64 s[6:7], exec, s[6:7]
	s_cbranch_execz .LBB363_9
; %bb.4:
	;; [unrolled: 12-line block ×6, first 2 shown]
	v_add_co_u32_e32 v2, vcc, 0xe000, v2
	s_nop 1
	v_addc_co_u32_e32 v3, vcc, 0, v3, vcc
	global_load_dwordx4 v[6:9], v[2:3], off
	s_waitcnt vmcnt(0)
	ds_write_b128 v0, v[6:9] offset:57344
.LBB363_9:
	s_or_b64 exec, exec, s[4:5]
	s_load_dwordx2 s[22:23], s[0:1], 0x48
	;;#ASMSTART
	s_waitcnt vmcnt(0)
	;;#ASMEND
	s_waitcnt lgkmcnt(0)
	s_barrier
	v_cmp_gt_u32_e32 vcc, s22, v5
	s_and_saveexec_b64 s[4:5], vcc
	s_cbranch_execz .LBB363_41
; %bb.10:
	s_load_dwordx2 s[18:19], s[0:1], 0x10
	s_mul_i32 s2, s2, s22
	v_add_lshl_u32 v44, s2, v5, 1
	v_cmp_gt_u32_e32 vcc, s15, v44
	s_and_b64 exec, exec, vcc
	s_cbranch_execz .LBB363_41
; %bb.11:
	s_load_dwordx8 s[4:11], s[0:1], 0x28
	s_load_dwordx2 s[20:21], s[0:1], 0x18
	v_mbcnt_lo_u32_b32 v0, -1, 0
	v_mbcnt_hi_u32_b32 v0, -1, v0
	s_cmp_lg_u32 s12, 0
	v_and_b32_e32 v1, 63, v0
	s_cselect_b64 s[2:3], -1, 0
	s_add_i32 s28, s12, -16
	s_add_i32 s29, s15, -1
	v_cmp_lt_u32_e32 vcc, 43, v1
	s_mul_i32 s22, s22, s23
	s_waitcnt lgkmcnt(0)
	s_cmp_lg_u64 s[4:5], 0
	v_cndmask_b32_e64 v2, 20, 0, vcc
	v_cmp_lt_u32_e32 vcc, 23, v1
	s_load_dword s26, s[8:9], 0x0
	s_load_dword s27, s[10:11], 0x0
	v_cndmask_b32_e64 v1, 40, 0, vcc
	s_cselect_b64 s[10:11], -1, 0
	s_lshl_b32 s30, s22, 1
	s_abs_i32 s22, s19
	v_add_lshl_u32 v53, v2, v0, 2
	v_add_lshl_u32 v54, v1, v0, 2
	v_cvt_f32_u32_e32 v0, s18
	v_cvt_f32_u32_e32 v1, s22
	s_sub_i32 s23, 0, s18
	s_lshl_b32 s19, s15, 1
	v_rcp_iflag_f32_e32 v0, v0
	v_rcp_iflag_f32_e32 v1, v1
	v_cmp_eq_u32_e64 s[0:1], 0, v4
	s_mov_b64 s[8:9], 0
	v_mul_f32_e32 v0, 0x4f7ffffe, v0
	v_mul_f32_e32 v1, 0x4f7ffffe, v1
	v_cvt_u32_f32_e32 v0, v0
	v_cvt_u32_f32_e32 v1, v1
	v_mov_b32_e32 v47, 0
	v_lshl_add_u32 v56, s13, 1, v52
	v_mul_lo_u32 v2, s23, v0
	s_sub_i32 s23, 0, s22
	v_readfirstlane_b32 s24, v1
	s_mul_i32 s23, s23, s24
	s_mul_hi_u32 s23, s24, s23
	s_add_i32 s24, s24, s23
	s_sub_i32 s23, 1, s22
	s_cmp_lt_u32 s22, 2
	s_cselect_b32 s23, s23, 1
	s_sub_i32 s25, s23, s22
	s_cmp_ge_u32 s23, s22
	s_cselect_b32 s31, s25, s23
	s_lshr_b32 s23, s24, 31
	s_mul_i32 s23, s23, s22
	s_sub_i32 s23, 2, s23
	s_sub_i32 s24, s23, s22
	s_cmp_ge_u32 s23, s22
	s_cselect_b32 s23, s24, s23
	s_sub_i32 s24, s23, s22
	v_mul_hi_u32 v2, v0, v2
	s_cmp_ge_u32 s23, s22
	v_add_u32_e32 v55, v0, v2
	s_cselect_b32 s33, s24, s23
	v_cndmask_b32_e64 v0, 0, 1, s[2:3]
	s_mul_i32 s31, s31, s18
	s_mul_i32 s33, s33, s18
	v_add_u32_e32 v57, s13, v52
	v_cmp_ne_u32_e64 s[2:3], 1, v0
	s_mov_b32 s13, 0xffff
	s_branch .LBB363_13
.LBB363_12:                             ;   in Loop: Header=BB363_13 Depth=1
	s_or_b64 exec, exec, s[22:23]
	v_add_u32_e32 v44, s30, v44
	v_cmp_le_u32_e32 vcc, s15, v44
	s_or_b64 s[8:9], vcc, s[8:9]
	s_andn2_b64 exec, exec, s[8:9]
	s_cbranch_execz .LBB363_41
.LBB363_13:                             ; =>This Loop Header: Depth=1
                                        ;     Child Loop BB363_17 Depth 2
	s_and_b64 vcc, exec, s[2:3]
	v_or_b32_e32 v58, 1, v44
	v_mov_b32_e32 v23, v47
	v_mov_b32_e32 v22, v47
	;; [unrolled: 1-line block ×9, first 2 shown]
	s_waitcnt lgkmcnt(0)
	v_mov_b32_e32 v14, v47
	v_mov_b32_e32 v13, v47
	;; [unrolled: 1-line block ×3, first 2 shown]
	s_waitcnt vmcnt(3)
	v_mov_b32_e32 v11, v47
	v_mov_b32_e32 v10, v47
	;; [unrolled: 1-line block ×12, first 2 shown]
	s_cbranch_vccnz .LBB363_30
; %bb.14:                               ;   in Loop: Header=BB363_13 Depth=1
	v_min_u32_e32 v0, s29, v44
	v_mul_lo_u32 v48, v0, s14
	v_or_b32_e32 v0, 1, v44
	v_min_u32_e32 v0, s29, v0
	v_mov_b32_e32 v4, 0
	v_mov_b32_e32 v49, v47
	v_mul_lo_u32 v50, v0, s14
	v_mov_b32_e32 v51, v47
	s_mov_b32 s34, 0
	v_mov_b32_e32 v5, v4
	v_mov_b32_e32 v6, v4
	v_mov_b32_e32 v7, v4
	v_mov_b32_e32 v0, v4
	v_mov_b32_e32 v1, v4
	v_mov_b32_e32 v2, v4
	v_mov_b32_e32 v3, v4
	v_mov_b32_e32 v8, v4
	v_mov_b32_e32 v9, v4
	v_mov_b32_e32 v10, v4
	v_mov_b32_e32 v11, v4
	v_mov_b32_e32 v12, v4
	v_mov_b32_e32 v13, v4
	v_mov_b32_e32 v14, v4
	v_mov_b32_e32 v15, v4
	v_mov_b32_e32 v16, v4
	v_mov_b32_e32 v17, v4
	v_mov_b32_e32 v18, v4
	v_mov_b32_e32 v19, v4
	v_mov_b32_e32 v20, v4
	v_mov_b32_e32 v21, v4
	v_mov_b32_e32 v22, v4
	v_mov_b32_e32 v23, v4
	s_branch .LBB363_17
.LBB363_15:                             ;   in Loop: Header=BB363_17 Depth=2
	s_or_b64 exec, exec, s[24:25]
.LBB363_16:                             ;   in Loop: Header=BB363_17 Depth=2
	s_or_b64 exec, exec, s[22:23]
	s_waitcnt vmcnt(0) lgkmcnt(0)
	v_mfma_f32_16x16x32_fp8_fp8 v[20:23], v[32:33], v[28:29], v[20:23]
	s_addk_i32 s34, 0x200
	s_cmp_ge_u32 s34, s12
	v_mfma_f32_16x16x32_fp8_fp8 v[16:19], v[32:33], v[24:25], v[16:19]
	v_mfma_f32_16x16x32_fp8_fp8 v[12:15], v[36:37], v[28:29], v[12:15]
	;; [unrolled: 1-line block ×11, first 2 shown]
	s_cbranch_scc1 .LBB363_30
.LBB363_17:                             ;   Parent Loop BB363_13 Depth=1
                                        ; =>  This Inner Loop Header: Depth=2
	v_add_u32_e32 v45, s34, v52
	v_min_u32_e32 v46, s28, v45
	v_lshl_add_u64 v[24:25], s[20:21], 0, v[46:47]
	v_lshl_add_u64 v[32:33], v[24:25], 0, v[48:49]
	v_lshl_add_u64 v[34:35], v[24:25], 0, v[50:51]
	global_load_dwordx4 v[28:31], v[32:33], off nt
	global_load_dwordx4 v[24:27], v[34:35], off nt
	v_mov_b64_e32 v[42:43], 0
	v_cmp_gt_u32_e32 vcc, s12, v45
	v_mov_b64_e32 v[40:41], v[42:43]
	v_mov_b64_e32 v[38:39], v[42:43]
	;; [unrolled: 1-line block ×5, first 2 shown]
	s_and_saveexec_b64 s[22:23], vcc
	s_cbranch_execz .LBB363_16
; %bb.18:                               ;   in Loop: Header=BB363_17 Depth=2
	v_cmp_lt_u32_e32 vcc, s13, v45
                                        ; implicit-def: $vgpr34_vgpr35
	s_and_saveexec_b64 s[24:25], vcc
	s_xor_b64 s[24:25], exec, s[24:25]
	s_cbranch_execz .LBB363_20
; %bb.19:                               ;   in Loop: Header=BB363_17 Depth=2
	global_load_dwordx4 v[32:35], v45, s[16:17]
                                        ; implicit-def: $vgpr45
.LBB363_20:                             ;   in Loop: Header=BB363_17 Depth=2
	s_andn2_saveexec_b64 s[24:25], s[24:25]
	s_cbranch_execz .LBB363_22
; %bb.21:                               ;   in Loop: Header=BB363_17 Depth=2
	s_waitcnt vmcnt(0)
	ds_read_b128 v[32:35], v45
.LBB363_22:                             ;   in Loop: Header=BB363_17 Depth=2
	s_or_b64 exec, exec, s[24:25]
	v_add_u32_e32 v40, s34, v57
	v_cmp_lt_u32_e32 vcc, s13, v40
                                        ; implicit-def: $vgpr38_vgpr39
	s_and_saveexec_b64 s[24:25], vcc
	s_xor_b64 s[24:25], exec, s[24:25]
	s_cbranch_execz .LBB363_24
; %bb.23:                               ;   in Loop: Header=BB363_17 Depth=2
	global_load_dwordx4 v[36:39], v40, s[16:17]
                                        ; implicit-def: $vgpr40
.LBB363_24:                             ;   in Loop: Header=BB363_17 Depth=2
	s_andn2_saveexec_b64 s[24:25], s[24:25]
	s_cbranch_execz .LBB363_26
; %bb.25:                               ;   in Loop: Header=BB363_17 Depth=2
	s_waitcnt vmcnt(0)
	ds_read_b128 v[36:39], v40
.LBB363_26:                             ;   in Loop: Header=BB363_17 Depth=2
	s_or_b64 exec, exec, s[24:25]
	v_add_u32_e32 v45, s34, v56
	v_cmp_lt_u32_e32 vcc, s13, v45
                                        ; implicit-def: $vgpr42_vgpr43
	s_and_saveexec_b64 s[24:25], vcc
	s_xor_b64 s[24:25], exec, s[24:25]
	s_cbranch_execz .LBB363_28
; %bb.27:                               ;   in Loop: Header=BB363_17 Depth=2
	global_load_dwordx4 v[40:43], v45, s[16:17]
                                        ; implicit-def: $vgpr45
.LBB363_28:                             ;   in Loop: Header=BB363_17 Depth=2
	s_andn2_saveexec_b64 s[24:25], s[24:25]
	s_cbranch_execz .LBB363_15
; %bb.29:                               ;   in Loop: Header=BB363_17 Depth=2
	s_waitcnt vmcnt(0)
	ds_read_b128 v[40:43], v45
	s_branch .LBB363_15
.LBB363_30:                             ;   in Loop: Header=BB363_13 Depth=1
	s_nop 0
	v_cvt_i32_f32_e32 v21, v21
	v_cvt_i32_f32_e32 v22, v22
	;; [unrolled: 1-line block ×5, first 2 shown]
	v_cvt_f32_i32_dpp v21, v21 row_shl:1 row_mask:0xf bank_mask:0xf bound_ctrl:1
	v_cvt_i32_f32_e32 v13, v13
	v_cvt_f32_i32_dpp v22, v22 row_shl:2 row_mask:0xf bank_mask:0xf bound_ctrl:1
	v_cvt_f32_i32_dpp v17, v17 row_shl:1 row_mask:0xf bank_mask:0xf bound_ctrl:1
	v_cvt_i32_f32_e32 v14, v14
	v_cvt_f32_i32_dpp v23, v23 row_shl:3 row_mask:0xf bank_mask:0xf bound_ctrl:1
	v_cvt_f32_i32_dpp v18, v18 row_shl:2 row_mask:0xf bank_mask:0xf bound_ctrl:1
	v_cvt_i32_f32_e32 v19, v19
	v_cvt_i32_f32_e32 v15, v15
	v_add_f32_e32 v20, v20, v21
	v_cvt_f32_i32_dpp v13, v13 row_shl:1 row_mask:0xf bank_mask:0xf bound_ctrl:1
	v_add_f32_e32 v20, v20, v22
	v_add_f32_e32 v17, v16, v17
	v_cvt_f32_i32_dpp v14, v14 row_shl:2 row_mask:0xf bank_mask:0xf bound_ctrl:1
	v_add_f32_e32 v20, v20, v23
	v_add_f32_e32 v17, v17, v18
	v_cvt_f32_i32_dpp v18, v19 row_shl:3 row_mask:0xf bank_mask:0xf bound_ctrl:1
	v_cvt_f32_i32_dpp v15, v15 row_shl:3 row_mask:0xf bank_mask:0xf bound_ctrl:1
	v_cvt_i32_f32_e32 v1, v1
	ds_bpermute_b32 v21, v53, v20
	v_cvt_i32_f32_e32 v2, v2
	v_add_f32_e32 v12, v12, v13
	v_add_f32_e32 v12, v12, v14
	;; [unrolled: 1-line block ×4, first 2 shown]
	v_cvt_f32_i32_dpp v1, v1 row_shl:1 row_mask:0xf bank_mask:0xf bound_ctrl:1
	ds_bpermute_b32 v18, v53, v17
	ds_bpermute_b32 v19, v53, v15
	v_cvt_f32_i32_dpp v2, v2 row_shl:2 row_mask:0xf bank_mask:0xf bound_ctrl:1
	v_cvt_i32_f32_e32 v3, v3
	s_waitcnt lgkmcnt(0)
	v_add_f32_e32 v16, v20, v21
	v_cvt_i32_f32_e32 v20, v9
	v_add_f32_e32 v0, v0, v1
	v_add_f32_e32 v0, v0, v2
	v_cvt_f32_i32_dpp v1, v3 row_shl:3 row_mask:0xf bank_mask:0xf bound_ctrl:1
	v_cvt_i32_f32_e32 v2, v5
	v_add_f32_e32 v12, v17, v18
	v_add_f32_e32 v9, v15, v19
	v_cvt_f32_i32_dpp v15, v20 row_shl:1 row_mask:0xf bank_mask:0xf bound_ctrl:1
	v_cvt_i32_f32_e32 v17, v10
	v_cvt_i32_f32_e32 v3, v6
	;; [unrolled: 1-line block ×4, first 2 shown]
	v_add_f32_e32 v0, v0, v1
	v_cvt_f32_i32_dpp v1, v2 row_shl:1 row_mask:0xf bank_mask:0xf bound_ctrl:1
	v_add_f32_e32 v8, v8, v15
	v_cvt_f32_i32_dpp v15, v17 row_shl:2 row_mask:0xf bank_mask:0xf bound_ctrl:1
	v_cvt_f32_i32_dpp v2, v3 row_shl:2 row_mask:0xf bank_mask:0xf bound_ctrl:1
	v_cvt_f32_i32_dpp v11, v11 row_shl:3 row_mask:0xf bank_mask:0xf bound_ctrl:1
	v_cvt_f32_i32_dpp v3, v5 row_shl:3 row_mask:0xf bank_mask:0xf bound_ctrl:1
	v_add_f32_e32 v1, v4, v1
	v_add_f32_e32 v8, v8, v15
	v_add_f32_e32 v1, v1, v2
	v_add_f32_e32 v8, v8, v11
	v_add_f32_e32 v1, v1, v3
	ds_bpermute_b32 v11, v53, v8
	ds_bpermute_b32 v5, v53, v0
	;; [unrolled: 1-line block ×5, first 2 shown]
	s_waitcnt lgkmcnt(4)
	v_add_f32_e32 v6, v8, v11
	s_waitcnt lgkmcnt(3)
	v_add_f32_e32 v4, v0, v5
	;; [unrolled: 2-line block ×3, first 2 shown]
	ds_bpermute_b32 v10, v54, v9
	ds_bpermute_b32 v7, v54, v6
	;; [unrolled: 1-line block ×4, first 2 shown]
	s_and_saveexec_b64 s[22:23], s[0:1]
	s_cbranch_execz .LBB363_12
; %bb.31:                               ;   in Loop: Header=BB363_13 Depth=1
	s_and_b64 vcc, exec, s[10:11]
	s_cbranch_vccz .LBB363_40
; %bb.32:                               ;   in Loop: Header=BB363_13 Depth=1
	v_mul_hi_u32 v0, v44, v55
	v_mul_lo_u32 v0, v0, s18
	v_sub_u32_e32 v0, v44, v0
	v_subrev_u32_e32 v1, s18, v0
	v_cmp_le_u32_e32 vcc, s18, v0
	v_or_b32_e32 v8, 1, v44
	v_mov_b32_e32 v19, v47
	v_cndmask_b32_e32 v0, v0, v1, vcc
	v_subrev_u32_e32 v1, s18, v0
	v_cmp_le_u32_e32 vcc, s18, v0
	v_mov_b32_e32 v45, v47
	s_nop 0
	v_cndmask_b32_e32 v46, v0, v1, vcc
	v_mul_hi_u32 v0, v8, v55
	v_mul_lo_u32 v0, v0, s18
	v_sub_u32_e32 v0, v8, v0
	v_subrev_u32_e32 v1, s18, v0
	v_cmp_le_u32_e32 vcc, s18, v0
	v_lshl_add_u64 v[20:21], v[46:47], 1, s[4:5]
	v_add_u32_e32 v18, s31, v46
	v_cndmask_b32_e32 v0, v0, v1, vcc
	v_subrev_u32_e32 v1, s18, v0
	v_cmp_le_u32_e32 vcc, s18, v0
	v_add_u32_e32 v46, s33, v46
	v_lshl_add_u64 v[24:25], v[18:19], 1, s[4:5]
	v_cndmask_b32_e32 v0, v0, v1, vcc
	v_mov_b32_e32 v1, v47
	v_add_u32_e32 v18, s31, v0
	v_lshl_add_u64 v[28:29], v[46:47], 1, s[4:5]
	v_add_u32_e32 v46, s33, v0
	v_lshl_add_u64 v[22:23], v[0:1], 1, s[4:5]
	v_lshl_add_u64 v[26:27], v[18:19], 1, s[4:5]
	;; [unrolled: 1-line block ×3, first 2 shown]
	global_load_ushort v0, v[20:21], off
	global_load_ushort v19, v[22:23], off
	;; [unrolled: 1-line block ×6, first 2 shown]
	s_cbranch_execnz .LBB363_34
.LBB363_33:                             ;   in Loop: Header=BB363_13 Depth=1
	v_mov_b32_e32 v45, v47
	s_waitcnt vmcnt(5)
	v_mov_b32_e32 v0, 0
	v_mov_b32_e32 v8, v58
	s_waitcnt vmcnt(4)
	v_mov_b32_e32 v19, 0
	s_waitcnt vmcnt(3)
	;; [unrolled: 2-line block ×5, first 2 shown]
	v_mov_b32_e32 v11, 0
.LBB363_34:                             ;   in Loop: Header=BB363_13 Depth=1
	s_waitcnt lgkmcnt(5)
	v_add_f32_e32 v1, v16, v14
	v_mul_f32_e32 v1, s26, v1
	s_waitcnt vmcnt(5)
	v_fma_mixlo_f16 v14, s27, v1, v0 op_sel_hi:[0,0,1]
	v_lshl_add_u64 v[0:1], v[44:45], 1, s[6:7]
	v_cmp_gt_u32_e32 vcc, s15, v8
	global_store_short v[0:1], v14, off
	s_and_saveexec_b64 s[24:25], vcc
	s_cbranch_execz .LBB363_36
; %bb.35:                               ;   in Loop: Header=BB363_13 Depth=1
	s_waitcnt lgkmcnt(4)
	v_add_f32_e32 v12, v12, v13
	v_mul_f32_e32 v12, s26, v12
	s_waitcnt vmcnt(5)
	v_fma_mixlo_f16 v12, s27, v12, v19 op_sel_hi:[0,0,1]
	global_store_short v[0:1], v12, off offset:2
.LBB363_36:                             ;   in Loop: Header=BB363_13 Depth=1
	s_or_b64 exec, exec, s[24:25]
	s_waitcnt lgkmcnt(3)
	v_add_f32_e32 v0, v9, v10
	v_mul_f32_e32 v0, s26, v0
	v_add_u32_e32 v46, s15, v44
	s_waitcnt vmcnt(4)
	v_fma_mixlo_f16 v9, s27, v0, v18 op_sel_hi:[0,0,1]
	v_lshl_add_u64 v[0:1], v[46:47], 1, s[6:7]
	global_store_short v[0:1], v9, off
	s_and_saveexec_b64 s[24:25], vcc
	s_cbranch_execz .LBB363_38
; %bb.37:                               ;   in Loop: Header=BB363_13 Depth=1
	s_waitcnt lgkmcnt(2)
	v_add_f32_e32 v0, v6, v7
	v_mul_f32_e32 v0, s26, v0
	s_waitcnt vmcnt(4)
	v_fma_mixlo_f16 v6, s27, v0, v17 op_sel_hi:[0,0,1]
	v_add_u32_e32 v0, s15, v8
	v_mov_b32_e32 v1, v47
	v_lshl_add_u64 v[0:1], v[0:1], 1, s[6:7]
	global_store_short v[0:1], v6, off
.LBB363_38:                             ;   in Loop: Header=BB363_13 Depth=1
	s_or_b64 exec, exec, s[24:25]
	s_waitcnt lgkmcnt(1)
	v_add_f32_e32 v0, v4, v5
	v_mul_f32_e32 v0, s26, v0
	v_add_u32_e32 v46, s15, v46
	s_waitcnt vmcnt(3)
	v_fma_mixlo_f16 v4, s27, v0, v15 op_sel_hi:[0,0,1]
	v_lshl_add_u64 v[0:1], v[46:47], 1, s[6:7]
	global_store_short v[0:1], v4, off
	s_and_b64 exec, exec, vcc
	s_cbranch_execz .LBB363_12
; %bb.39:                               ;   in Loop: Header=BB363_13 Depth=1
	s_waitcnt lgkmcnt(0)
	v_add_f32_e32 v0, v2, v3
	v_mul_f32_e32 v0, s26, v0
	v_add_u32_e32 v46, s19, v8
	s_waitcnt vmcnt(3)
	v_fma_mixlo_f16 v2, s27, v0, v11 op_sel_hi:[0,0,1]
	v_lshl_add_u64 v[0:1], v[46:47], 1, s[6:7]
	global_store_short v[0:1], v2, off
	s_branch .LBB363_12
.LBB363_40:                             ;   in Loop: Header=BB363_13 Depth=1
                                        ; implicit-def: $vgpr11
                                        ; implicit-def: $vgpr15
                                        ; implicit-def: $vgpr17
                                        ; implicit-def: $vgpr18
                                        ; implicit-def: $vgpr19
                                        ; implicit-def: $vgpr0
                                        ; implicit-def: $vgpr8
	s_branch .LBB363_33
.LBB363_41:
	s_endpgm
	.section	.rodata,"a",@progbits
	.p2align	6, 0x0
	.amdhsa_kernel _Z13wvSplitKQ_hf_I6__halfN3c1015Float8_e4m3fnuzELi32ELi2ELi16ELi16ELi1ELi3EEviiiiiiPKT0_S5_PKT_PS6_PKfSB_ii
		.amdhsa_group_segment_fixed_size 65536
		.amdhsa_private_segment_fixed_size 0
		.amdhsa_kernarg_size 80
		.amdhsa_user_sgpr_count 2
		.amdhsa_user_sgpr_dispatch_ptr 0
		.amdhsa_user_sgpr_queue_ptr 0
		.amdhsa_user_sgpr_kernarg_segment_ptr 1
		.amdhsa_user_sgpr_dispatch_id 0
		.amdhsa_user_sgpr_kernarg_preload_length 0
		.amdhsa_user_sgpr_kernarg_preload_offset 0
		.amdhsa_user_sgpr_private_segment_size 0
		.amdhsa_uses_dynamic_stack 0
		.amdhsa_enable_private_segment 0
		.amdhsa_system_sgpr_workgroup_id_x 1
		.amdhsa_system_sgpr_workgroup_id_y 0
		.amdhsa_system_sgpr_workgroup_id_z 0
		.amdhsa_system_sgpr_workgroup_info 0
		.amdhsa_system_vgpr_workitem_id 1
		.amdhsa_next_free_vgpr 59
		.amdhsa_next_free_sgpr 35
		.amdhsa_accum_offset 60
		.amdhsa_reserve_vcc 1
		.amdhsa_float_round_mode_32 0
		.amdhsa_float_round_mode_16_64 0
		.amdhsa_float_denorm_mode_32 3
		.amdhsa_float_denorm_mode_16_64 3
		.amdhsa_dx10_clamp 1
		.amdhsa_ieee_mode 1
		.amdhsa_fp16_overflow 0
		.amdhsa_tg_split 0
		.amdhsa_exception_fp_ieee_invalid_op 0
		.amdhsa_exception_fp_denorm_src 0
		.amdhsa_exception_fp_ieee_div_zero 0
		.amdhsa_exception_fp_ieee_overflow 0
		.amdhsa_exception_fp_ieee_underflow 0
		.amdhsa_exception_fp_ieee_inexact 0
		.amdhsa_exception_int_div_zero 0
	.end_amdhsa_kernel
	.section	.text._Z13wvSplitKQ_hf_I6__halfN3c1015Float8_e4m3fnuzELi32ELi2ELi16ELi16ELi1ELi3EEviiiiiiPKT0_S5_PKT_PS6_PKfSB_ii,"axG",@progbits,_Z13wvSplitKQ_hf_I6__halfN3c1015Float8_e4m3fnuzELi32ELi2ELi16ELi16ELi1ELi3EEviiiiiiPKT0_S5_PKT_PS6_PKfSB_ii,comdat
.Lfunc_end363:
	.size	_Z13wvSplitKQ_hf_I6__halfN3c1015Float8_e4m3fnuzELi32ELi2ELi16ELi16ELi1ELi3EEviiiiiiPKT0_S5_PKT_PS6_PKfSB_ii, .Lfunc_end363-_Z13wvSplitKQ_hf_I6__halfN3c1015Float8_e4m3fnuzELi32ELi2ELi16ELi16ELi1ELi3EEviiiiiiPKT0_S5_PKT_PS6_PKfSB_ii
                                        ; -- End function
	.section	.AMDGPU.csdata,"",@progbits
; Kernel info:
; codeLenInByte = 2600
; NumSgprs: 41
; NumVgprs: 59
; NumAgprs: 0
; TotalNumVgprs: 59
; ScratchSize: 0
; MemoryBound: 1
; FloatMode: 240
; IeeeMode: 1
; LDSByteSize: 65536 bytes/workgroup (compile time only)
; SGPRBlocks: 5
; VGPRBlocks: 7
; NumSGPRsForWavesPerEU: 41
; NumVGPRsForWavesPerEU: 59
; AccumOffset: 60
; Occupancy: 2
; WaveLimiterHint : 0
; COMPUTE_PGM_RSRC2:SCRATCH_EN: 0
; COMPUTE_PGM_RSRC2:USER_SGPR: 2
; COMPUTE_PGM_RSRC2:TRAP_HANDLER: 0
; COMPUTE_PGM_RSRC2:TGID_X_EN: 1
; COMPUTE_PGM_RSRC2:TGID_Y_EN: 0
; COMPUTE_PGM_RSRC2:TGID_Z_EN: 0
; COMPUTE_PGM_RSRC2:TIDIG_COMP_CNT: 1
; COMPUTE_PGM_RSRC3_GFX90A:ACCUM_OFFSET: 14
; COMPUTE_PGM_RSRC3_GFX90A:TG_SPLIT: 0
	.section	.text._Z17wvSplitKQ_hf_sml_I6__halfN3c1015Float8_e4m3fnuzELi64ELi2ELi16ELi16ELi1ELi3EEviiiiiiPKT0_S5_PKT_PS6_PKfSB_ii,"axG",@progbits,_Z17wvSplitKQ_hf_sml_I6__halfN3c1015Float8_e4m3fnuzELi64ELi2ELi16ELi16ELi1ELi3EEviiiiiiPKT0_S5_PKT_PS6_PKfSB_ii,comdat
	.protected	_Z17wvSplitKQ_hf_sml_I6__halfN3c1015Float8_e4m3fnuzELi64ELi2ELi16ELi16ELi1ELi3EEviiiiiiPKT0_S5_PKT_PS6_PKfSB_ii ; -- Begin function _Z17wvSplitKQ_hf_sml_I6__halfN3c1015Float8_e4m3fnuzELi64ELi2ELi16ELi16ELi1ELi3EEviiiiiiPKT0_S5_PKT_PS6_PKfSB_ii
	.globl	_Z17wvSplitKQ_hf_sml_I6__halfN3c1015Float8_e4m3fnuzELi64ELi2ELi16ELi16ELi1ELi3EEviiiiiiPKT0_S5_PKT_PS6_PKfSB_ii
	.p2align	8
	.type	_Z17wvSplitKQ_hf_sml_I6__halfN3c1015Float8_e4m3fnuzELi64ELi2ELi16ELi16ELi1ELi3EEviiiiiiPKT0_S5_PKT_PS6_PKfSB_ii,@function
_Z17wvSplitKQ_hf_sml_I6__halfN3c1015Float8_e4m3fnuzELi64ELi2ELi16ELi16ELi1ELi3EEviiiiiiPKT0_S5_PKT_PS6_PKfSB_ii: ; @_Z17wvSplitKQ_hf_sml_I6__halfN3c1015Float8_e4m3fnuzELi64ELi2ELi16ELi16ELi1ELi3EEviiiiiiPKT0_S5_PKT_PS6_PKfSB_ii
; %bb.0:
	s_load_dwordx4 s[4:7], s[0:1], 0x0
	s_load_dwordx2 s[12:13], s[0:1], 0x10
	s_load_dwordx4 s[8:11], s[0:1], 0x38
	s_load_dwordx2 s[14:15], s[0:1], 0x28
	v_and_b32_e32 v2, 0x3ff, v0
	v_bfe_u32 v3, v0, 10, 10
	v_lshlrev_b32_e32 v44, 4, v2
	s_waitcnt lgkmcnt(0)
	s_mul_i32 s3, s5, 3
	v_lshl_add_u32 v4, v3, 10, v44
	s_min_u32 s3, s3, 0x10000
	v_cmp_gt_u32_e32 vcc, s3, v4
	s_and_saveexec_b64 s[16:17], vcc
	s_cbranch_execz .LBB364_3
; %bb.1:
	s_load_dwordx2 s[18:19], s[0:1], 0x20
	v_mov_b32_e32 v1, 0
	v_lshlrev_b32_e32 v0, 10, v3
	v_mov_b32_e32 v45, v1
	v_lshl_add_u64 v[0:1], v[0:1], 0, v[44:45]
	s_waitcnt lgkmcnt(0)
	v_lshl_add_u64 v[0:1], s[18:19], 0, v[0:1]
	s_mov_b64 s[18:19], 0
	s_mov_b64 s[20:21], 0x4000
.LBB364_2:                              ; =>This Inner Loop Header: Depth=1
	global_load_dwordx4 v[6:9], v[0:1], off
	v_lshl_add_u64 v[0:1], v[0:1], 0, s[20:21]
	s_waitcnt vmcnt(0)
	ds_write_b128 v4, v[6:9]
	v_add_u32_e32 v4, 0x4000, v4
	v_cmp_le_u32_e32 vcc, s3, v4
	s_or_b64 s[18:19], vcc, s[18:19]
	s_andn2_b64 exec, exec, s[18:19]
	s_cbranch_execnz .LBB364_2
.LBB364_3:
	s_or_b64 exec, exec, s[16:17]
	s_load_dwordx2 s[20:21], s[0:1], 0x48
	;;#ASMSTART
	s_waitcnt vmcnt(0)
	;;#ASMEND
	s_waitcnt lgkmcnt(0)
	s_barrier
	v_cmp_gt_u32_e32 vcc, s20, v3
	s_and_saveexec_b64 s[16:17], vcc
	s_cbranch_execz .LBB364_23
; %bb.4:
	s_mul_i32 s2, s2, s20
	v_add_lshl_u32 v46, s2, v3, 1
	v_cmp_gt_u32_e32 vcc, s7, v46
	s_and_b64 exec, exec, vcc
	s_cbranch_execz .LBB364_23
; %bb.5:
	v_mbcnt_lo_u32_b32 v0, -1, 0
	v_mbcnt_hi_u32_b32 v0, -1, v0
	s_cmp_lg_u32 s4, 0
	v_and_b32_e32 v1, 63, v0
	s_cselect_b64 s[2:3], -1, 0
	s_add_i32 s26, s4, -16
	s_add_i32 s27, s7, -1
	v_cmp_lt_u32_e32 vcc, 43, v1
	s_mul_i32 s20, s20, s21
	s_cmp_lg_u64 s[14:15], 0
	v_cndmask_b32_e64 v3, 20, 0, vcc
	v_cmp_lt_u32_e32 vcc, 23, v1
	s_load_dword s24, s[8:9], 0x0
	s_load_dword s25, s[10:11], 0x0
	s_load_dwordx2 s[16:17], s[0:1], 0x18
	s_load_dwordx2 s[18:19], s[0:1], 0x30
	v_cndmask_b32_e64 v1, 40, 0, vcc
	s_cselect_b64 s[10:11], -1, 0
	s_lshl_b32 s28, s20, 1
	s_abs_i32 s20, s13
	v_add_lshl_u32 v45, v3, v0, 2
	v_add_lshl_u32 v54, v1, v0, 2
	v_cvt_f32_u32_e32 v0, s12
	v_cvt_f32_u32_e32 v1, s20
	s_sub_i32 s21, 0, s12
	v_cmp_eq_u32_e64 s[0:1], 0, v2
	v_rcp_iflag_f32_e32 v0, v0
	v_rcp_iflag_f32_e32 v1, v1
	s_lshl_b32 s13, s7, 1
	s_mov_b64 s[8:9], 0
	v_mul_f32_e32 v0, 0x4f7ffffe, v0
	v_mul_f32_e32 v1, 0x4f7ffffe, v1
	v_cvt_u32_f32_e32 v0, v0
	v_cvt_u32_f32_e32 v1, v1
	v_mov_b32_e32 v49, 0
	v_lshl_add_u32 v56, s5, 1, v44
	v_mul_lo_u32 v2, s21, v0
	s_sub_i32 s21, 0, s20
	v_readfirstlane_b32 s22, v1
	s_mul_i32 s21, s21, s22
	s_mul_hi_u32 s21, s22, s21
	s_add_i32 s22, s22, s21
	s_sub_i32 s21, 1, s20
	s_cmp_lt_u32 s20, 2
	s_cselect_b32 s21, s21, 1
	s_sub_i32 s23, s21, s20
	s_cmp_ge_u32 s21, s20
	s_cselect_b32 s29, s23, s21
	s_lshr_b32 s21, s22, 31
	s_mul_i32 s21, s21, s20
	s_sub_i32 s21, 2, s21
	s_sub_i32 s22, s21, s20
	s_cmp_ge_u32 s21, s20
	s_cselect_b32 s21, s22, s21
	s_sub_i32 s22, s21, s20
	v_mul_hi_u32 v2, v0, v2
	s_cmp_ge_u32 s21, s20
	v_add_u32_e32 v55, v0, v2
	s_cselect_b32 s30, s22, s21
	v_cndmask_b32_e64 v0, 0, 1, s[2:3]
	s_mul_i32 s29, s29, s12
	s_mul_i32 s30, s30, s12
	v_add_u32_e32 v57, s5, v44
	v_cmp_ne_u32_e64 s[2:3], 1, v0
	s_branch .LBB364_7
.LBB364_6:                              ;   in Loop: Header=BB364_7 Depth=1
	s_or_b64 exec, exec, s[20:21]
	v_add_u32_e32 v46, s28, v46
	v_cmp_le_u32_e32 vcc, s7, v46
	s_or_b64 s[8:9], vcc, s[8:9]
	s_andn2_b64 exec, exec, s[8:9]
	s_cbranch_execz .LBB364_23
.LBB364_7:                              ; =>This Loop Header: Depth=1
                                        ;     Child Loop BB364_10 Depth 2
	s_and_b64 vcc, exec, s[2:3]
	v_or_b32_e32 v58, 1, v46
	v_mov_b32_e32 v23, v49
	v_mov_b32_e32 v22, v49
	v_mov_b32_e32 v21, v49
	v_mov_b32_e32 v20, v49
	v_mov_b32_e32 v19, v49
	v_mov_b32_e32 v18, v49
	v_mov_b32_e32 v17, v49
	v_mov_b32_e32 v16, v49
	v_mov_b32_e32 v15, v49
	s_waitcnt lgkmcnt(0)
	v_mov_b32_e32 v14, v49
	v_mov_b32_e32 v13, v49
	;; [unrolled: 1-line block ×3, first 2 shown]
	s_waitcnt vmcnt(3)
	v_mov_b32_e32 v11, v49
	v_mov_b32_e32 v10, v49
	;; [unrolled: 1-line block ×12, first 2 shown]
	s_cbranch_vccnz .LBB364_12
; %bb.8:                                ;   in Loop: Header=BB364_7 Depth=1
	v_min_u32_e32 v0, s27, v46
	v_mul_lo_u32 v50, v0, s6
	v_or_b32_e32 v0, 1, v46
	v_min_u32_e32 v0, s27, v0
	v_mov_b32_e32 v4, 0
	v_mov_b32_e32 v51, v49
	v_mul_lo_u32 v52, v0, s6
	v_mov_b32_e32 v53, v49
	s_mov_b32 s5, 0
	v_mov_b32_e32 v5, v4
	v_mov_b32_e32 v6, v4
	;; [unrolled: 1-line block ×23, first 2 shown]
	s_branch .LBB364_10
.LBB364_9:                              ;   in Loop: Header=BB364_10 Depth=2
	s_or_b64 exec, exec, s[20:21]
	s_waitcnt vmcnt(1) lgkmcnt(2)
	v_mfma_f32_16x16x32_fp8_fp8 v[20:23], v[36:37], v[28:29], v[20:23]
	s_addk_i32 s5, 0x400
	s_cmp_ge_u32 s5, s4
	s_waitcnt vmcnt(0)
	v_mfma_f32_16x16x32_fp8_fp8 v[16:19], v[36:37], v[24:25], v[16:19]
	s_waitcnt lgkmcnt(1)
	v_mfma_f32_16x16x32_fp8_fp8 v[12:15], v[40:41], v[28:29], v[12:15]
	v_mfma_f32_16x16x32_fp8_fp8 v[8:11], v[40:41], v[24:25], v[8:11]
	s_waitcnt lgkmcnt(0)
	v_mfma_f32_16x16x32_fp8_fp8 v[0:3], v[32:33], v[28:29], v[0:3]
	v_mfma_f32_16x16x32_fp8_fp8 v[4:7], v[32:33], v[24:25], v[4:7]
	;; [unrolled: 1-line block ×8, first 2 shown]
	s_cbranch_scc1 .LBB364_12
.LBB364_10:                             ;   Parent Loop BB364_7 Depth=1
                                        ; =>  This Inner Loop Header: Depth=2
	v_add_u32_e32 v47, s5, v44
	v_min_u32_e32 v48, s26, v47
	s_waitcnt lgkmcnt(0)
	v_lshl_add_u64 v[24:25], s[16:17], 0, v[48:49]
	v_lshl_add_u64 v[32:33], v[24:25], 0, v[50:51]
	;; [unrolled: 1-line block ×3, first 2 shown]
	global_load_dwordx4 v[28:31], v[32:33], off nt
	global_load_dwordx4 v[24:27], v[34:35], off nt
	v_mov_b64_e32 v[36:37], 0
	v_cmp_gt_u32_e32 vcc, s4, v47
	v_mov_b64_e32 v[38:39], v[36:37]
	v_mov_b64_e32 v[40:41], v[36:37]
	;; [unrolled: 1-line block ×5, first 2 shown]
	s_and_saveexec_b64 s[20:21], vcc
	s_cbranch_execz .LBB364_9
; %bb.11:                               ;   in Loop: Header=BB364_10 Depth=2
	v_add_u32_e32 v32, s5, v57
	ds_read_b128 v[36:39], v47
	ds_read_b128 v[40:43], v32
	v_add_u32_e32 v32, s5, v56
	ds_read_b128 v[32:35], v32
	s_branch .LBB364_9
.LBB364_12:                             ;   in Loop: Header=BB364_7 Depth=1
	s_nop 0
	v_cvt_i32_f32_e32 v21, v21
	v_cvt_i32_f32_e32 v22, v22
	;; [unrolled: 1-line block ×5, first 2 shown]
	v_cvt_f32_i32_dpp v21, v21 row_shl:1 row_mask:0xf bank_mask:0xf bound_ctrl:1
	v_cvt_i32_f32_e32 v13, v13
	v_cvt_f32_i32_dpp v22, v22 row_shl:2 row_mask:0xf bank_mask:0xf bound_ctrl:1
	v_cvt_f32_i32_dpp v17, v17 row_shl:1 row_mask:0xf bank_mask:0xf bound_ctrl:1
	v_cvt_i32_f32_e32 v14, v14
	v_cvt_f32_i32_dpp v23, v23 row_shl:3 row_mask:0xf bank_mask:0xf bound_ctrl:1
	v_cvt_f32_i32_dpp v18, v18 row_shl:2 row_mask:0xf bank_mask:0xf bound_ctrl:1
	v_cvt_i32_f32_e32 v19, v19
	v_cvt_i32_f32_e32 v15, v15
	v_add_f32_e32 v20, v20, v21
	v_cvt_f32_i32_dpp v13, v13 row_shl:1 row_mask:0xf bank_mask:0xf bound_ctrl:1
	v_add_f32_e32 v20, v20, v22
	v_add_f32_e32 v17, v16, v17
	v_cvt_f32_i32_dpp v14, v14 row_shl:2 row_mask:0xf bank_mask:0xf bound_ctrl:1
	v_add_f32_e32 v20, v20, v23
	v_add_f32_e32 v17, v17, v18
	v_cvt_f32_i32_dpp v18, v19 row_shl:3 row_mask:0xf bank_mask:0xf bound_ctrl:1
	v_cvt_f32_i32_dpp v15, v15 row_shl:3 row_mask:0xf bank_mask:0xf bound_ctrl:1
	v_cvt_i32_f32_e32 v1, v1
	ds_bpermute_b32 v21, v45, v20
	v_cvt_i32_f32_e32 v2, v2
	v_add_f32_e32 v12, v12, v13
	v_add_f32_e32 v12, v12, v14
	;; [unrolled: 1-line block ×4, first 2 shown]
	v_cvt_f32_i32_dpp v1, v1 row_shl:1 row_mask:0xf bank_mask:0xf bound_ctrl:1
	ds_bpermute_b32 v18, v45, v17
	ds_bpermute_b32 v19, v45, v15
	v_cvt_f32_i32_dpp v2, v2 row_shl:2 row_mask:0xf bank_mask:0xf bound_ctrl:1
	v_cvt_i32_f32_e32 v3, v3
	s_waitcnt lgkmcnt(0)
	v_add_f32_e32 v16, v20, v21
	v_cvt_i32_f32_e32 v20, v9
	v_add_f32_e32 v0, v0, v1
	v_add_f32_e32 v0, v0, v2
	v_cvt_f32_i32_dpp v1, v3 row_shl:3 row_mask:0xf bank_mask:0xf bound_ctrl:1
	v_cvt_i32_f32_e32 v2, v5
	v_add_f32_e32 v12, v17, v18
	v_add_f32_e32 v9, v15, v19
	v_cvt_f32_i32_dpp v15, v20 row_shl:1 row_mask:0xf bank_mask:0xf bound_ctrl:1
	v_cvt_i32_f32_e32 v17, v10
	v_cvt_i32_f32_e32 v3, v6
	;; [unrolled: 1-line block ×4, first 2 shown]
	v_add_f32_e32 v0, v0, v1
	v_cvt_f32_i32_dpp v1, v2 row_shl:1 row_mask:0xf bank_mask:0xf bound_ctrl:1
	v_add_f32_e32 v8, v8, v15
	v_cvt_f32_i32_dpp v15, v17 row_shl:2 row_mask:0xf bank_mask:0xf bound_ctrl:1
	v_cvt_f32_i32_dpp v2, v3 row_shl:2 row_mask:0xf bank_mask:0xf bound_ctrl:1
	;; [unrolled: 1-line block ×4, first 2 shown]
	v_add_f32_e32 v1, v4, v1
	v_add_f32_e32 v8, v8, v15
	;; [unrolled: 1-line block ×5, first 2 shown]
	ds_bpermute_b32 v11, v45, v8
	ds_bpermute_b32 v5, v45, v0
	;; [unrolled: 1-line block ×5, first 2 shown]
	s_waitcnt lgkmcnt(4)
	v_add_f32_e32 v6, v8, v11
	s_waitcnt lgkmcnt(3)
	v_add_f32_e32 v4, v0, v5
	;; [unrolled: 2-line block ×3, first 2 shown]
	ds_bpermute_b32 v10, v54, v9
	ds_bpermute_b32 v7, v54, v6
	;; [unrolled: 1-line block ×4, first 2 shown]
	s_and_saveexec_b64 s[20:21], s[0:1]
	s_cbranch_execz .LBB364_6
; %bb.13:                               ;   in Loop: Header=BB364_7 Depth=1
	s_and_b64 vcc, exec, s[10:11]
	s_cbranch_vccz .LBB364_22
; %bb.14:                               ;   in Loop: Header=BB364_7 Depth=1
	v_mul_hi_u32 v0, v46, v55
	v_mul_lo_u32 v0, v0, s12
	v_sub_u32_e32 v0, v46, v0
	v_subrev_u32_e32 v1, s12, v0
	v_cmp_le_u32_e32 vcc, s12, v0
	v_or_b32_e32 v8, 1, v46
	v_mov_b32_e32 v19, v49
	v_cndmask_b32_e32 v0, v0, v1, vcc
	v_subrev_u32_e32 v1, s12, v0
	v_cmp_le_u32_e32 vcc, s12, v0
	v_mov_b32_e32 v47, v49
	s_nop 0
	v_cndmask_b32_e32 v48, v0, v1, vcc
	v_mul_hi_u32 v0, v8, v55
	v_mul_lo_u32 v0, v0, s12
	v_sub_u32_e32 v0, v8, v0
	v_subrev_u32_e32 v1, s12, v0
	v_cmp_le_u32_e32 vcc, s12, v0
	v_lshl_add_u64 v[20:21], v[48:49], 1, s[14:15]
	v_add_u32_e32 v18, s29, v48
	v_cndmask_b32_e32 v0, v0, v1, vcc
	v_subrev_u32_e32 v1, s12, v0
	v_cmp_le_u32_e32 vcc, s12, v0
	v_add_u32_e32 v48, s30, v48
	v_lshl_add_u64 v[24:25], v[18:19], 1, s[14:15]
	v_cndmask_b32_e32 v0, v0, v1, vcc
	v_mov_b32_e32 v1, v49
	v_add_u32_e32 v18, s29, v0
	v_lshl_add_u64 v[28:29], v[48:49], 1, s[14:15]
	v_add_u32_e32 v48, s30, v0
	v_lshl_add_u64 v[22:23], v[0:1], 1, s[14:15]
	v_lshl_add_u64 v[26:27], v[18:19], 1, s[14:15]
	;; [unrolled: 1-line block ×3, first 2 shown]
	global_load_ushort v0, v[20:21], off
	global_load_ushort v19, v[22:23], off
	;; [unrolled: 1-line block ×6, first 2 shown]
	s_cbranch_execnz .LBB364_16
.LBB364_15:                             ;   in Loop: Header=BB364_7 Depth=1
	v_mov_b32_e32 v47, v49
	s_waitcnt vmcnt(5)
	v_mov_b32_e32 v0, 0
	v_mov_b32_e32 v8, v58
	s_waitcnt vmcnt(4)
	v_mov_b32_e32 v19, 0
	s_waitcnt vmcnt(3)
	;; [unrolled: 2-line block ×5, first 2 shown]
	v_mov_b32_e32 v11, 0
.LBB364_16:                             ;   in Loop: Header=BB364_7 Depth=1
	s_waitcnt lgkmcnt(5)
	v_add_f32_e32 v1, v16, v14
	v_mul_f32_e32 v1, s24, v1
	s_waitcnt vmcnt(5)
	v_fma_mixlo_f16 v14, s25, v1, v0 op_sel_hi:[0,0,1]
	v_lshl_add_u64 v[0:1], v[46:47], 1, s[18:19]
	v_cmp_gt_u32_e32 vcc, s7, v8
	global_store_short v[0:1], v14, off
	s_and_saveexec_b64 s[22:23], vcc
	s_cbranch_execz .LBB364_18
; %bb.17:                               ;   in Loop: Header=BB364_7 Depth=1
	s_waitcnt lgkmcnt(4)
	v_add_f32_e32 v12, v12, v13
	v_mul_f32_e32 v12, s24, v12
	s_waitcnt vmcnt(5)
	v_fma_mixlo_f16 v12, s25, v12, v19 op_sel_hi:[0,0,1]
	global_store_short v[0:1], v12, off offset:2
.LBB364_18:                             ;   in Loop: Header=BB364_7 Depth=1
	s_or_b64 exec, exec, s[22:23]
	s_waitcnt lgkmcnt(3)
	v_add_f32_e32 v0, v9, v10
	v_mul_f32_e32 v0, s24, v0
	v_add_u32_e32 v48, s7, v46
	s_waitcnt vmcnt(4)
	v_fma_mixlo_f16 v9, s25, v0, v18 op_sel_hi:[0,0,1]
	v_lshl_add_u64 v[0:1], v[48:49], 1, s[18:19]
	global_store_short v[0:1], v9, off
	s_and_saveexec_b64 s[22:23], vcc
	s_cbranch_execz .LBB364_20
; %bb.19:                               ;   in Loop: Header=BB364_7 Depth=1
	s_waitcnt lgkmcnt(2)
	v_add_f32_e32 v0, v6, v7
	v_mul_f32_e32 v0, s24, v0
	s_waitcnt vmcnt(4)
	v_fma_mixlo_f16 v6, s25, v0, v17 op_sel_hi:[0,0,1]
	v_add_u32_e32 v0, s7, v8
	v_mov_b32_e32 v1, v49
	v_lshl_add_u64 v[0:1], v[0:1], 1, s[18:19]
	global_store_short v[0:1], v6, off
.LBB364_20:                             ;   in Loop: Header=BB364_7 Depth=1
	s_or_b64 exec, exec, s[22:23]
	s_waitcnt lgkmcnt(1)
	v_add_f32_e32 v0, v4, v5
	v_mul_f32_e32 v0, s24, v0
	v_add_u32_e32 v48, s7, v48
	s_waitcnt vmcnt(3)
	v_fma_mixlo_f16 v4, s25, v0, v15 op_sel_hi:[0,0,1]
	v_lshl_add_u64 v[0:1], v[48:49], 1, s[18:19]
	global_store_short v[0:1], v4, off
	s_and_b64 exec, exec, vcc
	s_cbranch_execz .LBB364_6
; %bb.21:                               ;   in Loop: Header=BB364_7 Depth=1
	s_waitcnt lgkmcnt(0)
	v_add_f32_e32 v0, v2, v3
	v_mul_f32_e32 v0, s24, v0
	v_add_u32_e32 v48, s13, v8
	s_waitcnt vmcnt(3)
	v_fma_mixlo_f16 v2, s25, v0, v11 op_sel_hi:[0,0,1]
	v_lshl_add_u64 v[0:1], v[48:49], 1, s[18:19]
	global_store_short v[0:1], v2, off
	s_branch .LBB364_6
.LBB364_22:                             ;   in Loop: Header=BB364_7 Depth=1
                                        ; implicit-def: $vgpr11
                                        ; implicit-def: $vgpr15
                                        ; implicit-def: $vgpr17
                                        ; implicit-def: $vgpr18
                                        ; implicit-def: $vgpr19
                                        ; implicit-def: $vgpr0
                                        ; implicit-def: $vgpr8
	s_branch .LBB364_15
.LBB364_23:
	s_endpgm
	.section	.rodata,"a",@progbits
	.p2align	6, 0x0
	.amdhsa_kernel _Z17wvSplitKQ_hf_sml_I6__halfN3c1015Float8_e4m3fnuzELi64ELi2ELi16ELi16ELi1ELi3EEviiiiiiPKT0_S5_PKT_PS6_PKfSB_ii
		.amdhsa_group_segment_fixed_size 65536
		.amdhsa_private_segment_fixed_size 0
		.amdhsa_kernarg_size 80
		.amdhsa_user_sgpr_count 2
		.amdhsa_user_sgpr_dispatch_ptr 0
		.amdhsa_user_sgpr_queue_ptr 0
		.amdhsa_user_sgpr_kernarg_segment_ptr 1
		.amdhsa_user_sgpr_dispatch_id 0
		.amdhsa_user_sgpr_kernarg_preload_length 0
		.amdhsa_user_sgpr_kernarg_preload_offset 0
		.amdhsa_user_sgpr_private_segment_size 0
		.amdhsa_uses_dynamic_stack 0
		.amdhsa_enable_private_segment 0
		.amdhsa_system_sgpr_workgroup_id_x 1
		.amdhsa_system_sgpr_workgroup_id_y 0
		.amdhsa_system_sgpr_workgroup_id_z 0
		.amdhsa_system_sgpr_workgroup_info 0
		.amdhsa_system_vgpr_workitem_id 1
		.amdhsa_next_free_vgpr 59
		.amdhsa_next_free_sgpr 31
		.amdhsa_accum_offset 60
		.amdhsa_reserve_vcc 1
		.amdhsa_float_round_mode_32 0
		.amdhsa_float_round_mode_16_64 0
		.amdhsa_float_denorm_mode_32 3
		.amdhsa_float_denorm_mode_16_64 3
		.amdhsa_dx10_clamp 1
		.amdhsa_ieee_mode 1
		.amdhsa_fp16_overflow 0
		.amdhsa_tg_split 0
		.amdhsa_exception_fp_ieee_invalid_op 0
		.amdhsa_exception_fp_denorm_src 0
		.amdhsa_exception_fp_ieee_div_zero 0
		.amdhsa_exception_fp_ieee_overflow 0
		.amdhsa_exception_fp_ieee_underflow 0
		.amdhsa_exception_fp_ieee_inexact 0
		.amdhsa_exception_int_div_zero 0
	.end_amdhsa_kernel
	.section	.text._Z17wvSplitKQ_hf_sml_I6__halfN3c1015Float8_e4m3fnuzELi64ELi2ELi16ELi16ELi1ELi3EEviiiiiiPKT0_S5_PKT_PS6_PKfSB_ii,"axG",@progbits,_Z17wvSplitKQ_hf_sml_I6__halfN3c1015Float8_e4m3fnuzELi64ELi2ELi16ELi16ELi1ELi3EEviiiiiiPKT0_S5_PKT_PS6_PKfSB_ii,comdat
.Lfunc_end364:
	.size	_Z17wvSplitKQ_hf_sml_I6__halfN3c1015Float8_e4m3fnuzELi64ELi2ELi16ELi16ELi1ELi3EEviiiiiiPKT0_S5_PKT_PS6_PKfSB_ii, .Lfunc_end364-_Z17wvSplitKQ_hf_sml_I6__halfN3c1015Float8_e4m3fnuzELi64ELi2ELi16ELi16ELi1ELi3EEviiiiiiPKT0_S5_PKT_PS6_PKfSB_ii
                                        ; -- End function
	.section	.AMDGPU.csdata,"",@progbits
; Kernel info:
; codeLenInByte = 2144
; NumSgprs: 37
; NumVgprs: 59
; NumAgprs: 0
; TotalNumVgprs: 59
; ScratchSize: 0
; MemoryBound: 0
; FloatMode: 240
; IeeeMode: 1
; LDSByteSize: 65536 bytes/workgroup (compile time only)
; SGPRBlocks: 4
; VGPRBlocks: 7
; NumSGPRsForWavesPerEU: 37
; NumVGPRsForWavesPerEU: 59
; AccumOffset: 60
; Occupancy: 4
; WaveLimiterHint : 0
; COMPUTE_PGM_RSRC2:SCRATCH_EN: 0
; COMPUTE_PGM_RSRC2:USER_SGPR: 2
; COMPUTE_PGM_RSRC2:TRAP_HANDLER: 0
; COMPUTE_PGM_RSRC2:TGID_X_EN: 1
; COMPUTE_PGM_RSRC2:TGID_Y_EN: 0
; COMPUTE_PGM_RSRC2:TGID_Z_EN: 0
; COMPUTE_PGM_RSRC2:TIDIG_COMP_CNT: 1
; COMPUTE_PGM_RSRC3_GFX90A:ACCUM_OFFSET: 14
; COMPUTE_PGM_RSRC3_GFX90A:TG_SPLIT: 0
	.section	.text._Z13wvSplitKQ_hf_I6__halfN3c1015Float8_e4m3fnuzELi64ELi2ELi16ELi16ELi1ELi3EEviiiiiiPKT0_S5_PKT_PS6_PKfSB_ii,"axG",@progbits,_Z13wvSplitKQ_hf_I6__halfN3c1015Float8_e4m3fnuzELi64ELi2ELi16ELi16ELi1ELi3EEviiiiiiPKT0_S5_PKT_PS6_PKfSB_ii,comdat
	.protected	_Z13wvSplitKQ_hf_I6__halfN3c1015Float8_e4m3fnuzELi64ELi2ELi16ELi16ELi1ELi3EEviiiiiiPKT0_S5_PKT_PS6_PKfSB_ii ; -- Begin function _Z13wvSplitKQ_hf_I6__halfN3c1015Float8_e4m3fnuzELi64ELi2ELi16ELi16ELi1ELi3EEviiiiiiPKT0_S5_PKT_PS6_PKfSB_ii
	.globl	_Z13wvSplitKQ_hf_I6__halfN3c1015Float8_e4m3fnuzELi64ELi2ELi16ELi16ELi1ELi3EEviiiiiiPKT0_S5_PKT_PS6_PKfSB_ii
	.p2align	8
	.type	_Z13wvSplitKQ_hf_I6__halfN3c1015Float8_e4m3fnuzELi64ELi2ELi16ELi16ELi1ELi3EEviiiiiiPKT0_S5_PKT_PS6_PKfSB_ii,@function
_Z13wvSplitKQ_hf_I6__halfN3c1015Float8_e4m3fnuzELi64ELi2ELi16ELi16ELi1ELi3EEviiiiiiPKT0_S5_PKT_PS6_PKfSB_ii: ; @_Z13wvSplitKQ_hf_I6__halfN3c1015Float8_e4m3fnuzELi64ELi2ELi16ELi16ELi1ELi3EEviiiiiiPKT0_S5_PKT_PS6_PKfSB_ii
; %bb.0:
	s_load_dwordx4 s[4:7], s[0:1], 0x0
	s_load_dwordx2 s[16:17], s[0:1], 0x10
	s_load_dwordx4 s[12:15], s[0:1], 0x38
	s_load_dwordx4 s[8:11], s[0:1], 0x20
	v_and_b32_e32 v2, 0x3ff, v0
	v_bfe_u32 v3, v0, 10, 10
	v_lshlrev_b32_e32 v44, 4, v2
	s_waitcnt lgkmcnt(0)
	s_mul_i32 s3, s5, 3
	v_lshl_add_u32 v4, v3, 10, v44
	s_min_u32 s3, s3, 0x10000
	v_cmp_gt_u32_e32 vcc, s3, v4
	s_and_saveexec_b64 s[18:19], vcc
	s_cbranch_execz .LBB365_3
; %bb.1:
	v_mov_b32_e32 v1, 0
	v_lshlrev_b32_e32 v0, 10, v3
	v_mov_b32_e32 v45, v1
	v_lshl_add_u64 v[0:1], v[0:1], 0, v[44:45]
	v_lshl_add_u64 v[0:1], s[8:9], 0, v[0:1]
	s_mov_b64 s[20:21], 0
	s_mov_b64 s[22:23], 0x4000
.LBB365_2:                              ; =>This Inner Loop Header: Depth=1
	global_load_dwordx4 v[6:9], v[0:1], off
	v_lshl_add_u64 v[0:1], v[0:1], 0, s[22:23]
	s_waitcnt vmcnt(0)
	ds_write_b128 v4, v[6:9]
	v_add_u32_e32 v4, 0x4000, v4
	v_cmp_le_u32_e32 vcc, s3, v4
	s_or_b64 s[20:21], vcc, s[20:21]
	s_andn2_b64 exec, exec, s[20:21]
	s_cbranch_execnz .LBB365_2
.LBB365_3:
	s_or_b64 exec, exec, s[18:19]
	s_load_dwordx2 s[22:23], s[0:1], 0x48
	;;#ASMSTART
	s_waitcnt vmcnt(0)
	;;#ASMEND
	s_waitcnt lgkmcnt(0)
	s_barrier
	v_cmp_gt_u32_e32 vcc, s22, v3
	s_and_saveexec_b64 s[18:19], vcc
	s_cbranch_execz .LBB365_35
; %bb.4:
	s_mul_i32 s2, s2, s22
	v_add_lshl_u32 v46, s2, v3, 1
	v_cmp_gt_u32_e32 vcc, s7, v46
	s_and_b64 exec, exec, vcc
	s_cbranch_execz .LBB365_35
; %bb.5:
	v_mbcnt_lo_u32_b32 v0, -1, 0
	v_mbcnt_hi_u32_b32 v0, -1, v0
	s_cmp_lg_u32 s4, 0
	v_and_b32_e32 v1, 63, v0
	s_cselect_b64 s[2:3], -1, 0
	s_add_i32 s28, s4, -16
	s_add_i32 s29, s7, -1
	v_cmp_lt_u32_e32 vcc, 43, v1
	s_mul_i32 s22, s22, s23
	s_cmp_lg_u64 s[10:11], 0
	v_cndmask_b32_e64 v3, 20, 0, vcc
	v_cmp_lt_u32_e32 vcc, 23, v1
	s_load_dword s26, s[12:13], 0x0
	s_load_dword s27, s[14:15], 0x0
	s_load_dwordx2 s[18:19], s[0:1], 0x18
	s_load_dwordx2 s[20:21], s[0:1], 0x30
	v_cndmask_b32_e64 v1, 40, 0, vcc
	s_cselect_b64 s[14:15], -1, 0
	s_lshl_b32 s30, s22, 1
	s_abs_i32 s22, s17
	v_add_lshl_u32 v45, v3, v0, 2
	v_add_lshl_u32 v54, v1, v0, 2
	v_cvt_f32_u32_e32 v0, s16
	v_cvt_f32_u32_e32 v1, s22
	s_sub_i32 s23, 0, s16
	v_cmp_eq_u32_e64 s[0:1], 0, v2
	v_rcp_iflag_f32_e32 v0, v0
	v_rcp_iflag_f32_e32 v1, v1
	s_lshl_b32 s17, s7, 1
	s_mov_b64 s[12:13], 0
	v_mul_f32_e32 v0, 0x4f7ffffe, v0
	v_mul_f32_e32 v1, 0x4f7ffffe, v1
	v_cvt_u32_f32_e32 v0, v0
	v_cvt_u32_f32_e32 v1, v1
	v_mov_b32_e32 v49, 0
	v_lshl_add_u32 v56, s5, 1, v44
	v_mul_lo_u32 v2, s23, v0
	s_sub_i32 s23, 0, s22
	v_readfirstlane_b32 s24, v1
	s_mul_i32 s23, s23, s24
	s_mul_hi_u32 s23, s24, s23
	s_add_i32 s24, s24, s23
	s_sub_i32 s23, 1, s22
	s_cmp_lt_u32 s22, 2
	s_cselect_b32 s23, s23, 1
	s_sub_i32 s25, s23, s22
	s_cmp_ge_u32 s23, s22
	s_cselect_b32 s31, s25, s23
	s_lshr_b32 s23, s24, 31
	s_mul_i32 s23, s23, s22
	s_sub_i32 s23, 2, s23
	s_sub_i32 s24, s23, s22
	s_cmp_ge_u32 s23, s22
	s_cselect_b32 s23, s24, s23
	s_sub_i32 s24, s23, s22
	v_mul_hi_u32 v2, v0, v2
	s_cmp_ge_u32 s23, s22
	v_add_u32_e32 v55, v0, v2
	s_cselect_b32 s33, s24, s23
	v_cndmask_b32_e64 v0, 0, 1, s[2:3]
	s_mul_i32 s31, s31, s16
	s_mul_i32 s33, s33, s16
	v_add_u32_e32 v57, s5, v44
	v_cmp_ne_u32_e64 s[2:3], 1, v0
	s_mov_b32 s5, 0xffff
	s_branch .LBB365_7
.LBB365_6:                              ;   in Loop: Header=BB365_7 Depth=1
	s_or_b64 exec, exec, s[22:23]
	v_add_u32_e32 v46, s30, v46
	v_cmp_le_u32_e32 vcc, s7, v46
	s_or_b64 s[12:13], vcc, s[12:13]
	s_andn2_b64 exec, exec, s[12:13]
	s_cbranch_execz .LBB365_35
.LBB365_7:                              ; =>This Loop Header: Depth=1
                                        ;     Child Loop BB365_11 Depth 2
	s_and_b64 vcc, exec, s[2:3]
	v_or_b32_e32 v58, 1, v46
	v_mov_b32_e32 v23, v49
	v_mov_b32_e32 v22, v49
	;; [unrolled: 1-line block ×9, first 2 shown]
	s_waitcnt lgkmcnt(0)
	v_mov_b32_e32 v14, v49
	v_mov_b32_e32 v13, v49
	v_mov_b32_e32 v12, v49
	s_waitcnt vmcnt(3)
	v_mov_b32_e32 v11, v49
	v_mov_b32_e32 v10, v49
	;; [unrolled: 1-line block ×12, first 2 shown]
	s_cbranch_vccnz .LBB365_24
; %bb.8:                                ;   in Loop: Header=BB365_7 Depth=1
	v_min_u32_e32 v0, s29, v46
	v_mul_lo_u32 v50, v0, s6
	v_or_b32_e32 v0, 1, v46
	v_min_u32_e32 v0, s29, v0
	v_mov_b32_e32 v4, 0
	v_mov_b32_e32 v51, v49
	v_mul_lo_u32 v52, v0, s6
	v_mov_b32_e32 v53, v49
	s_mov_b32 s34, 0
	v_mov_b32_e32 v5, v4
	v_mov_b32_e32 v6, v4
	;; [unrolled: 1-line block ×23, first 2 shown]
	s_branch .LBB365_11
.LBB365_9:                              ;   in Loop: Header=BB365_11 Depth=2
	s_or_b64 exec, exec, s[24:25]
.LBB365_10:                             ;   in Loop: Header=BB365_11 Depth=2
	s_or_b64 exec, exec, s[22:23]
	s_waitcnt vmcnt(0) lgkmcnt(0)
	v_mfma_f32_16x16x32_fp8_fp8 v[20:23], v[32:33], v[28:29], v[20:23]
	s_addk_i32 s34, 0x400
	s_cmp_ge_u32 s34, s4
	v_mfma_f32_16x16x32_fp8_fp8 v[16:19], v[32:33], v[24:25], v[16:19]
	v_mfma_f32_16x16x32_fp8_fp8 v[12:15], v[36:37], v[28:29], v[12:15]
	;; [unrolled: 1-line block ×11, first 2 shown]
	s_cbranch_scc1 .LBB365_24
.LBB365_11:                             ;   Parent Loop BB365_7 Depth=1
                                        ; =>  This Inner Loop Header: Depth=2
	v_add_u32_e32 v47, s34, v44
	v_min_u32_e32 v48, s28, v47
	s_waitcnt lgkmcnt(0)
	v_lshl_add_u64 v[24:25], s[18:19], 0, v[48:49]
	v_lshl_add_u64 v[32:33], v[24:25], 0, v[50:51]
	;; [unrolled: 1-line block ×3, first 2 shown]
	global_load_dwordx4 v[28:31], v[32:33], off nt
	global_load_dwordx4 v[24:27], v[34:35], off nt
	v_mov_b64_e32 v[42:43], 0
	v_cmp_gt_u32_e32 vcc, s4, v47
	v_mov_b64_e32 v[40:41], v[42:43]
	v_mov_b64_e32 v[38:39], v[42:43]
	;; [unrolled: 1-line block ×5, first 2 shown]
	s_and_saveexec_b64 s[22:23], vcc
	s_cbranch_execz .LBB365_10
; %bb.12:                               ;   in Loop: Header=BB365_11 Depth=2
	v_cmp_lt_u32_e32 vcc, s5, v47
                                        ; implicit-def: $vgpr34_vgpr35
	s_and_saveexec_b64 s[24:25], vcc
	s_xor_b64 s[24:25], exec, s[24:25]
	s_cbranch_execz .LBB365_14
; %bb.13:                               ;   in Loop: Header=BB365_11 Depth=2
	global_load_dwordx4 v[32:35], v47, s[8:9]
                                        ; implicit-def: $vgpr47
.LBB365_14:                             ;   in Loop: Header=BB365_11 Depth=2
	s_andn2_saveexec_b64 s[24:25], s[24:25]
	s_cbranch_execz .LBB365_16
; %bb.15:                               ;   in Loop: Header=BB365_11 Depth=2
	s_waitcnt vmcnt(0)
	ds_read_b128 v[32:35], v47
.LBB365_16:                             ;   in Loop: Header=BB365_11 Depth=2
	s_or_b64 exec, exec, s[24:25]
	v_add_u32_e32 v40, s34, v57
	v_cmp_lt_u32_e32 vcc, s5, v40
                                        ; implicit-def: $vgpr38_vgpr39
	s_and_saveexec_b64 s[24:25], vcc
	s_xor_b64 s[24:25], exec, s[24:25]
	s_cbranch_execz .LBB365_18
; %bb.17:                               ;   in Loop: Header=BB365_11 Depth=2
	global_load_dwordx4 v[36:39], v40, s[8:9]
                                        ; implicit-def: $vgpr40
.LBB365_18:                             ;   in Loop: Header=BB365_11 Depth=2
	s_andn2_saveexec_b64 s[24:25], s[24:25]
	s_cbranch_execz .LBB365_20
; %bb.19:                               ;   in Loop: Header=BB365_11 Depth=2
	s_waitcnt vmcnt(0)
	ds_read_b128 v[36:39], v40
.LBB365_20:                             ;   in Loop: Header=BB365_11 Depth=2
	s_or_b64 exec, exec, s[24:25]
	v_add_u32_e32 v47, s34, v56
	v_cmp_lt_u32_e32 vcc, s5, v47
                                        ; implicit-def: $vgpr42_vgpr43
	s_and_saveexec_b64 s[24:25], vcc
	s_xor_b64 s[24:25], exec, s[24:25]
	s_cbranch_execz .LBB365_22
; %bb.21:                               ;   in Loop: Header=BB365_11 Depth=2
	global_load_dwordx4 v[40:43], v47, s[8:9]
                                        ; implicit-def: $vgpr47
.LBB365_22:                             ;   in Loop: Header=BB365_11 Depth=2
	s_andn2_saveexec_b64 s[24:25], s[24:25]
	s_cbranch_execz .LBB365_9
; %bb.23:                               ;   in Loop: Header=BB365_11 Depth=2
	s_waitcnt vmcnt(0)
	ds_read_b128 v[40:43], v47
	s_branch .LBB365_9
.LBB365_24:                             ;   in Loop: Header=BB365_7 Depth=1
	s_nop 0
	v_cvt_i32_f32_e32 v21, v21
	v_cvt_i32_f32_e32 v22, v22
	;; [unrolled: 1-line block ×5, first 2 shown]
	v_cvt_f32_i32_dpp v21, v21 row_shl:1 row_mask:0xf bank_mask:0xf bound_ctrl:1
	v_cvt_i32_f32_e32 v13, v13
	v_cvt_f32_i32_dpp v22, v22 row_shl:2 row_mask:0xf bank_mask:0xf bound_ctrl:1
	v_cvt_f32_i32_dpp v17, v17 row_shl:1 row_mask:0xf bank_mask:0xf bound_ctrl:1
	v_cvt_i32_f32_e32 v14, v14
	v_cvt_f32_i32_dpp v23, v23 row_shl:3 row_mask:0xf bank_mask:0xf bound_ctrl:1
	v_cvt_f32_i32_dpp v18, v18 row_shl:2 row_mask:0xf bank_mask:0xf bound_ctrl:1
	v_cvt_i32_f32_e32 v19, v19
	v_cvt_i32_f32_e32 v15, v15
	v_add_f32_e32 v20, v20, v21
	v_cvt_f32_i32_dpp v13, v13 row_shl:1 row_mask:0xf bank_mask:0xf bound_ctrl:1
	v_add_f32_e32 v20, v20, v22
	v_add_f32_e32 v17, v16, v17
	v_cvt_f32_i32_dpp v14, v14 row_shl:2 row_mask:0xf bank_mask:0xf bound_ctrl:1
	v_add_f32_e32 v20, v20, v23
	v_add_f32_e32 v17, v17, v18
	v_cvt_f32_i32_dpp v18, v19 row_shl:3 row_mask:0xf bank_mask:0xf bound_ctrl:1
	v_cvt_f32_i32_dpp v15, v15 row_shl:3 row_mask:0xf bank_mask:0xf bound_ctrl:1
	v_cvt_i32_f32_e32 v1, v1
	ds_bpermute_b32 v21, v45, v20
	v_cvt_i32_f32_e32 v2, v2
	v_add_f32_e32 v12, v12, v13
	v_add_f32_e32 v12, v12, v14
	;; [unrolled: 1-line block ×4, first 2 shown]
	v_cvt_f32_i32_dpp v1, v1 row_shl:1 row_mask:0xf bank_mask:0xf bound_ctrl:1
	ds_bpermute_b32 v18, v45, v17
	ds_bpermute_b32 v19, v45, v15
	v_cvt_f32_i32_dpp v2, v2 row_shl:2 row_mask:0xf bank_mask:0xf bound_ctrl:1
	v_cvt_i32_f32_e32 v3, v3
	s_waitcnt lgkmcnt(0)
	v_add_f32_e32 v16, v20, v21
	v_cvt_i32_f32_e32 v20, v9
	v_add_f32_e32 v0, v0, v1
	v_add_f32_e32 v0, v0, v2
	v_cvt_f32_i32_dpp v1, v3 row_shl:3 row_mask:0xf bank_mask:0xf bound_ctrl:1
	v_cvt_i32_f32_e32 v2, v5
	v_add_f32_e32 v12, v17, v18
	v_add_f32_e32 v9, v15, v19
	v_cvt_f32_i32_dpp v15, v20 row_shl:1 row_mask:0xf bank_mask:0xf bound_ctrl:1
	v_cvt_i32_f32_e32 v17, v10
	v_cvt_i32_f32_e32 v3, v6
	;; [unrolled: 1-line block ×4, first 2 shown]
	v_add_f32_e32 v0, v0, v1
	v_cvt_f32_i32_dpp v1, v2 row_shl:1 row_mask:0xf bank_mask:0xf bound_ctrl:1
	v_add_f32_e32 v8, v8, v15
	v_cvt_f32_i32_dpp v15, v17 row_shl:2 row_mask:0xf bank_mask:0xf bound_ctrl:1
	v_cvt_f32_i32_dpp v2, v3 row_shl:2 row_mask:0xf bank_mask:0xf bound_ctrl:1
	v_cvt_f32_i32_dpp v11, v11 row_shl:3 row_mask:0xf bank_mask:0xf bound_ctrl:1
	v_cvt_f32_i32_dpp v3, v5 row_shl:3 row_mask:0xf bank_mask:0xf bound_ctrl:1
	v_add_f32_e32 v1, v4, v1
	v_add_f32_e32 v8, v8, v15
	;; [unrolled: 1-line block ×5, first 2 shown]
	ds_bpermute_b32 v11, v45, v8
	ds_bpermute_b32 v5, v45, v0
	;; [unrolled: 1-line block ×5, first 2 shown]
	s_waitcnt lgkmcnt(4)
	v_add_f32_e32 v6, v8, v11
	s_waitcnt lgkmcnt(3)
	v_add_f32_e32 v4, v0, v5
	;; [unrolled: 2-line block ×3, first 2 shown]
	ds_bpermute_b32 v10, v54, v9
	ds_bpermute_b32 v7, v54, v6
	;; [unrolled: 1-line block ×4, first 2 shown]
	s_and_saveexec_b64 s[22:23], s[0:1]
	s_cbranch_execz .LBB365_6
; %bb.25:                               ;   in Loop: Header=BB365_7 Depth=1
	s_and_b64 vcc, exec, s[14:15]
	s_cbranch_vccz .LBB365_34
; %bb.26:                               ;   in Loop: Header=BB365_7 Depth=1
	v_mul_hi_u32 v0, v46, v55
	v_mul_lo_u32 v0, v0, s16
	v_sub_u32_e32 v0, v46, v0
	v_subrev_u32_e32 v1, s16, v0
	v_cmp_le_u32_e32 vcc, s16, v0
	v_or_b32_e32 v8, 1, v46
	v_mov_b32_e32 v19, v49
	v_cndmask_b32_e32 v0, v0, v1, vcc
	v_subrev_u32_e32 v1, s16, v0
	v_cmp_le_u32_e32 vcc, s16, v0
	v_mov_b32_e32 v47, v49
	s_nop 0
	v_cndmask_b32_e32 v48, v0, v1, vcc
	v_mul_hi_u32 v0, v8, v55
	v_mul_lo_u32 v0, v0, s16
	v_sub_u32_e32 v0, v8, v0
	v_subrev_u32_e32 v1, s16, v0
	v_cmp_le_u32_e32 vcc, s16, v0
	v_lshl_add_u64 v[20:21], v[48:49], 1, s[10:11]
	v_add_u32_e32 v18, s31, v48
	v_cndmask_b32_e32 v0, v0, v1, vcc
	v_subrev_u32_e32 v1, s16, v0
	v_cmp_le_u32_e32 vcc, s16, v0
	v_add_u32_e32 v48, s33, v48
	v_lshl_add_u64 v[24:25], v[18:19], 1, s[10:11]
	v_cndmask_b32_e32 v0, v0, v1, vcc
	v_mov_b32_e32 v1, v49
	v_add_u32_e32 v18, s31, v0
	v_lshl_add_u64 v[28:29], v[48:49], 1, s[10:11]
	v_add_u32_e32 v48, s33, v0
	v_lshl_add_u64 v[22:23], v[0:1], 1, s[10:11]
	v_lshl_add_u64 v[26:27], v[18:19], 1, s[10:11]
	;; [unrolled: 1-line block ×3, first 2 shown]
	global_load_ushort v0, v[20:21], off
	global_load_ushort v19, v[22:23], off
	;; [unrolled: 1-line block ×6, first 2 shown]
	s_cbranch_execnz .LBB365_28
.LBB365_27:                             ;   in Loop: Header=BB365_7 Depth=1
	v_mov_b32_e32 v47, v49
	s_waitcnt vmcnt(5)
	v_mov_b32_e32 v0, 0
	v_mov_b32_e32 v8, v58
	s_waitcnt vmcnt(4)
	v_mov_b32_e32 v19, 0
	s_waitcnt vmcnt(3)
	;; [unrolled: 2-line block ×5, first 2 shown]
	v_mov_b32_e32 v11, 0
.LBB365_28:                             ;   in Loop: Header=BB365_7 Depth=1
	s_waitcnt lgkmcnt(5)
	v_add_f32_e32 v1, v16, v14
	v_mul_f32_e32 v1, s26, v1
	s_waitcnt vmcnt(5)
	v_fma_mixlo_f16 v14, s27, v1, v0 op_sel_hi:[0,0,1]
	v_lshl_add_u64 v[0:1], v[46:47], 1, s[20:21]
	v_cmp_gt_u32_e32 vcc, s7, v8
	global_store_short v[0:1], v14, off
	s_and_saveexec_b64 s[24:25], vcc
	s_cbranch_execz .LBB365_30
; %bb.29:                               ;   in Loop: Header=BB365_7 Depth=1
	s_waitcnt lgkmcnt(4)
	v_add_f32_e32 v12, v12, v13
	v_mul_f32_e32 v12, s26, v12
	s_waitcnt vmcnt(5)
	v_fma_mixlo_f16 v12, s27, v12, v19 op_sel_hi:[0,0,1]
	global_store_short v[0:1], v12, off offset:2
.LBB365_30:                             ;   in Loop: Header=BB365_7 Depth=1
	s_or_b64 exec, exec, s[24:25]
	s_waitcnt lgkmcnt(3)
	v_add_f32_e32 v0, v9, v10
	v_mul_f32_e32 v0, s26, v0
	v_add_u32_e32 v48, s7, v46
	s_waitcnt vmcnt(4)
	v_fma_mixlo_f16 v9, s27, v0, v18 op_sel_hi:[0,0,1]
	v_lshl_add_u64 v[0:1], v[48:49], 1, s[20:21]
	global_store_short v[0:1], v9, off
	s_and_saveexec_b64 s[24:25], vcc
	s_cbranch_execz .LBB365_32
; %bb.31:                               ;   in Loop: Header=BB365_7 Depth=1
	s_waitcnt lgkmcnt(2)
	v_add_f32_e32 v0, v6, v7
	v_mul_f32_e32 v0, s26, v0
	s_waitcnt vmcnt(4)
	v_fma_mixlo_f16 v6, s27, v0, v17 op_sel_hi:[0,0,1]
	v_add_u32_e32 v0, s7, v8
	v_mov_b32_e32 v1, v49
	v_lshl_add_u64 v[0:1], v[0:1], 1, s[20:21]
	global_store_short v[0:1], v6, off
.LBB365_32:                             ;   in Loop: Header=BB365_7 Depth=1
	s_or_b64 exec, exec, s[24:25]
	s_waitcnt lgkmcnt(1)
	v_add_f32_e32 v0, v4, v5
	v_mul_f32_e32 v0, s26, v0
	v_add_u32_e32 v48, s7, v48
	s_waitcnt vmcnt(3)
	v_fma_mixlo_f16 v4, s27, v0, v15 op_sel_hi:[0,0,1]
	v_lshl_add_u64 v[0:1], v[48:49], 1, s[20:21]
	global_store_short v[0:1], v4, off
	s_and_b64 exec, exec, vcc
	s_cbranch_execz .LBB365_6
; %bb.33:                               ;   in Loop: Header=BB365_7 Depth=1
	s_waitcnt lgkmcnt(0)
	v_add_f32_e32 v0, v2, v3
	v_mul_f32_e32 v0, s26, v0
	v_add_u32_e32 v48, s17, v8
	s_waitcnt vmcnt(3)
	v_fma_mixlo_f16 v2, s27, v0, v11 op_sel_hi:[0,0,1]
	v_lshl_add_u64 v[0:1], v[48:49], 1, s[20:21]
	global_store_short v[0:1], v2, off
	s_branch .LBB365_6
.LBB365_34:                             ;   in Loop: Header=BB365_7 Depth=1
                                        ; implicit-def: $vgpr11
                                        ; implicit-def: $vgpr15
                                        ; implicit-def: $vgpr17
                                        ; implicit-def: $vgpr18
                                        ; implicit-def: $vgpr19
                                        ; implicit-def: $vgpr0
                                        ; implicit-def: $vgpr8
	s_branch .LBB365_27
.LBB365_35:
	s_endpgm
	.section	.rodata,"a",@progbits
	.p2align	6, 0x0
	.amdhsa_kernel _Z13wvSplitKQ_hf_I6__halfN3c1015Float8_e4m3fnuzELi64ELi2ELi16ELi16ELi1ELi3EEviiiiiiPKT0_S5_PKT_PS6_PKfSB_ii
		.amdhsa_group_segment_fixed_size 65536
		.amdhsa_private_segment_fixed_size 0
		.amdhsa_kernarg_size 80
		.amdhsa_user_sgpr_count 2
		.amdhsa_user_sgpr_dispatch_ptr 0
		.amdhsa_user_sgpr_queue_ptr 0
		.amdhsa_user_sgpr_kernarg_segment_ptr 1
		.amdhsa_user_sgpr_dispatch_id 0
		.amdhsa_user_sgpr_kernarg_preload_length 0
		.amdhsa_user_sgpr_kernarg_preload_offset 0
		.amdhsa_user_sgpr_private_segment_size 0
		.amdhsa_uses_dynamic_stack 0
		.amdhsa_enable_private_segment 0
		.amdhsa_system_sgpr_workgroup_id_x 1
		.amdhsa_system_sgpr_workgroup_id_y 0
		.amdhsa_system_sgpr_workgroup_id_z 0
		.amdhsa_system_sgpr_workgroup_info 0
		.amdhsa_system_vgpr_workitem_id 1
		.amdhsa_next_free_vgpr 59
		.amdhsa_next_free_sgpr 35
		.amdhsa_accum_offset 60
		.amdhsa_reserve_vcc 1
		.amdhsa_float_round_mode_32 0
		.amdhsa_float_round_mode_16_64 0
		.amdhsa_float_denorm_mode_32 3
		.amdhsa_float_denorm_mode_16_64 3
		.amdhsa_dx10_clamp 1
		.amdhsa_ieee_mode 1
		.amdhsa_fp16_overflow 0
		.amdhsa_tg_split 0
		.amdhsa_exception_fp_ieee_invalid_op 0
		.amdhsa_exception_fp_denorm_src 0
		.amdhsa_exception_fp_ieee_div_zero 0
		.amdhsa_exception_fp_ieee_overflow 0
		.amdhsa_exception_fp_ieee_underflow 0
		.amdhsa_exception_fp_ieee_inexact 0
		.amdhsa_exception_int_div_zero 0
	.end_amdhsa_kernel
	.section	.text._Z13wvSplitKQ_hf_I6__halfN3c1015Float8_e4m3fnuzELi64ELi2ELi16ELi16ELi1ELi3EEviiiiiiPKT0_S5_PKT_PS6_PKfSB_ii,"axG",@progbits,_Z13wvSplitKQ_hf_I6__halfN3c1015Float8_e4m3fnuzELi64ELi2ELi16ELi16ELi1ELi3EEviiiiiiPKT0_S5_PKT_PS6_PKfSB_ii,comdat
.Lfunc_end365:
	.size	_Z13wvSplitKQ_hf_I6__halfN3c1015Float8_e4m3fnuzELi64ELi2ELi16ELi16ELi1ELi3EEviiiiiiPKT0_S5_PKT_PS6_PKfSB_ii, .Lfunc_end365-_Z13wvSplitKQ_hf_I6__halfN3c1015Float8_e4m3fnuzELi64ELi2ELi16ELi16ELi1ELi3EEviiiiiiPKT0_S5_PKT_PS6_PKfSB_ii
                                        ; -- End function
	.section	.AMDGPU.csdata,"",@progbits
; Kernel info:
; codeLenInByte = 2248
; NumSgprs: 41
; NumVgprs: 59
; NumAgprs: 0
; TotalNumVgprs: 59
; ScratchSize: 0
; MemoryBound: 1
; FloatMode: 240
; IeeeMode: 1
; LDSByteSize: 65536 bytes/workgroup (compile time only)
; SGPRBlocks: 5
; VGPRBlocks: 7
; NumSGPRsForWavesPerEU: 41
; NumVGPRsForWavesPerEU: 59
; AccumOffset: 60
; Occupancy: 4
; WaveLimiterHint : 0
; COMPUTE_PGM_RSRC2:SCRATCH_EN: 0
; COMPUTE_PGM_RSRC2:USER_SGPR: 2
; COMPUTE_PGM_RSRC2:TRAP_HANDLER: 0
; COMPUTE_PGM_RSRC2:TGID_X_EN: 1
; COMPUTE_PGM_RSRC2:TGID_Y_EN: 0
; COMPUTE_PGM_RSRC2:TGID_Z_EN: 0
; COMPUTE_PGM_RSRC2:TIDIG_COMP_CNT: 1
; COMPUTE_PGM_RSRC3_GFX90A:ACCUM_OFFSET: 14
; COMPUTE_PGM_RSRC3_GFX90A:TG_SPLIT: 0
	.section	.text._Z17wvSplitKQ_hf_sml_I6__halfN3c1015Float8_e4m3fnuzELi32ELi2ELi16ELi16ELi1ELi4EEviiiiiiPKT0_S5_PKT_PS6_PKfSB_ii,"axG",@progbits,_Z17wvSplitKQ_hf_sml_I6__halfN3c1015Float8_e4m3fnuzELi32ELi2ELi16ELi16ELi1ELi4EEviiiiiiPKT0_S5_PKT_PS6_PKfSB_ii,comdat
	.protected	_Z17wvSplitKQ_hf_sml_I6__halfN3c1015Float8_e4m3fnuzELi32ELi2ELi16ELi16ELi1ELi4EEviiiiiiPKT0_S5_PKT_PS6_PKfSB_ii ; -- Begin function _Z17wvSplitKQ_hf_sml_I6__halfN3c1015Float8_e4m3fnuzELi32ELi2ELi16ELi16ELi1ELi4EEviiiiiiPKT0_S5_PKT_PS6_PKfSB_ii
	.globl	_Z17wvSplitKQ_hf_sml_I6__halfN3c1015Float8_e4m3fnuzELi32ELi2ELi16ELi16ELi1ELi4EEviiiiiiPKT0_S5_PKT_PS6_PKfSB_ii
	.p2align	8
	.type	_Z17wvSplitKQ_hf_sml_I6__halfN3c1015Float8_e4m3fnuzELi32ELi2ELi16ELi16ELi1ELi4EEviiiiiiPKT0_S5_PKT_PS6_PKfSB_ii,@function
_Z17wvSplitKQ_hf_sml_I6__halfN3c1015Float8_e4m3fnuzELi32ELi2ELi16ELi16ELi1ELi4EEviiiiiiPKT0_S5_PKT_PS6_PKfSB_ii: ; @_Z17wvSplitKQ_hf_sml_I6__halfN3c1015Float8_e4m3fnuzELi32ELi2ELi16ELi16ELi1ELi4EEviiiiiiPKT0_S5_PKT_PS6_PKfSB_ii
; %bb.0:
	s_load_dwordx4 s[12:15], s[0:1], 0x0
	v_and_b32_e32 v4, 0x3ff, v0
	v_bfe_u32 v5, v0, 10, 10
	v_lshlrev_b32_e32 v56, 4, v4
	v_lshl_add_u32 v0, v5, 9, v56
	s_waitcnt lgkmcnt(0)
	s_lshl_b32 s3, s13, 2
	s_min_u32 s3, s3, 0x10000
	v_cmp_gt_u32_e32 vcc, s3, v0
	s_and_saveexec_b64 s[4:5], vcc
	s_cbranch_execz .LBB366_9
; %bb.1:
	s_load_dwordx2 s[6:7], s[0:1], 0x20
	v_add_u32_e32 v1, 0x2000, v0
	v_cmp_gt_u32_e32 vcc, s3, v1
	s_waitcnt lgkmcnt(0)
	global_load_dwordx4 v[6:9], v0, s[6:7]
	s_waitcnt vmcnt(0)
	ds_write_b128 v0, v[6:9]
	s_and_saveexec_b64 s[8:9], vcc
	s_xor_b64 s[8:9], exec, s[8:9]
	s_cbranch_execz .LBB366_9
; %bb.2:
	v_mov_b32_e32 v1, 0
	v_lshl_add_u64 v[2:3], s[6:7], 0, v[0:1]
	v_add_co_u32_e32 v6, vcc, 0x2000, v2
	v_add_u32_e32 v1, 0x4000, v0
	s_nop 0
	v_addc_co_u32_e32 v7, vcc, 0, v3, vcc
	global_load_dwordx4 v[6:9], v[6:7], off
	v_cmp_gt_u32_e32 vcc, s3, v1
	s_waitcnt vmcnt(0)
	ds_write_b128 v0, v[6:9] offset:8192
	s_and_saveexec_b64 s[6:7], vcc
	s_xor_b64 s[6:7], exec, s[6:7]
	s_cbranch_execz .LBB366_9
; %bb.3:
	v_add_co_u32_e32 v6, vcc, 0x4000, v2
	v_add_u32_e32 v1, 0x6000, v0
	s_nop 0
	v_addc_co_u32_e32 v7, vcc, 0, v3, vcc
	global_load_dwordx4 v[6:9], v[6:7], off
	v_cmp_gt_u32_e32 vcc, s3, v1
	s_waitcnt vmcnt(0)
	ds_write_b128 v0, v[6:9] offset:16384
	s_and_saveexec_b64 s[6:7], vcc
	s_xor_b64 s[6:7], exec, s[6:7]
	s_cbranch_execz .LBB366_9
; %bb.4:
	;; [unrolled: 12-line block ×6, first 2 shown]
	v_add_co_u32_e32 v2, vcc, 0xe000, v2
	s_nop 1
	v_addc_co_u32_e32 v3, vcc, 0, v3, vcc
	global_load_dwordx4 v[6:9], v[2:3], off
	s_waitcnt vmcnt(0)
	ds_write_b128 v0, v[6:9] offset:57344
.LBB366_9:
	s_or_b64 exec, exec, s[4:5]
	s_load_dwordx2 s[20:21], s[0:1], 0x48
	;;#ASMSTART
	s_waitcnt vmcnt(0)
	;;#ASMEND
	s_waitcnt lgkmcnt(0)
	s_barrier
	v_cmp_gt_u32_e32 vcc, s20, v5
	s_and_saveexec_b64 s[4:5], vcc
	s_cbranch_execz .LBB366_31
; %bb.10:
	s_load_dwordx2 s[16:17], s[0:1], 0x10
	s_mul_i32 s2, s2, s20
	v_add_lshl_u32 v58, s2, v5, 1
	v_cmp_gt_u32_e32 vcc, s15, v58
	s_and_b64 exec, exec, vcc
	s_cbranch_execz .LBB366_31
; %bb.11:
	s_load_dwordx8 s[4:11], s[0:1], 0x28
	s_load_dwordx2 s[18:19], s[0:1], 0x18
	v_mbcnt_lo_u32_b32 v0, -1, 0
	v_mbcnt_hi_u32_b32 v0, -1, v0
	s_cmp_lg_u32 s12, 0
	v_and_b32_e32 v1, 63, v0
	s_cselect_b64 s[2:3], -1, 0
	s_add_i32 s26, s12, -16
	s_add_i32 s27, s15, -1
	v_cmp_lt_u32_e32 vcc, 43, v1
	s_mul_i32 s20, s20, s21
	s_waitcnt lgkmcnt(0)
	s_cmp_lg_u64 s[4:5], 0
	v_cndmask_b32_e64 v2, 20, 0, vcc
	v_cmp_lt_u32_e32 vcc, 23, v1
	s_load_dword s24, s[8:9], 0x0
	s_load_dword s25, s[10:11], 0x0
	v_cndmask_b32_e64 v1, 40, 0, vcc
	s_cselect_b64 s[10:11], -1, 0
	s_lshl_b32 s28, s20, 1
	s_abs_i32 s20, s17
	v_add_lshl_u32 v57, v2, v0, 2
	v_add_lshl_u32 v68, v1, v0, 2
	v_cvt_f32_u32_e32 v0, s16
	v_cvt_f32_u32_e32 v1, s20
	s_sub_i32 s21, 0, s16
	s_lshl_b32 s29, s15, 1
	v_rcp_iflag_f32_e32 v0, v0
	v_rcp_iflag_f32_e32 v1, v1
	v_cmp_eq_u32_e64 s[0:1], 0, v4
	s_mov_b64 s[8:9], 0
	v_mul_f32_e32 v0, 0x4f7ffffe, v0
	v_mul_f32_e32 v1, 0x4f7ffffe, v1
	v_cvt_u32_f32_e32 v0, v0
	v_cvt_u32_f32_e32 v1, v1
	s_mul_i32 s17, s15, 3
	v_mov_b32_e32 v61, 0
	v_mul_lo_u32 v2, s21, v0
	s_sub_i32 s21, 0, s20
	v_readfirstlane_b32 s22, v1
	s_mul_i32 s21, s21, s22
	s_mul_hi_u32 s21, s22, s21
	s_add_i32 s22, s22, s21
	s_sub_i32 s21, 1, s20
	s_cmp_lt_u32 s20, 2
	s_cselect_b32 s21, s21, 1
	s_sub_i32 s23, s21, s20
	s_cmp_ge_u32 s21, s20
	s_cselect_b32 s30, s23, s21
	s_lshr_b32 s21, s22, 31
	s_mul_i32 s21, s21, s20
	s_sub_i32 s21, 2, s21
	s_sub_i32 s23, s21, s20
	s_cmp_ge_u32 s21, s20
	s_cselect_b32 s21, s23, s21
	s_sub_i32 s23, s21, s20
	s_cmp_ge_u32 s21, s20
	s_cselect_b32 s31, s23, s21
	s_mul_hi_u32 s21, s22, 3
	s_mul_i32 s21, s21, s20
	s_sub_i32 s21, 3, s21
	s_sub_i32 s22, s21, s20
	s_cmp_ge_u32 s21, s20
	s_cselect_b32 s21, s22, s21
	s_sub_i32 s22, s21, s20
	v_mul_hi_u32 v2, v0, v2
	s_cmp_ge_u32 s21, s20
	v_add_u32_e32 v69, v0, v2
	s_cselect_b32 s33, s22, s21
	v_mad_u64_u32 v[62:63], s[20:21], s13, 3, v[56:57]
	v_cndmask_b32_e64 v0, 0, 1, s[2:3]
	s_mul_i32 s30, s30, s16
	s_mul_i32 s31, s31, s16
	;; [unrolled: 1-line block ×3, first 2 shown]
	v_lshl_add_u32 v63, s13, 1, v56
	v_add_u32_e32 v70, s13, v56
	v_cmp_ne_u32_e64 s[2:3], 1, v0
	s_branch .LBB366_13
.LBB366_12:                             ;   in Loop: Header=BB366_13 Depth=1
	s_or_b64 exec, exec, s[20:21]
	v_add_u32_e32 v58, s28, v58
	v_cmp_le_u32_e32 vcc, s15, v58
	s_or_b64 s[8:9], vcc, s[8:9]
	s_andn2_b64 exec, exec, s[8:9]
	s_cbranch_execz .LBB366_31
.LBB366_13:                             ; =>This Loop Header: Depth=1
                                        ;     Child Loop BB366_16 Depth 2
	s_and_b64 vcc, exec, s[2:3]
	v_or_b32_e32 v71, 1, v58
	v_mov_b32_e32 v31, v61
	v_mov_b32_e32 v30, v61
	v_mov_b32_e32 v29, v61
	v_mov_b32_e32 v28, v61
	v_mov_b32_e32 v27, v61
	v_mov_b32_e32 v26, v61
	v_mov_b32_e32 v25, v61
	v_mov_b32_e32 v24, v61
	v_mov_b32_e32 v23, v61
	s_waitcnt lgkmcnt(0)
	v_mov_b32_e32 v22, v61
	v_mov_b32_e32 v21, v61
	;; [unrolled: 1-line block ×11, first 2 shown]
	s_waitcnt vmcnt(4)
	v_mov_b32_e32 v11, v61
	v_mov_b32_e32 v10, v61
	;; [unrolled: 1-line block ×12, first 2 shown]
	s_cbranch_vccnz .LBB366_18
; %bb.14:                               ;   in Loop: Header=BB366_13 Depth=1
	v_min_u32_e32 v0, s27, v58
	v_mul_lo_u32 v64, v0, s14
	v_or_b32_e32 v0, 1, v58
	v_min_u32_e32 v0, s27, v0
	v_mov_b32_e32 v4, 0
	v_mov_b32_e32 v65, v61
	v_mul_lo_u32 v66, v0, s14
	v_mov_b32_e32 v67, v61
	s_mov_b32 s13, 0
	v_mov_b32_e32 v5, v4
	v_mov_b32_e32 v6, v4
	;; [unrolled: 1-line block ×31, first 2 shown]
	s_branch .LBB366_16
.LBB366_15:                             ;   in Loop: Header=BB366_16 Depth=2
	s_or_b64 exec, exec, s[20:21]
	s_waitcnt vmcnt(1) lgkmcnt(0)
	v_mfma_f32_16x16x32_fp8_fp8 v[28:31], v[44:45], v[36:37], v[28:31]
	s_addk_i32 s13, 0x200
	s_cmp_ge_u32 s13, s12
	s_waitcnt vmcnt(0)
	v_mfma_f32_16x16x32_fp8_fp8 v[24:27], v[44:45], v[32:33], v[24:27]
	v_mfma_f32_16x16x32_fp8_fp8 v[20:23], v[48:49], v[36:37], v[20:23]
	;; [unrolled: 1-line block ×15, first 2 shown]
	s_cbranch_scc1 .LBB366_18
.LBB366_16:                             ;   Parent Loop BB366_13 Depth=1
                                        ; =>  This Inner Loop Header: Depth=2
	v_add_u32_e32 v59, s13, v56
	v_min_u32_e32 v60, s26, v59
	v_lshl_add_u64 v[32:33], s[18:19], 0, v[60:61]
	v_lshl_add_u64 v[40:41], v[32:33], 0, v[64:65]
	;; [unrolled: 1-line block ×3, first 2 shown]
	global_load_dwordx4 v[36:39], v[40:41], off nt
	global_load_dwordx4 v[32:35], v[42:43], off nt
	v_mov_b64_e32 v[44:45], 0
	v_cmp_gt_u32_e32 vcc, s12, v59
	v_mov_b64_e32 v[46:47], v[44:45]
	v_mov_b64_e32 v[48:49], v[44:45]
	;; [unrolled: 1-line block ×7, first 2 shown]
	s_and_saveexec_b64 s[20:21], vcc
	s_cbranch_execz .LBB366_15
; %bb.17:                               ;   in Loop: Header=BB366_16 Depth=2
	v_add_u32_e32 v40, s13, v70
	ds_read_b128 v[44:47], v59
	ds_read_b128 v[48:51], v40
	v_add_u32_e32 v40, s13, v63
	v_add_u32_e32 v41, s13, v62
	ds_read_b128 v[52:55], v40
	ds_read_b128 v[40:43], v41
	s_branch .LBB366_15
.LBB366_18:                             ;   in Loop: Header=BB366_13 Depth=1
	v_cvt_i32_f32_e32 v29, v29
	v_cvt_i32_f32_e32 v30, v30
	;; [unrolled: 1-line block ×4, first 2 shown]
	v_cvt_f32_i32_dpp v29, v29 row_shl:1 row_mask:0xf bank_mask:0xf bound_ctrl:1
	v_cvt_f32_i32_dpp v30, v30 row_shl:2 row_mask:0xf bank_mask:0xf bound_ctrl:1
	v_cvt_i32_f32_e32 v26, v26
	v_cvt_i32_f32_e32 v27, v27
	v_cvt_f32_i32_dpp v31, v31 row_shl:3 row_mask:0xf bank_mask:0xf bound_ctrl:1
	v_add_f32_e32 v28, v28, v29
	v_add_f32_e32 v28, v28, v30
	v_cvt_f32_i32_dpp v30, v25 row_shl:1 row_mask:0xf bank_mask:0xf bound_ctrl:1
	v_cvt_f32_i32_dpp v26, v26 row_shl:2 row_mask:0xf bank_mask:0xf bound_ctrl:1
	;; [unrolled: 1-line block ×3, first 2 shown]
	v_add_f32_e32 v28, v28, v31
	ds_bpermute_b32 v29, v57, v28
	v_add_f32_e32 v24, v24, v30
	v_add_f32_e32 v24, v24, v26
	v_cvt_i32_f32_e32 v21, v21
	v_add_f32_e32 v24, v24, v27
	v_cvt_i32_f32_e32 v27, v22
	v_cvt_i32_f32_e32 v23, v23
	s_waitcnt lgkmcnt(0)
	v_add_f32_e32 v25, v28, v29
	v_cvt_f32_i32_dpp v28, v21 row_shl:1 row_mask:0xf bank_mask:0xf bound_ctrl:1
	v_cvt_f32_i32_dpp v27, v27 row_shl:2 row_mask:0xf bank_mask:0xf bound_ctrl:1
	;; [unrolled: 1-line block ×3, first 2 shown]
	ds_bpermute_b32 v26, v57, v24
	v_add_f32_e32 v20, v20, v28
	v_add_f32_e32 v20, v20, v27
	v_cvt_i32_f32_e32 v17, v17
	v_cvt_i32_f32_e32 v13, v13
	v_add_f32_e32 v20, v20, v23
	v_cvt_i32_f32_e32 v23, v18
	v_cvt_i32_f32_e32 v14, v14
	;; [unrolled: 1-line block ×4, first 2 shown]
	s_waitcnt lgkmcnt(0)
	v_add_f32_e32 v21, v24, v26
	v_cvt_f32_i32_dpp v26, v17 row_shl:1 row_mask:0xf bank_mask:0xf bound_ctrl:1
	v_cvt_f32_i32_dpp v13, v13 row_shl:1 row_mask:0xf bank_mask:0xf bound_ctrl:1
	v_cvt_f32_i32_dpp v23, v23 row_shl:2 row_mask:0xf bank_mask:0xf bound_ctrl:1
	v_cvt_f32_i32_dpp v14, v14 row_shl:2 row_mask:0xf bank_mask:0xf bound_ctrl:1
	ds_bpermute_b32 v24, v57, v20
	v_cvt_f32_i32_dpp v19, v19 row_shl:3 row_mask:0xf bank_mask:0xf bound_ctrl:1
	v_cvt_f32_i32_dpp v15, v15 row_shl:3 row_mask:0xf bank_mask:0xf bound_ctrl:1
	v_cvt_i32_f32_e32 v1, v1
	v_cvt_i32_f32_e32 v2, v2
	v_add_f32_e32 v16, v16, v26
	v_add_f32_e32 v12, v12, v13
	;; [unrolled: 1-line block ×6, first 2 shown]
	v_cvt_f32_i32_dpp v1, v1 row_shl:1 row_mask:0xf bank_mask:0xf bound_ctrl:1
	s_waitcnt lgkmcnt(0)
	v_add_f32_e32 v17, v20, v24
	ds_bpermute_b32 v19, v57, v16
	ds_bpermute_b32 v20, v57, v15
	v_cvt_f32_i32_dpp v2, v2 row_shl:2 row_mask:0xf bank_mask:0xf bound_ctrl:1
	v_cvt_i32_f32_e32 v3, v3
	v_cvt_i32_f32_e32 v23, v9
	v_add_f32_e32 v0, v0, v1
	v_add_f32_e32 v0, v0, v2
	v_cvt_f32_i32_dpp v1, v3 row_shl:3 row_mask:0xf bank_mask:0xf bound_ctrl:1
	v_cvt_i32_f32_e32 v2, v5
	s_waitcnt lgkmcnt(1)
	v_add_f32_e32 v12, v16, v19
	s_waitcnt lgkmcnt(0)
	v_add_f32_e32 v9, v15, v20
	v_cvt_f32_i32_dpp v15, v23 row_shl:1 row_mask:0xf bank_mask:0xf bound_ctrl:1
	v_cvt_i32_f32_e32 v16, v10
	v_cvt_i32_f32_e32 v3, v6
	;; [unrolled: 1-line block ×4, first 2 shown]
	v_add_f32_e32 v0, v0, v1
	v_cvt_f32_i32_dpp v1, v2 row_shl:1 row_mask:0xf bank_mask:0xf bound_ctrl:1
	v_add_f32_e32 v8, v8, v15
	v_cvt_f32_i32_dpp v15, v16 row_shl:2 row_mask:0xf bank_mask:0xf bound_ctrl:1
	v_cvt_f32_i32_dpp v2, v3 row_shl:2 row_mask:0xf bank_mask:0xf bound_ctrl:1
	;; [unrolled: 1-line block ×4, first 2 shown]
	v_add_f32_e32 v1, v4, v1
	v_add_f32_e32 v8, v8, v15
	;; [unrolled: 1-line block ×5, first 2 shown]
	ds_bpermute_b32 v11, v57, v8
	ds_bpermute_b32 v5, v57, v0
	;; [unrolled: 1-line block ×5, first 2 shown]
	s_waitcnt lgkmcnt(4)
	v_add_f32_e32 v6, v8, v11
	s_waitcnt lgkmcnt(3)
	v_add_f32_e32 v4, v0, v5
	s_waitcnt lgkmcnt(2)
	v_add_f32_e32 v2, v1, v2
	ds_bpermute_b32 v14, v68, v17
	ds_bpermute_b32 v13, v68, v12
	;; [unrolled: 1-line block ×6, first 2 shown]
	s_and_saveexec_b64 s[20:21], s[0:1]
	s_cbranch_execz .LBB366_12
; %bb.19:                               ;   in Loop: Header=BB366_13 Depth=1
	s_and_b64 vcc, exec, s[10:11]
	s_cbranch_vccz .LBB366_30
; %bb.20:                               ;   in Loop: Header=BB366_13 Depth=1
	v_mul_hi_u32 v0, v58, v69
	v_mul_lo_u32 v0, v0, s16
	v_sub_u32_e32 v0, v58, v0
	v_subrev_u32_e32 v1, s16, v0
	v_cmp_le_u32_e32 vcc, s16, v0
	v_or_b32_e32 v8, 1, v58
	v_mov_b32_e32 v31, v61
	v_cndmask_b32_e32 v0, v0, v1, vcc
	v_subrev_u32_e32 v1, s16, v0
	v_cmp_le_u32_e32 vcc, s16, v0
	v_mov_b32_e32 v33, v61
	v_mov_b32_e32 v35, v61
	v_cndmask_b32_e32 v60, v0, v1, vcc
	v_mul_hi_u32 v0, v8, v69
	v_mul_lo_u32 v0, v0, s16
	v_sub_u32_e32 v0, v8, v0
	v_subrev_u32_e32 v1, s16, v0
	v_cmp_le_u32_e32 vcc, s16, v0
	v_lshl_add_u64 v[26:27], v[60:61], 1, s[4:5]
	v_add_u32_e32 v30, s30, v60
	v_cndmask_b32_e32 v0, v0, v1, vcc
	v_subrev_u32_e32 v1, s16, v0
	v_cmp_le_u32_e32 vcc, s16, v0
	v_add_u32_e32 v34, s31, v60
	v_add_u32_e32 v60, s33, v60
	v_cndmask_b32_e32 v0, v0, v1, vcc
	v_mov_b32_e32 v1, v61
	v_add_u32_e32 v32, s30, v0
	v_add_u32_e32 v36, s31, v0
	v_mov_b32_e32 v37, v61
	v_lshl_add_u64 v[38:39], v[60:61], 1, s[4:5]
	v_add_u32_e32 v60, s33, v0
	v_lshl_add_u64 v[28:29], v[0:1], 1, s[4:5]
	v_lshl_add_u64 v[30:31], v[30:31], 1, s[4:5]
	;; [unrolled: 1-line block ×6, first 2 shown]
	global_load_ushort v0, v[26:27], off
	global_load_ushort v24, v[28:29], off
	global_load_ushort v23, v[30:31], off
	global_load_ushort v20, v[32:33], off
	global_load_ushort v19, v[34:35], off
	global_load_ushort v16, v[36:37], off
	global_load_ushort v15, v[38:39], off
	global_load_ushort v11, v[40:41], off
	v_mov_b32_e32 v59, v61
	s_cbranch_execnz .LBB366_22
.LBB366_21:                             ;   in Loop: Header=BB366_13 Depth=1
	v_mov_b32_e32 v59, v61
	s_waitcnt vmcnt(7)
	v_mov_b32_e32 v0, 0
	v_mov_b32_e32 v8, v71
	s_waitcnt vmcnt(6)
	v_mov_b32_e32 v24, 0
	s_waitcnt vmcnt(5)
	;; [unrolled: 2-line block ×7, first 2 shown]
	v_mov_b32_e32 v11, 0
.LBB366_22:                             ;   in Loop: Header=BB366_13 Depth=1
	s_waitcnt lgkmcnt(7)
	v_add_f32_e32 v1, v25, v22
	v_mul_f32_e32 v1, s24, v1
	s_waitcnt vmcnt(7)
	v_fma_mixlo_f16 v22, s25, v1, v0 op_sel_hi:[0,0,1]
	v_lshl_add_u64 v[0:1], v[58:59], 1, s[6:7]
	v_cmp_gt_u32_e32 vcc, s15, v8
	global_store_short v[0:1], v22, off
	s_and_saveexec_b64 s[22:23], vcc
	s_cbranch_execz .LBB366_24
; %bb.23:                               ;   in Loop: Header=BB366_13 Depth=1
	s_waitcnt lgkmcnt(6)
	v_add_f32_e32 v18, v21, v18
	v_mul_f32_e32 v18, s24, v18
	s_waitcnt vmcnt(7)
	v_fma_mixlo_f16 v18, s25, v18, v24 op_sel_hi:[0,0,1]
	global_store_short v[0:1], v18, off offset:2
.LBB366_24:                             ;   in Loop: Header=BB366_13 Depth=1
	s_or_b64 exec, exec, s[22:23]
	s_waitcnt lgkmcnt(5)
	v_add_f32_e32 v0, v17, v14
	v_mul_f32_e32 v0, s24, v0
	v_add_u32_e32 v60, s15, v58
	s_waitcnt vmcnt(6)
	v_fma_mixlo_f16 v14, s25, v0, v23 op_sel_hi:[0,0,1]
	v_lshl_add_u64 v[0:1], v[60:61], 1, s[6:7]
	global_store_short v[0:1], v14, off
	s_and_saveexec_b64 s[22:23], vcc
	s_cbranch_execz .LBB366_26
; %bb.25:                               ;   in Loop: Header=BB366_13 Depth=1
	s_waitcnt lgkmcnt(4)
	v_add_f32_e32 v0, v12, v13
	v_mul_f32_e32 v0, s24, v0
	s_waitcnt vmcnt(6)
	v_fma_mixlo_f16 v12, s25, v0, v20 op_sel_hi:[0,0,1]
	v_add_u32_e32 v0, s15, v8
	v_mov_b32_e32 v1, v61
	v_lshl_add_u64 v[0:1], v[0:1], 1, s[6:7]
	global_store_short v[0:1], v12, off
.LBB366_26:                             ;   in Loop: Header=BB366_13 Depth=1
	s_or_b64 exec, exec, s[22:23]
	s_waitcnt lgkmcnt(3)
	v_add_f32_e32 v0, v9, v10
	v_mul_f32_e32 v0, s24, v0
	v_add_u32_e32 v60, s15, v60
	s_waitcnt vmcnt(5)
	v_fma_mixlo_f16 v9, s25, v0, v19 op_sel_hi:[0,0,1]
	v_lshl_add_u64 v[0:1], v[60:61], 1, s[6:7]
	global_store_short v[0:1], v9, off
	s_and_saveexec_b64 s[22:23], vcc
	s_cbranch_execz .LBB366_28
; %bb.27:                               ;   in Loop: Header=BB366_13 Depth=1
	s_waitcnt lgkmcnt(2)
	v_add_f32_e32 v0, v6, v7
	v_mul_f32_e32 v0, s24, v0
	s_waitcnt vmcnt(5)
	v_fma_mixlo_f16 v6, s25, v0, v16 op_sel_hi:[0,0,1]
	v_add_u32_e32 v0, s29, v8
	v_mov_b32_e32 v1, v61
	v_lshl_add_u64 v[0:1], v[0:1], 1, s[6:7]
	global_store_short v[0:1], v6, off
.LBB366_28:                             ;   in Loop: Header=BB366_13 Depth=1
	s_or_b64 exec, exec, s[22:23]
	s_waitcnt lgkmcnt(1)
	v_add_f32_e32 v0, v4, v5
	v_mul_f32_e32 v0, s24, v0
	v_add_u32_e32 v60, s15, v60
	s_waitcnt vmcnt(4)
	v_fma_mixlo_f16 v4, s25, v0, v15 op_sel_hi:[0,0,1]
	v_lshl_add_u64 v[0:1], v[60:61], 1, s[6:7]
	global_store_short v[0:1], v4, off
	s_and_b64 exec, exec, vcc
	s_cbranch_execz .LBB366_12
; %bb.29:                               ;   in Loop: Header=BB366_13 Depth=1
	s_waitcnt lgkmcnt(0)
	v_add_f32_e32 v0, v2, v3
	v_mul_f32_e32 v0, s24, v0
	v_add_u32_e32 v60, s17, v8
	s_waitcnt vmcnt(4)
	v_fma_mixlo_f16 v2, s25, v0, v11 op_sel_hi:[0,0,1]
	v_lshl_add_u64 v[0:1], v[60:61], 1, s[6:7]
	global_store_short v[0:1], v2, off
	s_branch .LBB366_12
.LBB366_30:                             ;   in Loop: Header=BB366_13 Depth=1
                                        ; implicit-def: $vgpr11
                                        ; implicit-def: $vgpr15
                                        ; implicit-def: $vgpr16
                                        ; implicit-def: $vgpr19
                                        ; implicit-def: $vgpr20
                                        ; implicit-def: $vgpr23
                                        ; implicit-def: $vgpr24
                                        ; implicit-def: $vgpr0
                                        ; implicit-def: $vgpr8
	s_branch .LBB366_21
.LBB366_31:
	s_endpgm
	.section	.rodata,"a",@progbits
	.p2align	6, 0x0
	.amdhsa_kernel _Z17wvSplitKQ_hf_sml_I6__halfN3c1015Float8_e4m3fnuzELi32ELi2ELi16ELi16ELi1ELi4EEviiiiiiPKT0_S5_PKT_PS6_PKfSB_ii
		.amdhsa_group_segment_fixed_size 65536
		.amdhsa_private_segment_fixed_size 0
		.amdhsa_kernarg_size 80
		.amdhsa_user_sgpr_count 2
		.amdhsa_user_sgpr_dispatch_ptr 0
		.amdhsa_user_sgpr_queue_ptr 0
		.amdhsa_user_sgpr_kernarg_segment_ptr 1
		.amdhsa_user_sgpr_dispatch_id 0
		.amdhsa_user_sgpr_kernarg_preload_length 0
		.amdhsa_user_sgpr_kernarg_preload_offset 0
		.amdhsa_user_sgpr_private_segment_size 0
		.amdhsa_uses_dynamic_stack 0
		.amdhsa_enable_private_segment 0
		.amdhsa_system_sgpr_workgroup_id_x 1
		.amdhsa_system_sgpr_workgroup_id_y 0
		.amdhsa_system_sgpr_workgroup_id_z 0
		.amdhsa_system_sgpr_workgroup_info 0
		.amdhsa_system_vgpr_workitem_id 1
		.amdhsa_next_free_vgpr 72
		.amdhsa_next_free_sgpr 34
		.amdhsa_accum_offset 72
		.amdhsa_reserve_vcc 1
		.amdhsa_float_round_mode_32 0
		.amdhsa_float_round_mode_16_64 0
		.amdhsa_float_denorm_mode_32 3
		.amdhsa_float_denorm_mode_16_64 3
		.amdhsa_dx10_clamp 1
		.amdhsa_ieee_mode 1
		.amdhsa_fp16_overflow 0
		.amdhsa_tg_split 0
		.amdhsa_exception_fp_ieee_invalid_op 0
		.amdhsa_exception_fp_denorm_src 0
		.amdhsa_exception_fp_ieee_div_zero 0
		.amdhsa_exception_fp_ieee_overflow 0
		.amdhsa_exception_fp_ieee_underflow 0
		.amdhsa_exception_fp_ieee_inexact 0
		.amdhsa_exception_int_div_zero 0
	.end_amdhsa_kernel
	.section	.text._Z17wvSplitKQ_hf_sml_I6__halfN3c1015Float8_e4m3fnuzELi32ELi2ELi16ELi16ELi1ELi4EEviiiiiiPKT0_S5_PKT_PS6_PKfSB_ii,"axG",@progbits,_Z17wvSplitKQ_hf_sml_I6__halfN3c1015Float8_e4m3fnuzELi32ELi2ELi16ELi16ELi1ELi4EEviiiiiiPKT0_S5_PKT_PS6_PKfSB_ii,comdat
.Lfunc_end366:
	.size	_Z17wvSplitKQ_hf_sml_I6__halfN3c1015Float8_e4m3fnuzELi32ELi2ELi16ELi16ELi1ELi4EEviiiiiiPKT0_S5_PKT_PS6_PKfSB_ii, .Lfunc_end366-_Z17wvSplitKQ_hf_sml_I6__halfN3c1015Float8_e4m3fnuzELi32ELi2ELi16ELi16ELi1ELi4EEviiiiiiPKT0_S5_PKT_PS6_PKfSB_ii
                                        ; -- End function
	.section	.AMDGPU.csdata,"",@progbits
; Kernel info:
; codeLenInByte = 2964
; NumSgprs: 40
; NumVgprs: 72
; NumAgprs: 0
; TotalNumVgprs: 72
; ScratchSize: 0
; MemoryBound: 0
; FloatMode: 240
; IeeeMode: 1
; LDSByteSize: 65536 bytes/workgroup (compile time only)
; SGPRBlocks: 4
; VGPRBlocks: 8
; NumSGPRsForWavesPerEU: 40
; NumVGPRsForWavesPerEU: 72
; AccumOffset: 72
; Occupancy: 2
; WaveLimiterHint : 0
; COMPUTE_PGM_RSRC2:SCRATCH_EN: 0
; COMPUTE_PGM_RSRC2:USER_SGPR: 2
; COMPUTE_PGM_RSRC2:TRAP_HANDLER: 0
; COMPUTE_PGM_RSRC2:TGID_X_EN: 1
; COMPUTE_PGM_RSRC2:TGID_Y_EN: 0
; COMPUTE_PGM_RSRC2:TGID_Z_EN: 0
; COMPUTE_PGM_RSRC2:TIDIG_COMP_CNT: 1
; COMPUTE_PGM_RSRC3_GFX90A:ACCUM_OFFSET: 17
; COMPUTE_PGM_RSRC3_GFX90A:TG_SPLIT: 0
	.section	.text._Z13wvSplitKQ_hf_I6__halfN3c1015Float8_e4m3fnuzELi32ELi2ELi16ELi16ELi1ELi4EEviiiiiiPKT0_S5_PKT_PS6_PKfSB_ii,"axG",@progbits,_Z13wvSplitKQ_hf_I6__halfN3c1015Float8_e4m3fnuzELi32ELi2ELi16ELi16ELi1ELi4EEviiiiiiPKT0_S5_PKT_PS6_PKfSB_ii,comdat
	.protected	_Z13wvSplitKQ_hf_I6__halfN3c1015Float8_e4m3fnuzELi32ELi2ELi16ELi16ELi1ELi4EEviiiiiiPKT0_S5_PKT_PS6_PKfSB_ii ; -- Begin function _Z13wvSplitKQ_hf_I6__halfN3c1015Float8_e4m3fnuzELi32ELi2ELi16ELi16ELi1ELi4EEviiiiiiPKT0_S5_PKT_PS6_PKfSB_ii
	.globl	_Z13wvSplitKQ_hf_I6__halfN3c1015Float8_e4m3fnuzELi32ELi2ELi16ELi16ELi1ELi4EEviiiiiiPKT0_S5_PKT_PS6_PKfSB_ii
	.p2align	8
	.type	_Z13wvSplitKQ_hf_I6__halfN3c1015Float8_e4m3fnuzELi32ELi2ELi16ELi16ELi1ELi4EEviiiiiiPKT0_S5_PKT_PS6_PKfSB_ii,@function
_Z13wvSplitKQ_hf_I6__halfN3c1015Float8_e4m3fnuzELi32ELi2ELi16ELi16ELi1ELi4EEviiiiiiPKT0_S5_PKT_PS6_PKfSB_ii: ; @_Z13wvSplitKQ_hf_I6__halfN3c1015Float8_e4m3fnuzELi32ELi2ELi16ELi16ELi1ELi4EEviiiiiiPKT0_S5_PKT_PS6_PKfSB_ii
; %bb.0:
	s_load_dwordx4 s[12:15], s[0:1], 0x0
	s_load_dwordx2 s[16:17], s[0:1], 0x20
	v_and_b32_e32 v4, 0x3ff, v0
	v_bfe_u32 v5, v0, 10, 10
	v_lshlrev_b32_e32 v56, 4, v4
	s_waitcnt lgkmcnt(0)
	s_lshl_b32 s3, s13, 2
	v_lshl_add_u32 v0, v5, 9, v56
	s_min_u32 s3, s3, 0x10000
	v_cmp_gt_u32_e32 vcc, s3, v0
	s_and_saveexec_b64 s[4:5], vcc
	s_cbranch_execz .LBB367_9
; %bb.1:
	global_load_dwordx4 v[6:9], v0, s[16:17]
	v_add_u32_e32 v1, 0x2000, v0
	v_cmp_gt_u32_e32 vcc, s3, v1
	s_waitcnt vmcnt(0)
	ds_write_b128 v0, v[6:9]
	s_and_saveexec_b64 s[6:7], vcc
	s_xor_b64 s[6:7], exec, s[6:7]
	s_cbranch_execz .LBB367_9
; %bb.2:
	v_mov_b32_e32 v1, 0
	v_lshl_add_u64 v[2:3], s[16:17], 0, v[0:1]
	v_add_co_u32_e32 v6, vcc, 0x2000, v2
	v_add_u32_e32 v1, 0x4000, v0
	s_nop 0
	v_addc_co_u32_e32 v7, vcc, 0, v3, vcc
	global_load_dwordx4 v[6:9], v[6:7], off
	v_cmp_gt_u32_e32 vcc, s3, v1
	s_waitcnt vmcnt(0)
	ds_write_b128 v0, v[6:9] offset:8192
	s_and_saveexec_b64 s[6:7], vcc
	s_xor_b64 s[6:7], exec, s[6:7]
	s_cbranch_execz .LBB367_9
; %bb.3:
	v_add_co_u32_e32 v6, vcc, 0x4000, v2
	v_add_u32_e32 v1, 0x6000, v0
	s_nop 0
	v_addc_co_u32_e32 v7, vcc, 0, v3, vcc
	global_load_dwordx4 v[6:9], v[6:7], off
	v_cmp_gt_u32_e32 vcc, s3, v1
	s_waitcnt vmcnt(0)
	ds_write_b128 v0, v[6:9] offset:16384
	s_and_saveexec_b64 s[6:7], vcc
	s_xor_b64 s[6:7], exec, s[6:7]
	s_cbranch_execz .LBB367_9
; %bb.4:
	v_add_co_u32_e32 v6, vcc, 0x6000, v2
	v_add_u32_e32 v1, 0x8000, v0
	s_nop 0
	v_addc_co_u32_e32 v7, vcc, 0, v3, vcc
	global_load_dwordx4 v[6:9], v[6:7], off
	v_cmp_gt_u32_e32 vcc, s3, v1
	s_waitcnt vmcnt(0)
	ds_write_b128 v0, v[6:9] offset:24576
	s_and_saveexec_b64 s[6:7], vcc
	s_xor_b64 s[6:7], exec, s[6:7]
	s_cbranch_execz .LBB367_9
; %bb.5:
	v_add_co_u32_e32 v6, vcc, 0x8000, v2
	v_add_u32_e32 v1, 0xa000, v0
	s_nop 0
	v_addc_co_u32_e32 v7, vcc, 0, v3, vcc
	global_load_dwordx4 v[6:9], v[6:7], off
	v_cmp_gt_u32_e32 vcc, s3, v1
	s_waitcnt vmcnt(0)
	ds_write_b128 v0, v[6:9] offset:32768
	s_and_saveexec_b64 s[6:7], vcc
	s_xor_b64 s[6:7], exec, s[6:7]
	s_cbranch_execz .LBB367_9
; %bb.6:
	v_add_co_u32_e32 v6, vcc, 0xa000, v2
	v_add_u32_e32 v1, 0xc000, v0
	s_nop 0
	v_addc_co_u32_e32 v7, vcc, 0, v3, vcc
	global_load_dwordx4 v[6:9], v[6:7], off
	v_cmp_gt_u32_e32 vcc, s3, v1
	s_waitcnt vmcnt(0)
	ds_write_b128 v0, v[6:9] offset:40960
	s_and_saveexec_b64 s[6:7], vcc
	s_xor_b64 s[6:7], exec, s[6:7]
	s_cbranch_execz .LBB367_9
; %bb.7:
	v_add_co_u32_e32 v6, vcc, 0xc000, v2
	v_add_u32_e32 v1, 0xe000, v0
	s_nop 0
	v_addc_co_u32_e32 v7, vcc, 0, v3, vcc
	global_load_dwordx4 v[6:9], v[6:7], off
	v_cmp_gt_u32_e32 vcc, s3, v1
	s_waitcnt vmcnt(0)
	ds_write_b128 v0, v[6:9] offset:49152
	s_and_saveexec_b64 s[6:7], vcc
	s_xor_b64 s[6:7], exec, s[6:7]
	s_cbranch_execz .LBB367_9
; %bb.8:
	v_add_co_u32_e32 v2, vcc, 0xe000, v2
	s_nop 1
	v_addc_co_u32_e32 v3, vcc, 0, v3, vcc
	global_load_dwordx4 v[6:9], v[2:3], off
	s_waitcnt vmcnt(0)
	ds_write_b128 v0, v[6:9] offset:57344
.LBB367_9:
	s_or_b64 exec, exec, s[4:5]
	s_load_dwordx2 s[22:23], s[0:1], 0x48
	;;#ASMSTART
	s_waitcnt vmcnt(0)
	;;#ASMEND
	s_waitcnt lgkmcnt(0)
	s_barrier
	v_cmp_gt_u32_e32 vcc, s22, v5
	s_and_saveexec_b64 s[4:5], vcc
	s_cbranch_execz .LBB367_47
; %bb.10:
	s_load_dwordx2 s[18:19], s[0:1], 0x10
	s_mul_i32 s2, s2, s22
	v_add_lshl_u32 v58, s2, v5, 1
	v_cmp_gt_u32_e32 vcc, s15, v58
	s_and_b64 exec, exec, vcc
	s_cbranch_execz .LBB367_47
; %bb.11:
	s_load_dwordx8 s[4:11], s[0:1], 0x28
	s_load_dwordx2 s[20:21], s[0:1], 0x18
	v_mbcnt_lo_u32_b32 v0, -1, 0
	v_mbcnt_hi_u32_b32 v0, -1, v0
	s_cmp_lg_u32 s12, 0
	v_and_b32_e32 v1, 63, v0
	s_cselect_b64 s[2:3], -1, 0
	s_add_i32 s28, s12, -16
	s_add_i32 s29, s15, -1
	v_cmp_lt_u32_e32 vcc, 43, v1
	s_mul_i32 s22, s22, s23
	s_waitcnt lgkmcnt(0)
	s_cmp_lg_u64 s[4:5], 0
	v_cndmask_b32_e64 v2, 20, 0, vcc
	v_cmp_lt_u32_e32 vcc, 23, v1
	s_load_dword s26, s[8:9], 0x0
	s_load_dword s27, s[10:11], 0x0
	v_cndmask_b32_e64 v1, 40, 0, vcc
	s_cselect_b64 s[10:11], -1, 0
	s_lshl_b32 s30, s22, 1
	s_abs_i32 s22, s19
	v_add_lshl_u32 v57, v2, v0, 2
	v_add_lshl_u32 v68, v1, v0, 2
	v_cvt_f32_u32_e32 v0, s18
	v_cvt_f32_u32_e32 v1, s22
	s_sub_i32 s23, 0, s18
	s_lshl_b32 s31, s15, 1
	v_rcp_iflag_f32_e32 v0, v0
	v_rcp_iflag_f32_e32 v1, v1
	v_cmp_eq_u32_e64 s[0:1], 0, v4
	s_mov_b64 s[8:9], 0
	v_mul_f32_e32 v0, 0x4f7ffffe, v0
	v_mul_f32_e32 v1, 0x4f7ffffe, v1
	v_cvt_u32_f32_e32 v0, v0
	v_cvt_u32_f32_e32 v1, v1
	s_mul_i32 s19, s15, 3
	v_mov_b32_e32 v61, 0
	v_mul_lo_u32 v2, s23, v0
	s_sub_i32 s23, 0, s22
	v_readfirstlane_b32 s24, v1
	s_mul_i32 s23, s23, s24
	s_mul_hi_u32 s23, s24, s23
	s_add_i32 s24, s24, s23
	s_sub_i32 s23, 1, s22
	s_cmp_lt_u32 s22, 2
	s_cselect_b32 s23, s23, 1
	s_sub_i32 s25, s23, s22
	s_cmp_ge_u32 s23, s22
	s_cselect_b32 s33, s25, s23
	s_lshr_b32 s23, s24, 31
	s_mul_i32 s23, s23, s22
	s_sub_i32 s23, 2, s23
	s_sub_i32 s25, s23, s22
	s_cmp_ge_u32 s23, s22
	s_cselect_b32 s23, s25, s23
	s_sub_i32 s25, s23, s22
	s_cmp_ge_u32 s23, s22
	s_cselect_b32 s34, s25, s23
	s_mul_hi_u32 s23, s24, 3
	s_mul_i32 s23, s23, s22
	s_sub_i32 s23, 3, s23
	s_sub_i32 s24, s23, s22
	s_cmp_ge_u32 s23, s22
	s_cselect_b32 s23, s24, s23
	s_sub_i32 s24, s23, s22
	v_mul_hi_u32 v2, v0, v2
	s_cmp_ge_u32 s23, s22
	v_add_u32_e32 v69, v0, v2
	s_cselect_b32 s35, s24, s23
	v_mad_u64_u32 v[62:63], s[22:23], s13, 3, v[56:57]
	v_cndmask_b32_e64 v0, 0, 1, s[2:3]
	s_mul_i32 s33, s33, s18
	s_mul_i32 s34, s34, s18
	s_mul_i32 s35, s35, s18
	v_lshl_add_u32 v70, s13, 1, v56
	v_add_u32_e32 v63, s13, v56
	v_cmp_ne_u32_e64 s[2:3], 1, v0
	s_mov_b32 s13, 0xffff
	s_branch .LBB367_13
.LBB367_12:                             ;   in Loop: Header=BB367_13 Depth=1
	s_or_b64 exec, exec, s[22:23]
	v_add_u32_e32 v58, s30, v58
	v_cmp_le_u32_e32 vcc, s15, v58
	s_or_b64 s[8:9], vcc, s[8:9]
	s_andn2_b64 exec, exec, s[8:9]
	s_cbranch_execz .LBB367_47
.LBB367_13:                             ; =>This Loop Header: Depth=1
                                        ;     Child Loop BB367_17 Depth 2
	s_and_b64 vcc, exec, s[2:3]
	v_or_b32_e32 v71, 1, v58
	v_mov_b32_e32 v31, v61
	v_mov_b32_e32 v30, v61
	v_mov_b32_e32 v29, v61
	v_mov_b32_e32 v28, v61
	v_mov_b32_e32 v27, v61
	v_mov_b32_e32 v26, v61
	v_mov_b32_e32 v25, v61
	v_mov_b32_e32 v24, v61
	v_mov_b32_e32 v23, v61
	s_waitcnt lgkmcnt(0)
	v_mov_b32_e32 v22, v61
	v_mov_b32_e32 v21, v61
	;; [unrolled: 1-line block ×11, first 2 shown]
	s_waitcnt vmcnt(4)
	v_mov_b32_e32 v11, v61
	v_mov_b32_e32 v10, v61
	;; [unrolled: 1-line block ×12, first 2 shown]
	s_cbranch_vccnz .LBB367_34
; %bb.14:                               ;   in Loop: Header=BB367_13 Depth=1
	v_min_u32_e32 v0, s29, v58
	v_mul_lo_u32 v64, v0, s14
	v_or_b32_e32 v0, 1, v58
	v_min_u32_e32 v0, s29, v0
	v_mov_b32_e32 v4, 0
	v_mov_b32_e32 v65, v61
	v_mul_lo_u32 v66, v0, s14
	v_mov_b32_e32 v67, v61
	s_mov_b32 s36, 0
	v_mov_b32_e32 v5, v4
	v_mov_b32_e32 v6, v4
	v_mov_b32_e32 v7, v4
	v_mov_b32_e32 v0, v4
	v_mov_b32_e32 v1, v4
	v_mov_b32_e32 v2, v4
	v_mov_b32_e32 v3, v4
	v_mov_b32_e32 v8, v4
	v_mov_b32_e32 v9, v4
	v_mov_b32_e32 v10, v4
	v_mov_b32_e32 v11, v4
	v_mov_b32_e32 v12, v4
	v_mov_b32_e32 v13, v4
	v_mov_b32_e32 v14, v4
	v_mov_b32_e32 v15, v4
	v_mov_b32_e32 v16, v4
	v_mov_b32_e32 v17, v4
	v_mov_b32_e32 v18, v4
	v_mov_b32_e32 v19, v4
	v_mov_b32_e32 v20, v4
	v_mov_b32_e32 v21, v4
	v_mov_b32_e32 v22, v4
	v_mov_b32_e32 v23, v4
	v_mov_b32_e32 v24, v4
	v_mov_b32_e32 v25, v4
	v_mov_b32_e32 v26, v4
	v_mov_b32_e32 v27, v4
	v_mov_b32_e32 v28, v4
	v_mov_b32_e32 v29, v4
	v_mov_b32_e32 v30, v4
	v_mov_b32_e32 v31, v4
	s_branch .LBB367_17
.LBB367_15:                             ;   in Loop: Header=BB367_17 Depth=2
	s_or_b64 exec, exec, s[24:25]
.LBB367_16:                             ;   in Loop: Header=BB367_17 Depth=2
	s_or_b64 exec, exec, s[22:23]
	s_waitcnt vmcnt(0) lgkmcnt(0)
	v_mfma_f32_16x16x32_fp8_fp8 v[28:31], v[40:41], v[36:37], v[28:31]
	s_addk_i32 s36, 0x200
	s_cmp_ge_u32 s36, s12
	v_mfma_f32_16x16x32_fp8_fp8 v[24:27], v[40:41], v[32:33], v[24:27]
	v_mfma_f32_16x16x32_fp8_fp8 v[20:23], v[44:45], v[36:37], v[20:23]
	;; [unrolled: 1-line block ×15, first 2 shown]
	s_cbranch_scc1 .LBB367_34
.LBB367_17:                             ;   Parent Loop BB367_13 Depth=1
                                        ; =>  This Inner Loop Header: Depth=2
	v_add_u32_e32 v59, s36, v56
	v_min_u32_e32 v60, s28, v59
	v_lshl_add_u64 v[32:33], s[20:21], 0, v[60:61]
	v_lshl_add_u64 v[40:41], v[32:33], 0, v[64:65]
	;; [unrolled: 1-line block ×3, first 2 shown]
	global_load_dwordx4 v[36:39], v[40:41], off nt
	global_load_dwordx4 v[32:35], v[42:43], off nt
	v_mov_b64_e32 v[54:55], 0
	v_cmp_gt_u32_e32 vcc, s12, v59
	v_mov_b64_e32 v[52:53], v[54:55]
	v_mov_b64_e32 v[50:51], v[54:55]
	;; [unrolled: 1-line block ×7, first 2 shown]
	s_and_saveexec_b64 s[22:23], vcc
	s_cbranch_execz .LBB367_16
; %bb.18:                               ;   in Loop: Header=BB367_17 Depth=2
	v_cmp_lt_u32_e32 vcc, s13, v59
                                        ; implicit-def: $vgpr42_vgpr43
	s_and_saveexec_b64 s[24:25], vcc
	s_xor_b64 s[24:25], exec, s[24:25]
	s_cbranch_execz .LBB367_20
; %bb.19:                               ;   in Loop: Header=BB367_17 Depth=2
	global_load_dwordx4 v[40:43], v59, s[16:17]
                                        ; implicit-def: $vgpr59
.LBB367_20:                             ;   in Loop: Header=BB367_17 Depth=2
	s_andn2_saveexec_b64 s[24:25], s[24:25]
	s_cbranch_execz .LBB367_22
; %bb.21:                               ;   in Loop: Header=BB367_17 Depth=2
	s_waitcnt vmcnt(0)
	ds_read_b128 v[40:43], v59
.LBB367_22:                             ;   in Loop: Header=BB367_17 Depth=2
	s_or_b64 exec, exec, s[24:25]
	v_add_u32_e32 v48, s36, v63
	v_cmp_lt_u32_e32 vcc, s13, v48
                                        ; implicit-def: $vgpr46_vgpr47
	s_and_saveexec_b64 s[24:25], vcc
	s_xor_b64 s[24:25], exec, s[24:25]
	s_cbranch_execz .LBB367_24
; %bb.23:                               ;   in Loop: Header=BB367_17 Depth=2
	global_load_dwordx4 v[44:47], v48, s[16:17]
                                        ; implicit-def: $vgpr48
.LBB367_24:                             ;   in Loop: Header=BB367_17 Depth=2
	s_andn2_saveexec_b64 s[24:25], s[24:25]
	s_cbranch_execz .LBB367_26
; %bb.25:                               ;   in Loop: Header=BB367_17 Depth=2
	s_waitcnt vmcnt(0)
	ds_read_b128 v[44:47], v48
.LBB367_26:                             ;   in Loop: Header=BB367_17 Depth=2
	s_or_b64 exec, exec, s[24:25]
	v_add_u32_e32 v52, s36, v70
	v_cmp_lt_u32_e32 vcc, s13, v52
                                        ; implicit-def: $vgpr50_vgpr51
	s_and_saveexec_b64 s[24:25], vcc
	s_xor_b64 s[24:25], exec, s[24:25]
	s_cbranch_execz .LBB367_28
; %bb.27:                               ;   in Loop: Header=BB367_17 Depth=2
	global_load_dwordx4 v[48:51], v52, s[16:17]
                                        ; implicit-def: $vgpr52
.LBB367_28:                             ;   in Loop: Header=BB367_17 Depth=2
	s_andn2_saveexec_b64 s[24:25], s[24:25]
	s_cbranch_execz .LBB367_30
; %bb.29:                               ;   in Loop: Header=BB367_17 Depth=2
	s_waitcnt vmcnt(0)
	ds_read_b128 v[48:51], v52
.LBB367_30:                             ;   in Loop: Header=BB367_17 Depth=2
	s_or_b64 exec, exec, s[24:25]
	v_add_u32_e32 v59, s36, v62
	v_cmp_lt_u32_e32 vcc, s13, v59
                                        ; implicit-def: $vgpr54_vgpr55
	s_and_saveexec_b64 s[24:25], vcc
	s_xor_b64 s[24:25], exec, s[24:25]
	s_cbranch_execz .LBB367_32
; %bb.31:                               ;   in Loop: Header=BB367_17 Depth=2
	global_load_dwordx4 v[52:55], v59, s[16:17]
                                        ; implicit-def: $vgpr59
.LBB367_32:                             ;   in Loop: Header=BB367_17 Depth=2
	s_andn2_saveexec_b64 s[24:25], s[24:25]
	s_cbranch_execz .LBB367_15
; %bb.33:                               ;   in Loop: Header=BB367_17 Depth=2
	s_waitcnt vmcnt(0)
	ds_read_b128 v[52:55], v59
	s_branch .LBB367_15
.LBB367_34:                             ;   in Loop: Header=BB367_13 Depth=1
	v_cvt_i32_f32_e32 v29, v29
	v_cvt_i32_f32_e32 v30, v30
	;; [unrolled: 1-line block ×4, first 2 shown]
	v_cvt_f32_i32_dpp v29, v29 row_shl:1 row_mask:0xf bank_mask:0xf bound_ctrl:1
	v_cvt_f32_i32_dpp v30, v30 row_shl:2 row_mask:0xf bank_mask:0xf bound_ctrl:1
	v_cvt_i32_f32_e32 v26, v26
	v_cvt_i32_f32_e32 v27, v27
	v_cvt_f32_i32_dpp v31, v31 row_shl:3 row_mask:0xf bank_mask:0xf bound_ctrl:1
	v_add_f32_e32 v28, v28, v29
	v_add_f32_e32 v28, v28, v30
	v_cvt_f32_i32_dpp v30, v25 row_shl:1 row_mask:0xf bank_mask:0xf bound_ctrl:1
	v_cvt_f32_i32_dpp v26, v26 row_shl:2 row_mask:0xf bank_mask:0xf bound_ctrl:1
	;; [unrolled: 1-line block ×3, first 2 shown]
	v_add_f32_e32 v28, v28, v31
	ds_bpermute_b32 v29, v57, v28
	v_add_f32_e32 v24, v24, v30
	v_add_f32_e32 v24, v24, v26
	v_cvt_i32_f32_e32 v21, v21
	v_add_f32_e32 v24, v24, v27
	v_cvt_i32_f32_e32 v27, v22
	v_cvt_i32_f32_e32 v23, v23
	s_waitcnt lgkmcnt(0)
	v_add_f32_e32 v25, v28, v29
	v_cvt_f32_i32_dpp v28, v21 row_shl:1 row_mask:0xf bank_mask:0xf bound_ctrl:1
	v_cvt_f32_i32_dpp v27, v27 row_shl:2 row_mask:0xf bank_mask:0xf bound_ctrl:1
	;; [unrolled: 1-line block ×3, first 2 shown]
	ds_bpermute_b32 v26, v57, v24
	v_add_f32_e32 v20, v20, v28
	v_add_f32_e32 v20, v20, v27
	v_cvt_i32_f32_e32 v17, v17
	v_cvt_i32_f32_e32 v13, v13
	v_add_f32_e32 v20, v20, v23
	v_cvt_i32_f32_e32 v23, v18
	v_cvt_i32_f32_e32 v14, v14
	v_cvt_i32_f32_e32 v19, v19
	v_cvt_i32_f32_e32 v15, v15
	s_waitcnt lgkmcnt(0)
	v_add_f32_e32 v21, v24, v26
	v_cvt_f32_i32_dpp v26, v17 row_shl:1 row_mask:0xf bank_mask:0xf bound_ctrl:1
	v_cvt_f32_i32_dpp v13, v13 row_shl:1 row_mask:0xf bank_mask:0xf bound_ctrl:1
	;; [unrolled: 1-line block ×4, first 2 shown]
	ds_bpermute_b32 v24, v57, v20
	v_cvt_f32_i32_dpp v19, v19 row_shl:3 row_mask:0xf bank_mask:0xf bound_ctrl:1
	v_cvt_f32_i32_dpp v15, v15 row_shl:3 row_mask:0xf bank_mask:0xf bound_ctrl:1
	v_cvt_i32_f32_e32 v1, v1
	v_cvt_i32_f32_e32 v2, v2
	v_add_f32_e32 v16, v16, v26
	v_add_f32_e32 v12, v12, v13
	;; [unrolled: 1-line block ×6, first 2 shown]
	v_cvt_f32_i32_dpp v1, v1 row_shl:1 row_mask:0xf bank_mask:0xf bound_ctrl:1
	s_waitcnt lgkmcnt(0)
	v_add_f32_e32 v17, v20, v24
	ds_bpermute_b32 v19, v57, v16
	ds_bpermute_b32 v20, v57, v15
	v_cvt_f32_i32_dpp v2, v2 row_shl:2 row_mask:0xf bank_mask:0xf bound_ctrl:1
	v_cvt_i32_f32_e32 v3, v3
	v_cvt_i32_f32_e32 v23, v9
	v_add_f32_e32 v0, v0, v1
	v_add_f32_e32 v0, v0, v2
	v_cvt_f32_i32_dpp v1, v3 row_shl:3 row_mask:0xf bank_mask:0xf bound_ctrl:1
	v_cvt_i32_f32_e32 v2, v5
	s_waitcnt lgkmcnt(1)
	v_add_f32_e32 v12, v16, v19
	s_waitcnt lgkmcnt(0)
	v_add_f32_e32 v9, v15, v20
	v_cvt_f32_i32_dpp v15, v23 row_shl:1 row_mask:0xf bank_mask:0xf bound_ctrl:1
	v_cvt_i32_f32_e32 v16, v10
	v_cvt_i32_f32_e32 v3, v6
	;; [unrolled: 1-line block ×4, first 2 shown]
	v_add_f32_e32 v0, v0, v1
	v_cvt_f32_i32_dpp v1, v2 row_shl:1 row_mask:0xf bank_mask:0xf bound_ctrl:1
	v_add_f32_e32 v8, v8, v15
	v_cvt_f32_i32_dpp v15, v16 row_shl:2 row_mask:0xf bank_mask:0xf bound_ctrl:1
	v_cvt_f32_i32_dpp v2, v3 row_shl:2 row_mask:0xf bank_mask:0xf bound_ctrl:1
	;; [unrolled: 1-line block ×4, first 2 shown]
	v_add_f32_e32 v1, v4, v1
	v_add_f32_e32 v8, v8, v15
	;; [unrolled: 1-line block ×5, first 2 shown]
	ds_bpermute_b32 v11, v57, v8
	ds_bpermute_b32 v5, v57, v0
	;; [unrolled: 1-line block ×5, first 2 shown]
	s_waitcnt lgkmcnt(4)
	v_add_f32_e32 v6, v8, v11
	s_waitcnt lgkmcnt(3)
	v_add_f32_e32 v4, v0, v5
	;; [unrolled: 2-line block ×3, first 2 shown]
	ds_bpermute_b32 v14, v68, v17
	ds_bpermute_b32 v13, v68, v12
	;; [unrolled: 1-line block ×6, first 2 shown]
	s_and_saveexec_b64 s[22:23], s[0:1]
	s_cbranch_execz .LBB367_12
; %bb.35:                               ;   in Loop: Header=BB367_13 Depth=1
	s_and_b64 vcc, exec, s[10:11]
	s_cbranch_vccz .LBB367_46
; %bb.36:                               ;   in Loop: Header=BB367_13 Depth=1
	v_mul_hi_u32 v0, v58, v69
	v_mul_lo_u32 v0, v0, s18
	v_sub_u32_e32 v0, v58, v0
	v_subrev_u32_e32 v1, s18, v0
	v_cmp_le_u32_e32 vcc, s18, v0
	v_or_b32_e32 v8, 1, v58
	v_mov_b32_e32 v31, v61
	v_cndmask_b32_e32 v0, v0, v1, vcc
	v_subrev_u32_e32 v1, s18, v0
	v_cmp_le_u32_e32 vcc, s18, v0
	v_mov_b32_e32 v33, v61
	v_mov_b32_e32 v35, v61
	v_cndmask_b32_e32 v60, v0, v1, vcc
	v_mul_hi_u32 v0, v8, v69
	v_mul_lo_u32 v0, v0, s18
	v_sub_u32_e32 v0, v8, v0
	v_subrev_u32_e32 v1, s18, v0
	v_cmp_le_u32_e32 vcc, s18, v0
	v_lshl_add_u64 v[26:27], v[60:61], 1, s[4:5]
	v_add_u32_e32 v30, s33, v60
	v_cndmask_b32_e32 v0, v0, v1, vcc
	v_subrev_u32_e32 v1, s18, v0
	v_cmp_le_u32_e32 vcc, s18, v0
	v_add_u32_e32 v34, s34, v60
	v_add_u32_e32 v60, s35, v60
	v_cndmask_b32_e32 v0, v0, v1, vcc
	v_mov_b32_e32 v1, v61
	v_add_u32_e32 v32, s33, v0
	v_add_u32_e32 v36, s34, v0
	v_mov_b32_e32 v37, v61
	v_lshl_add_u64 v[38:39], v[60:61], 1, s[4:5]
	v_add_u32_e32 v60, s35, v0
	v_lshl_add_u64 v[28:29], v[0:1], 1, s[4:5]
	v_lshl_add_u64 v[30:31], v[30:31], 1, s[4:5]
	v_lshl_add_u64 v[32:33], v[32:33], 1, s[4:5]
	v_lshl_add_u64 v[34:35], v[34:35], 1, s[4:5]
	v_lshl_add_u64 v[36:37], v[36:37], 1, s[4:5]
	v_lshl_add_u64 v[40:41], v[60:61], 1, s[4:5]
	global_load_ushort v0, v[26:27], off
	global_load_ushort v24, v[28:29], off
	;; [unrolled: 1-line block ×8, first 2 shown]
	v_mov_b32_e32 v59, v61
	s_cbranch_execnz .LBB367_38
.LBB367_37:                             ;   in Loop: Header=BB367_13 Depth=1
	v_mov_b32_e32 v59, v61
	s_waitcnt vmcnt(7)
	v_mov_b32_e32 v0, 0
	v_mov_b32_e32 v8, v71
	s_waitcnt vmcnt(6)
	v_mov_b32_e32 v24, 0
	s_waitcnt vmcnt(5)
	;; [unrolled: 2-line block ×7, first 2 shown]
	v_mov_b32_e32 v11, 0
.LBB367_38:                             ;   in Loop: Header=BB367_13 Depth=1
	s_waitcnt lgkmcnt(7)
	v_add_f32_e32 v1, v25, v22
	v_mul_f32_e32 v1, s26, v1
	s_waitcnt vmcnt(7)
	v_fma_mixlo_f16 v22, s27, v1, v0 op_sel_hi:[0,0,1]
	v_lshl_add_u64 v[0:1], v[58:59], 1, s[6:7]
	v_cmp_gt_u32_e32 vcc, s15, v8
	global_store_short v[0:1], v22, off
	s_and_saveexec_b64 s[24:25], vcc
	s_cbranch_execz .LBB367_40
; %bb.39:                               ;   in Loop: Header=BB367_13 Depth=1
	s_waitcnt lgkmcnt(6)
	v_add_f32_e32 v18, v21, v18
	v_mul_f32_e32 v18, s26, v18
	s_waitcnt vmcnt(7)
	v_fma_mixlo_f16 v18, s27, v18, v24 op_sel_hi:[0,0,1]
	global_store_short v[0:1], v18, off offset:2
.LBB367_40:                             ;   in Loop: Header=BB367_13 Depth=1
	s_or_b64 exec, exec, s[24:25]
	s_waitcnt lgkmcnt(5)
	v_add_f32_e32 v0, v17, v14
	v_mul_f32_e32 v0, s26, v0
	v_add_u32_e32 v60, s15, v58
	s_waitcnt vmcnt(6)
	v_fma_mixlo_f16 v14, s27, v0, v23 op_sel_hi:[0,0,1]
	v_lshl_add_u64 v[0:1], v[60:61], 1, s[6:7]
	global_store_short v[0:1], v14, off
	s_and_saveexec_b64 s[24:25], vcc
	s_cbranch_execz .LBB367_42
; %bb.41:                               ;   in Loop: Header=BB367_13 Depth=1
	s_waitcnt lgkmcnt(4)
	v_add_f32_e32 v0, v12, v13
	v_mul_f32_e32 v0, s26, v0
	s_waitcnt vmcnt(6)
	v_fma_mixlo_f16 v12, s27, v0, v20 op_sel_hi:[0,0,1]
	v_add_u32_e32 v0, s15, v8
	v_mov_b32_e32 v1, v61
	v_lshl_add_u64 v[0:1], v[0:1], 1, s[6:7]
	global_store_short v[0:1], v12, off
.LBB367_42:                             ;   in Loop: Header=BB367_13 Depth=1
	s_or_b64 exec, exec, s[24:25]
	s_waitcnt lgkmcnt(3)
	v_add_f32_e32 v0, v9, v10
	v_mul_f32_e32 v0, s26, v0
	v_add_u32_e32 v60, s15, v60
	s_waitcnt vmcnt(5)
	v_fma_mixlo_f16 v9, s27, v0, v19 op_sel_hi:[0,0,1]
	v_lshl_add_u64 v[0:1], v[60:61], 1, s[6:7]
	global_store_short v[0:1], v9, off
	s_and_saveexec_b64 s[24:25], vcc
	s_cbranch_execz .LBB367_44
; %bb.43:                               ;   in Loop: Header=BB367_13 Depth=1
	s_waitcnt lgkmcnt(2)
	v_add_f32_e32 v0, v6, v7
	v_mul_f32_e32 v0, s26, v0
	s_waitcnt vmcnt(5)
	v_fma_mixlo_f16 v6, s27, v0, v16 op_sel_hi:[0,0,1]
	v_add_u32_e32 v0, s31, v8
	v_mov_b32_e32 v1, v61
	v_lshl_add_u64 v[0:1], v[0:1], 1, s[6:7]
	global_store_short v[0:1], v6, off
.LBB367_44:                             ;   in Loop: Header=BB367_13 Depth=1
	s_or_b64 exec, exec, s[24:25]
	s_waitcnt lgkmcnt(1)
	v_add_f32_e32 v0, v4, v5
	v_mul_f32_e32 v0, s26, v0
	v_add_u32_e32 v60, s15, v60
	s_waitcnt vmcnt(4)
	v_fma_mixlo_f16 v4, s27, v0, v15 op_sel_hi:[0,0,1]
	v_lshl_add_u64 v[0:1], v[60:61], 1, s[6:7]
	global_store_short v[0:1], v4, off
	s_and_b64 exec, exec, vcc
	s_cbranch_execz .LBB367_12
; %bb.45:                               ;   in Loop: Header=BB367_13 Depth=1
	s_waitcnt lgkmcnt(0)
	v_add_f32_e32 v0, v2, v3
	v_mul_f32_e32 v0, s26, v0
	v_add_u32_e32 v60, s19, v8
	s_waitcnt vmcnt(4)
	v_fma_mixlo_f16 v2, s27, v0, v11 op_sel_hi:[0,0,1]
	v_lshl_add_u64 v[0:1], v[60:61], 1, s[6:7]
	global_store_short v[0:1], v2, off
	s_branch .LBB367_12
.LBB367_46:                             ;   in Loop: Header=BB367_13 Depth=1
                                        ; implicit-def: $vgpr11
                                        ; implicit-def: $vgpr15
                                        ; implicit-def: $vgpr16
                                        ; implicit-def: $vgpr19
                                        ; implicit-def: $vgpr20
                                        ; implicit-def: $vgpr23
                                        ; implicit-def: $vgpr24
                                        ; implicit-def: $vgpr0
                                        ; implicit-def: $vgpr8
	s_branch .LBB367_37
.LBB367_47:
	s_endpgm
	.section	.rodata,"a",@progbits
	.p2align	6, 0x0
	.amdhsa_kernel _Z13wvSplitKQ_hf_I6__halfN3c1015Float8_e4m3fnuzELi32ELi2ELi16ELi16ELi1ELi4EEviiiiiiPKT0_S5_PKT_PS6_PKfSB_ii
		.amdhsa_group_segment_fixed_size 65536
		.amdhsa_private_segment_fixed_size 0
		.amdhsa_kernarg_size 80
		.amdhsa_user_sgpr_count 2
		.amdhsa_user_sgpr_dispatch_ptr 0
		.amdhsa_user_sgpr_queue_ptr 0
		.amdhsa_user_sgpr_kernarg_segment_ptr 1
		.amdhsa_user_sgpr_dispatch_id 0
		.amdhsa_user_sgpr_kernarg_preload_length 0
		.amdhsa_user_sgpr_kernarg_preload_offset 0
		.amdhsa_user_sgpr_private_segment_size 0
		.amdhsa_uses_dynamic_stack 0
		.amdhsa_enable_private_segment 0
		.amdhsa_system_sgpr_workgroup_id_x 1
		.amdhsa_system_sgpr_workgroup_id_y 0
		.amdhsa_system_sgpr_workgroup_id_z 0
		.amdhsa_system_sgpr_workgroup_info 0
		.amdhsa_system_vgpr_workitem_id 1
		.amdhsa_next_free_vgpr 72
		.amdhsa_next_free_sgpr 37
		.amdhsa_accum_offset 72
		.amdhsa_reserve_vcc 1
		.amdhsa_float_round_mode_32 0
		.amdhsa_float_round_mode_16_64 0
		.amdhsa_float_denorm_mode_32 3
		.amdhsa_float_denorm_mode_16_64 3
		.amdhsa_dx10_clamp 1
		.amdhsa_ieee_mode 1
		.amdhsa_fp16_overflow 0
		.amdhsa_tg_split 0
		.amdhsa_exception_fp_ieee_invalid_op 0
		.amdhsa_exception_fp_denorm_src 0
		.amdhsa_exception_fp_ieee_div_zero 0
		.amdhsa_exception_fp_ieee_overflow 0
		.amdhsa_exception_fp_ieee_underflow 0
		.amdhsa_exception_fp_ieee_inexact 0
		.amdhsa_exception_int_div_zero 0
	.end_amdhsa_kernel
	.section	.text._Z13wvSplitKQ_hf_I6__halfN3c1015Float8_e4m3fnuzELi32ELi2ELi16ELi16ELi1ELi4EEviiiiiiPKT0_S5_PKT_PS6_PKfSB_ii,"axG",@progbits,_Z13wvSplitKQ_hf_I6__halfN3c1015Float8_e4m3fnuzELi32ELi2ELi16ELi16ELi1ELi4EEviiiiiiPKT0_S5_PKT_PS6_PKfSB_ii,comdat
.Lfunc_end367:
	.size	_Z13wvSplitKQ_hf_I6__halfN3c1015Float8_e4m3fnuzELi32ELi2ELi16ELi16ELi1ELi4EEviiiiiiPKT0_S5_PKT_PS6_PKfSB_ii, .Lfunc_end367-_Z13wvSplitKQ_hf_I6__halfN3c1015Float8_e4m3fnuzELi32ELi2ELi16ELi16ELi1ELi4EEviiiiiiPKT0_S5_PKT_PS6_PKfSB_ii
                                        ; -- End function
	.section	.AMDGPU.csdata,"",@progbits
; Kernel info:
; codeLenInByte = 3124
; NumSgprs: 43
; NumVgprs: 72
; NumAgprs: 0
; TotalNumVgprs: 72
; ScratchSize: 0
; MemoryBound: 1
; FloatMode: 240
; IeeeMode: 1
; LDSByteSize: 65536 bytes/workgroup (compile time only)
; SGPRBlocks: 5
; VGPRBlocks: 8
; NumSGPRsForWavesPerEU: 43
; NumVGPRsForWavesPerEU: 72
; AccumOffset: 72
; Occupancy: 2
; WaveLimiterHint : 0
; COMPUTE_PGM_RSRC2:SCRATCH_EN: 0
; COMPUTE_PGM_RSRC2:USER_SGPR: 2
; COMPUTE_PGM_RSRC2:TRAP_HANDLER: 0
; COMPUTE_PGM_RSRC2:TGID_X_EN: 1
; COMPUTE_PGM_RSRC2:TGID_Y_EN: 0
; COMPUTE_PGM_RSRC2:TGID_Z_EN: 0
; COMPUTE_PGM_RSRC2:TIDIG_COMP_CNT: 1
; COMPUTE_PGM_RSRC3_GFX90A:ACCUM_OFFSET: 17
; COMPUTE_PGM_RSRC3_GFX90A:TG_SPLIT: 0
	.section	.text._Z17wvSplitKQ_hf_sml_I6__halfN3c1015Float8_e4m3fnuzELi64ELi2ELi16ELi16ELi1ELi4EEviiiiiiPKT0_S5_PKT_PS6_PKfSB_ii,"axG",@progbits,_Z17wvSplitKQ_hf_sml_I6__halfN3c1015Float8_e4m3fnuzELi64ELi2ELi16ELi16ELi1ELi4EEviiiiiiPKT0_S5_PKT_PS6_PKfSB_ii,comdat
	.protected	_Z17wvSplitKQ_hf_sml_I6__halfN3c1015Float8_e4m3fnuzELi64ELi2ELi16ELi16ELi1ELi4EEviiiiiiPKT0_S5_PKT_PS6_PKfSB_ii ; -- Begin function _Z17wvSplitKQ_hf_sml_I6__halfN3c1015Float8_e4m3fnuzELi64ELi2ELi16ELi16ELi1ELi4EEviiiiiiPKT0_S5_PKT_PS6_PKfSB_ii
	.globl	_Z17wvSplitKQ_hf_sml_I6__halfN3c1015Float8_e4m3fnuzELi64ELi2ELi16ELi16ELi1ELi4EEviiiiiiPKT0_S5_PKT_PS6_PKfSB_ii
	.p2align	8
	.type	_Z17wvSplitKQ_hf_sml_I6__halfN3c1015Float8_e4m3fnuzELi64ELi2ELi16ELi16ELi1ELi4EEviiiiiiPKT0_S5_PKT_PS6_PKfSB_ii,@function
_Z17wvSplitKQ_hf_sml_I6__halfN3c1015Float8_e4m3fnuzELi64ELi2ELi16ELi16ELi1ELi4EEviiiiiiPKT0_S5_PKT_PS6_PKfSB_ii: ; @_Z17wvSplitKQ_hf_sml_I6__halfN3c1015Float8_e4m3fnuzELi64ELi2ELi16ELi16ELi1ELi4EEviiiiiiPKT0_S5_PKT_PS6_PKfSB_ii
; %bb.0:
	s_load_dwordx4 s[4:7], s[0:1], 0x0
	s_load_dwordx2 s[12:13], s[0:1], 0x10
	s_load_dwordx4 s[8:11], s[0:1], 0x38
	s_load_dwordx2 s[14:15], s[0:1], 0x28
	v_and_b32_e32 v2, 0x3ff, v0
	v_bfe_u32 v3, v0, 10, 10
	v_lshlrev_b32_e32 v56, 4, v2
	s_waitcnt lgkmcnt(0)
	s_lshl_b32 s3, s5, 2
	v_lshl_add_u32 v4, v3, 10, v56
	s_min_u32 s3, s3, 0x10000
	v_cmp_gt_u32_e32 vcc, s3, v4
	s_and_saveexec_b64 s[16:17], vcc
	s_cbranch_execz .LBB368_3
; %bb.1:
	s_load_dwordx2 s[18:19], s[0:1], 0x20
	v_mov_b32_e32 v1, 0
	v_lshlrev_b32_e32 v0, 10, v3
	v_mov_b32_e32 v57, v1
	v_lshl_add_u64 v[0:1], v[0:1], 0, v[56:57]
	s_waitcnt lgkmcnt(0)
	v_lshl_add_u64 v[0:1], s[18:19], 0, v[0:1]
	s_mov_b64 s[18:19], 0
	s_mov_b64 s[20:21], 0x4000
.LBB368_2:                              ; =>This Inner Loop Header: Depth=1
	global_load_dwordx4 v[6:9], v[0:1], off
	v_lshl_add_u64 v[0:1], v[0:1], 0, s[20:21]
	s_waitcnt vmcnt(0)
	ds_write_b128 v4, v[6:9]
	v_add_u32_e32 v4, 0x4000, v4
	v_cmp_le_u32_e32 vcc, s3, v4
	s_or_b64 s[18:19], vcc, s[18:19]
	s_andn2_b64 exec, exec, s[18:19]
	s_cbranch_execnz .LBB368_2
.LBB368_3:
	s_or_b64 exec, exec, s[16:17]
	s_load_dwordx2 s[20:21], s[0:1], 0x48
	;;#ASMSTART
	s_waitcnt vmcnt(0)
	;;#ASMEND
	s_waitcnt lgkmcnt(0)
	s_barrier
	v_cmp_gt_u32_e32 vcc, s20, v3
	s_and_saveexec_b64 s[16:17], vcc
	s_cbranch_execz .LBB368_25
; %bb.4:
	s_mul_i32 s2, s2, s20
	v_add_lshl_u32 v58, s2, v3, 1
	v_cmp_gt_u32_e32 vcc, s7, v58
	s_and_b64 exec, exec, vcc
	s_cbranch_execz .LBB368_25
; %bb.5:
	v_mbcnt_lo_u32_b32 v0, -1, 0
	v_mbcnt_hi_u32_b32 v0, -1, v0
	s_cmp_lg_u32 s4, 0
	v_and_b32_e32 v1, 63, v0
	s_cselect_b64 s[2:3], -1, 0
	s_add_i32 s26, s4, -16
	s_add_i32 s27, s7, -1
	v_cmp_lt_u32_e32 vcc, 43, v1
	s_mul_i32 s20, s20, s21
	s_cmp_lg_u64 s[14:15], 0
	v_cndmask_b32_e64 v3, 20, 0, vcc
	v_cmp_lt_u32_e32 vcc, 23, v1
	s_load_dword s24, s[8:9], 0x0
	s_load_dword s25, s[10:11], 0x0
	s_load_dwordx2 s[16:17], s[0:1], 0x18
	s_load_dwordx2 s[18:19], s[0:1], 0x30
	v_cndmask_b32_e64 v1, 40, 0, vcc
	s_cselect_b64 s[10:11], -1, 0
	s_lshl_b32 s28, s20, 1
	s_abs_i32 s20, s13
	v_add_lshl_u32 v57, v3, v0, 2
	v_add_lshl_u32 v68, v1, v0, 2
	v_cvt_f32_u32_e32 v0, s12
	v_cvt_f32_u32_e32 v1, s20
	s_sub_i32 s21, 0, s12
	v_cmp_eq_u32_e64 s[0:1], 0, v2
	v_rcp_iflag_f32_e32 v0, v0
	v_rcp_iflag_f32_e32 v1, v1
	s_lshl_b32 s29, s7, 1
	s_mov_b64 s[8:9], 0
	v_mul_f32_e32 v0, 0x4f7ffffe, v0
	v_mul_f32_e32 v1, 0x4f7ffffe, v1
	v_cvt_u32_f32_e32 v0, v0
	v_cvt_u32_f32_e32 v1, v1
	s_mul_i32 s13, s7, 3
	v_mov_b32_e32 v61, 0
	v_mul_lo_u32 v2, s21, v0
	s_sub_i32 s21, 0, s20
	v_readfirstlane_b32 s22, v1
	s_mul_i32 s21, s21, s22
	s_mul_hi_u32 s21, s22, s21
	s_add_i32 s22, s22, s21
	s_sub_i32 s21, 1, s20
	s_cmp_lt_u32 s20, 2
	s_cselect_b32 s21, s21, 1
	s_sub_i32 s23, s21, s20
	s_cmp_ge_u32 s21, s20
	s_cselect_b32 s30, s23, s21
	s_lshr_b32 s21, s22, 31
	s_mul_i32 s21, s21, s20
	s_sub_i32 s21, 2, s21
	s_sub_i32 s23, s21, s20
	s_cmp_ge_u32 s21, s20
	s_cselect_b32 s21, s23, s21
	s_sub_i32 s23, s21, s20
	s_cmp_ge_u32 s21, s20
	s_cselect_b32 s31, s23, s21
	s_mul_hi_u32 s21, s22, 3
	s_mul_i32 s21, s21, s20
	s_sub_i32 s21, 3, s21
	s_sub_i32 s22, s21, s20
	s_cmp_ge_u32 s21, s20
	s_cselect_b32 s21, s22, s21
	s_sub_i32 s22, s21, s20
	v_mul_hi_u32 v2, v0, v2
	s_cmp_ge_u32 s21, s20
	v_add_u32_e32 v69, v0, v2
	s_cselect_b32 s33, s22, s21
	v_mad_u64_u32 v[62:63], s[20:21], s5, 3, v[56:57]
	v_cndmask_b32_e64 v0, 0, 1, s[2:3]
	s_mul_i32 s30, s30, s12
	s_mul_i32 s31, s31, s12
	;; [unrolled: 1-line block ×3, first 2 shown]
	v_lshl_add_u32 v63, s5, 1, v56
	v_add_u32_e32 v70, s5, v56
	v_cmp_ne_u32_e64 s[2:3], 1, v0
	s_branch .LBB368_7
.LBB368_6:                              ;   in Loop: Header=BB368_7 Depth=1
	s_or_b64 exec, exec, s[20:21]
	v_add_u32_e32 v58, s28, v58
	v_cmp_le_u32_e32 vcc, s7, v58
	s_or_b64 s[8:9], vcc, s[8:9]
	s_andn2_b64 exec, exec, s[8:9]
	s_cbranch_execz .LBB368_25
.LBB368_7:                              ; =>This Loop Header: Depth=1
                                        ;     Child Loop BB368_10 Depth 2
	s_and_b64 vcc, exec, s[2:3]
	v_or_b32_e32 v71, 1, v58
	v_mov_b32_e32 v31, v61
	v_mov_b32_e32 v30, v61
	;; [unrolled: 1-line block ×9, first 2 shown]
	s_waitcnt lgkmcnt(0)
	v_mov_b32_e32 v22, v61
	v_mov_b32_e32 v21, v61
	;; [unrolled: 1-line block ×11, first 2 shown]
	s_waitcnt vmcnt(4)
	v_mov_b32_e32 v11, v61
	v_mov_b32_e32 v10, v61
	;; [unrolled: 1-line block ×12, first 2 shown]
	s_cbranch_vccnz .LBB368_12
; %bb.8:                                ;   in Loop: Header=BB368_7 Depth=1
	v_min_u32_e32 v0, s27, v58
	v_mul_lo_u32 v64, v0, s6
	v_or_b32_e32 v0, 1, v58
	v_min_u32_e32 v0, s27, v0
	v_mov_b32_e32 v4, 0
	v_mov_b32_e32 v65, v61
	v_mul_lo_u32 v66, v0, s6
	v_mov_b32_e32 v67, v61
	s_mov_b32 s5, 0
	v_mov_b32_e32 v5, v4
	v_mov_b32_e32 v6, v4
	v_mov_b32_e32 v7, v4
	v_mov_b32_e32 v0, v4
	v_mov_b32_e32 v1, v4
	v_mov_b32_e32 v2, v4
	v_mov_b32_e32 v3, v4
	v_mov_b32_e32 v8, v4
	v_mov_b32_e32 v9, v4
	v_mov_b32_e32 v10, v4
	v_mov_b32_e32 v11, v4
	v_mov_b32_e32 v12, v4
	v_mov_b32_e32 v13, v4
	v_mov_b32_e32 v14, v4
	v_mov_b32_e32 v15, v4
	v_mov_b32_e32 v16, v4
	v_mov_b32_e32 v17, v4
	v_mov_b32_e32 v18, v4
	v_mov_b32_e32 v19, v4
	v_mov_b32_e32 v20, v4
	v_mov_b32_e32 v21, v4
	v_mov_b32_e32 v22, v4
	v_mov_b32_e32 v23, v4
	v_mov_b32_e32 v24, v4
	v_mov_b32_e32 v25, v4
	v_mov_b32_e32 v26, v4
	v_mov_b32_e32 v27, v4
	v_mov_b32_e32 v28, v4
	v_mov_b32_e32 v29, v4
	v_mov_b32_e32 v30, v4
	v_mov_b32_e32 v31, v4
	s_branch .LBB368_10
.LBB368_9:                              ;   in Loop: Header=BB368_10 Depth=2
	s_or_b64 exec, exec, s[20:21]
	s_waitcnt vmcnt(1) lgkmcnt(3)
	v_mfma_f32_16x16x32_fp8_fp8 v[28:31], v[44:45], v[36:37], v[28:31]
	s_addk_i32 s5, 0x400
	s_cmp_ge_u32 s5, s4
	s_waitcnt vmcnt(0)
	v_mfma_f32_16x16x32_fp8_fp8 v[24:27], v[44:45], v[32:33], v[24:27]
	s_waitcnt lgkmcnt(2)
	v_mfma_f32_16x16x32_fp8_fp8 v[20:23], v[48:49], v[36:37], v[20:23]
	v_mfma_f32_16x16x32_fp8_fp8 v[16:19], v[48:49], v[32:33], v[16:19]
	s_waitcnt lgkmcnt(1)
	v_mfma_f32_16x16x32_fp8_fp8 v[12:15], v[52:53], v[36:37], v[12:15]
	;; [unrolled: 3-line block ×3, first 2 shown]
	v_mfma_f32_16x16x32_fp8_fp8 v[4:7], v[40:41], v[32:33], v[4:7]
	v_mfma_f32_16x16x32_fp8_fp8 v[28:31], v[46:47], v[38:39], v[28:31]
	;; [unrolled: 1-line block ×9, first 2 shown]
	s_cbranch_scc1 .LBB368_12
.LBB368_10:                             ;   Parent Loop BB368_7 Depth=1
                                        ; =>  This Inner Loop Header: Depth=2
	v_add_u32_e32 v59, s5, v56
	v_min_u32_e32 v60, s26, v59
	s_waitcnt lgkmcnt(0)
	v_lshl_add_u64 v[32:33], s[16:17], 0, v[60:61]
	v_lshl_add_u64 v[40:41], v[32:33], 0, v[64:65]
	;; [unrolled: 1-line block ×3, first 2 shown]
	global_load_dwordx4 v[36:39], v[40:41], off nt
	global_load_dwordx4 v[32:35], v[42:43], off nt
	v_mov_b64_e32 v[44:45], 0
	v_cmp_gt_u32_e32 vcc, s4, v59
	v_mov_b64_e32 v[46:47], v[44:45]
	v_mov_b64_e32 v[48:49], v[44:45]
	;; [unrolled: 1-line block ×7, first 2 shown]
	s_and_saveexec_b64 s[20:21], vcc
	s_cbranch_execz .LBB368_9
; %bb.11:                               ;   in Loop: Header=BB368_10 Depth=2
	v_add_u32_e32 v40, s5, v70
	ds_read_b128 v[44:47], v59
	ds_read_b128 v[48:51], v40
	v_add_u32_e32 v40, s5, v63
	v_add_u32_e32 v41, s5, v62
	ds_read_b128 v[52:55], v40
	ds_read_b128 v[40:43], v41
	s_branch .LBB368_9
.LBB368_12:                             ;   in Loop: Header=BB368_7 Depth=1
	v_cvt_i32_f32_e32 v29, v29
	v_cvt_i32_f32_e32 v30, v30
	;; [unrolled: 1-line block ×4, first 2 shown]
	v_cvt_f32_i32_dpp v29, v29 row_shl:1 row_mask:0xf bank_mask:0xf bound_ctrl:1
	v_cvt_f32_i32_dpp v30, v30 row_shl:2 row_mask:0xf bank_mask:0xf bound_ctrl:1
	v_cvt_i32_f32_e32 v26, v26
	v_cvt_i32_f32_e32 v27, v27
	v_cvt_f32_i32_dpp v31, v31 row_shl:3 row_mask:0xf bank_mask:0xf bound_ctrl:1
	v_add_f32_e32 v28, v28, v29
	v_add_f32_e32 v28, v28, v30
	v_cvt_f32_i32_dpp v30, v25 row_shl:1 row_mask:0xf bank_mask:0xf bound_ctrl:1
	v_cvt_f32_i32_dpp v26, v26 row_shl:2 row_mask:0xf bank_mask:0xf bound_ctrl:1
	;; [unrolled: 1-line block ×3, first 2 shown]
	v_add_f32_e32 v28, v28, v31
	ds_bpermute_b32 v29, v57, v28
	v_add_f32_e32 v24, v24, v30
	v_add_f32_e32 v24, v24, v26
	v_cvt_i32_f32_e32 v21, v21
	v_add_f32_e32 v24, v24, v27
	v_cvt_i32_f32_e32 v27, v22
	v_cvt_i32_f32_e32 v23, v23
	s_waitcnt lgkmcnt(0)
	v_add_f32_e32 v25, v28, v29
	v_cvt_f32_i32_dpp v28, v21 row_shl:1 row_mask:0xf bank_mask:0xf bound_ctrl:1
	v_cvt_f32_i32_dpp v27, v27 row_shl:2 row_mask:0xf bank_mask:0xf bound_ctrl:1
	v_cvt_f32_i32_dpp v23, v23 row_shl:3 row_mask:0xf bank_mask:0xf bound_ctrl:1
	ds_bpermute_b32 v26, v57, v24
	v_add_f32_e32 v20, v20, v28
	v_add_f32_e32 v20, v20, v27
	v_cvt_i32_f32_e32 v17, v17
	v_cvt_i32_f32_e32 v13, v13
	v_add_f32_e32 v20, v20, v23
	v_cvt_i32_f32_e32 v23, v18
	v_cvt_i32_f32_e32 v14, v14
	;; [unrolled: 1-line block ×4, first 2 shown]
	s_waitcnt lgkmcnt(0)
	v_add_f32_e32 v21, v24, v26
	v_cvt_f32_i32_dpp v26, v17 row_shl:1 row_mask:0xf bank_mask:0xf bound_ctrl:1
	v_cvt_f32_i32_dpp v13, v13 row_shl:1 row_mask:0xf bank_mask:0xf bound_ctrl:1
	;; [unrolled: 1-line block ×4, first 2 shown]
	ds_bpermute_b32 v24, v57, v20
	v_cvt_f32_i32_dpp v19, v19 row_shl:3 row_mask:0xf bank_mask:0xf bound_ctrl:1
	v_cvt_f32_i32_dpp v15, v15 row_shl:3 row_mask:0xf bank_mask:0xf bound_ctrl:1
	v_cvt_i32_f32_e32 v1, v1
	v_cvt_i32_f32_e32 v2, v2
	v_add_f32_e32 v16, v16, v26
	v_add_f32_e32 v12, v12, v13
	;; [unrolled: 1-line block ×6, first 2 shown]
	v_cvt_f32_i32_dpp v1, v1 row_shl:1 row_mask:0xf bank_mask:0xf bound_ctrl:1
	s_waitcnt lgkmcnt(0)
	v_add_f32_e32 v17, v20, v24
	ds_bpermute_b32 v19, v57, v16
	ds_bpermute_b32 v20, v57, v15
	v_cvt_f32_i32_dpp v2, v2 row_shl:2 row_mask:0xf bank_mask:0xf bound_ctrl:1
	v_cvt_i32_f32_e32 v3, v3
	v_cvt_i32_f32_e32 v23, v9
	v_add_f32_e32 v0, v0, v1
	v_add_f32_e32 v0, v0, v2
	v_cvt_f32_i32_dpp v1, v3 row_shl:3 row_mask:0xf bank_mask:0xf bound_ctrl:1
	v_cvt_i32_f32_e32 v2, v5
	s_waitcnt lgkmcnt(1)
	v_add_f32_e32 v12, v16, v19
	s_waitcnt lgkmcnt(0)
	v_add_f32_e32 v9, v15, v20
	v_cvt_f32_i32_dpp v15, v23 row_shl:1 row_mask:0xf bank_mask:0xf bound_ctrl:1
	v_cvt_i32_f32_e32 v16, v10
	v_cvt_i32_f32_e32 v3, v6
	;; [unrolled: 1-line block ×4, first 2 shown]
	v_add_f32_e32 v0, v0, v1
	v_cvt_f32_i32_dpp v1, v2 row_shl:1 row_mask:0xf bank_mask:0xf bound_ctrl:1
	v_add_f32_e32 v8, v8, v15
	v_cvt_f32_i32_dpp v15, v16 row_shl:2 row_mask:0xf bank_mask:0xf bound_ctrl:1
	v_cvt_f32_i32_dpp v2, v3 row_shl:2 row_mask:0xf bank_mask:0xf bound_ctrl:1
	;; [unrolled: 1-line block ×4, first 2 shown]
	v_add_f32_e32 v1, v4, v1
	v_add_f32_e32 v8, v8, v15
	;; [unrolled: 1-line block ×5, first 2 shown]
	ds_bpermute_b32 v11, v57, v8
	ds_bpermute_b32 v5, v57, v0
	;; [unrolled: 1-line block ×5, first 2 shown]
	s_waitcnt lgkmcnt(4)
	v_add_f32_e32 v6, v8, v11
	s_waitcnt lgkmcnt(3)
	v_add_f32_e32 v4, v0, v5
	;; [unrolled: 2-line block ×3, first 2 shown]
	ds_bpermute_b32 v14, v68, v17
	ds_bpermute_b32 v13, v68, v12
	;; [unrolled: 1-line block ×6, first 2 shown]
	s_and_saveexec_b64 s[20:21], s[0:1]
	s_cbranch_execz .LBB368_6
; %bb.13:                               ;   in Loop: Header=BB368_7 Depth=1
	s_and_b64 vcc, exec, s[10:11]
	s_cbranch_vccz .LBB368_24
; %bb.14:                               ;   in Loop: Header=BB368_7 Depth=1
	v_mul_hi_u32 v0, v58, v69
	v_mul_lo_u32 v0, v0, s12
	v_sub_u32_e32 v0, v58, v0
	v_subrev_u32_e32 v1, s12, v0
	v_cmp_le_u32_e32 vcc, s12, v0
	v_or_b32_e32 v8, 1, v58
	v_mov_b32_e32 v31, v61
	v_cndmask_b32_e32 v0, v0, v1, vcc
	v_subrev_u32_e32 v1, s12, v0
	v_cmp_le_u32_e32 vcc, s12, v0
	v_mov_b32_e32 v33, v61
	v_mov_b32_e32 v35, v61
	v_cndmask_b32_e32 v60, v0, v1, vcc
	v_mul_hi_u32 v0, v8, v69
	v_mul_lo_u32 v0, v0, s12
	v_sub_u32_e32 v0, v8, v0
	v_subrev_u32_e32 v1, s12, v0
	v_cmp_le_u32_e32 vcc, s12, v0
	v_lshl_add_u64 v[26:27], v[60:61], 1, s[14:15]
	v_add_u32_e32 v30, s30, v60
	v_cndmask_b32_e32 v0, v0, v1, vcc
	v_subrev_u32_e32 v1, s12, v0
	v_cmp_le_u32_e32 vcc, s12, v0
	v_add_u32_e32 v34, s31, v60
	v_add_u32_e32 v60, s33, v60
	v_cndmask_b32_e32 v0, v0, v1, vcc
	v_mov_b32_e32 v1, v61
	v_add_u32_e32 v32, s30, v0
	v_add_u32_e32 v36, s31, v0
	v_mov_b32_e32 v37, v61
	v_lshl_add_u64 v[38:39], v[60:61], 1, s[14:15]
	v_add_u32_e32 v60, s33, v0
	v_lshl_add_u64 v[28:29], v[0:1], 1, s[14:15]
	v_lshl_add_u64 v[30:31], v[30:31], 1, s[14:15]
	;; [unrolled: 1-line block ×6, first 2 shown]
	global_load_ushort v0, v[26:27], off
	global_load_ushort v24, v[28:29], off
	;; [unrolled: 1-line block ×8, first 2 shown]
	v_mov_b32_e32 v59, v61
	s_cbranch_execnz .LBB368_16
.LBB368_15:                             ;   in Loop: Header=BB368_7 Depth=1
	v_mov_b32_e32 v59, v61
	s_waitcnt vmcnt(7)
	v_mov_b32_e32 v0, 0
	v_mov_b32_e32 v8, v71
	s_waitcnt vmcnt(6)
	v_mov_b32_e32 v24, 0
	s_waitcnt vmcnt(5)
	;; [unrolled: 2-line block ×7, first 2 shown]
	v_mov_b32_e32 v11, 0
.LBB368_16:                             ;   in Loop: Header=BB368_7 Depth=1
	s_waitcnt lgkmcnt(7)
	v_add_f32_e32 v1, v25, v22
	v_mul_f32_e32 v1, s24, v1
	s_waitcnt vmcnt(7)
	v_fma_mixlo_f16 v22, s25, v1, v0 op_sel_hi:[0,0,1]
	v_lshl_add_u64 v[0:1], v[58:59], 1, s[18:19]
	v_cmp_gt_u32_e32 vcc, s7, v8
	global_store_short v[0:1], v22, off
	s_and_saveexec_b64 s[22:23], vcc
	s_cbranch_execz .LBB368_18
; %bb.17:                               ;   in Loop: Header=BB368_7 Depth=1
	s_waitcnt lgkmcnt(6)
	v_add_f32_e32 v18, v21, v18
	v_mul_f32_e32 v18, s24, v18
	s_waitcnt vmcnt(7)
	v_fma_mixlo_f16 v18, s25, v18, v24 op_sel_hi:[0,0,1]
	global_store_short v[0:1], v18, off offset:2
.LBB368_18:                             ;   in Loop: Header=BB368_7 Depth=1
	s_or_b64 exec, exec, s[22:23]
	s_waitcnt lgkmcnt(5)
	v_add_f32_e32 v0, v17, v14
	v_mul_f32_e32 v0, s24, v0
	v_add_u32_e32 v60, s7, v58
	s_waitcnt vmcnt(6)
	v_fma_mixlo_f16 v14, s25, v0, v23 op_sel_hi:[0,0,1]
	v_lshl_add_u64 v[0:1], v[60:61], 1, s[18:19]
	global_store_short v[0:1], v14, off
	s_and_saveexec_b64 s[22:23], vcc
	s_cbranch_execz .LBB368_20
; %bb.19:                               ;   in Loop: Header=BB368_7 Depth=1
	s_waitcnt lgkmcnt(4)
	v_add_f32_e32 v0, v12, v13
	v_mul_f32_e32 v0, s24, v0
	s_waitcnt vmcnt(6)
	v_fma_mixlo_f16 v12, s25, v0, v20 op_sel_hi:[0,0,1]
	v_add_u32_e32 v0, s7, v8
	v_mov_b32_e32 v1, v61
	v_lshl_add_u64 v[0:1], v[0:1], 1, s[18:19]
	global_store_short v[0:1], v12, off
.LBB368_20:                             ;   in Loop: Header=BB368_7 Depth=1
	s_or_b64 exec, exec, s[22:23]
	s_waitcnt lgkmcnt(3)
	v_add_f32_e32 v0, v9, v10
	v_mul_f32_e32 v0, s24, v0
	v_add_u32_e32 v60, s7, v60
	s_waitcnt vmcnt(5)
	v_fma_mixlo_f16 v9, s25, v0, v19 op_sel_hi:[0,0,1]
	v_lshl_add_u64 v[0:1], v[60:61], 1, s[18:19]
	global_store_short v[0:1], v9, off
	s_and_saveexec_b64 s[22:23], vcc
	s_cbranch_execz .LBB368_22
; %bb.21:                               ;   in Loop: Header=BB368_7 Depth=1
	s_waitcnt lgkmcnt(2)
	v_add_f32_e32 v0, v6, v7
	v_mul_f32_e32 v0, s24, v0
	s_waitcnt vmcnt(5)
	v_fma_mixlo_f16 v6, s25, v0, v16 op_sel_hi:[0,0,1]
	v_add_u32_e32 v0, s29, v8
	v_mov_b32_e32 v1, v61
	v_lshl_add_u64 v[0:1], v[0:1], 1, s[18:19]
	global_store_short v[0:1], v6, off
.LBB368_22:                             ;   in Loop: Header=BB368_7 Depth=1
	s_or_b64 exec, exec, s[22:23]
	s_waitcnt lgkmcnt(1)
	v_add_f32_e32 v0, v4, v5
	v_mul_f32_e32 v0, s24, v0
	v_add_u32_e32 v60, s7, v60
	s_waitcnt vmcnt(4)
	v_fma_mixlo_f16 v4, s25, v0, v15 op_sel_hi:[0,0,1]
	v_lshl_add_u64 v[0:1], v[60:61], 1, s[18:19]
	global_store_short v[0:1], v4, off
	s_and_b64 exec, exec, vcc
	s_cbranch_execz .LBB368_6
; %bb.23:                               ;   in Loop: Header=BB368_7 Depth=1
	s_waitcnt lgkmcnt(0)
	v_add_f32_e32 v0, v2, v3
	v_mul_f32_e32 v0, s24, v0
	v_add_u32_e32 v60, s13, v8
	s_waitcnt vmcnt(4)
	v_fma_mixlo_f16 v2, s25, v0, v11 op_sel_hi:[0,0,1]
	v_lshl_add_u64 v[0:1], v[60:61], 1, s[18:19]
	global_store_short v[0:1], v2, off
	s_branch .LBB368_6
.LBB368_24:                             ;   in Loop: Header=BB368_7 Depth=1
                                        ; implicit-def: $vgpr11
                                        ; implicit-def: $vgpr15
                                        ; implicit-def: $vgpr16
                                        ; implicit-def: $vgpr19
                                        ; implicit-def: $vgpr20
                                        ; implicit-def: $vgpr23
                                        ; implicit-def: $vgpr24
                                        ; implicit-def: $vgpr0
                                        ; implicit-def: $vgpr8
	s_branch .LBB368_15
.LBB368_25:
	s_endpgm
	.section	.rodata,"a",@progbits
	.p2align	6, 0x0
	.amdhsa_kernel _Z17wvSplitKQ_hf_sml_I6__halfN3c1015Float8_e4m3fnuzELi64ELi2ELi16ELi16ELi1ELi4EEviiiiiiPKT0_S5_PKT_PS6_PKfSB_ii
		.amdhsa_group_segment_fixed_size 65536
		.amdhsa_private_segment_fixed_size 0
		.amdhsa_kernarg_size 80
		.amdhsa_user_sgpr_count 2
		.amdhsa_user_sgpr_dispatch_ptr 0
		.amdhsa_user_sgpr_queue_ptr 0
		.amdhsa_user_sgpr_kernarg_segment_ptr 1
		.amdhsa_user_sgpr_dispatch_id 0
		.amdhsa_user_sgpr_kernarg_preload_length 0
		.amdhsa_user_sgpr_kernarg_preload_offset 0
		.amdhsa_user_sgpr_private_segment_size 0
		.amdhsa_uses_dynamic_stack 0
		.amdhsa_enable_private_segment 0
		.amdhsa_system_sgpr_workgroup_id_x 1
		.amdhsa_system_sgpr_workgroup_id_y 0
		.amdhsa_system_sgpr_workgroup_id_z 0
		.amdhsa_system_sgpr_workgroup_info 0
		.amdhsa_system_vgpr_workitem_id 1
		.amdhsa_next_free_vgpr 72
		.amdhsa_next_free_sgpr 34
		.amdhsa_accum_offset 72
		.amdhsa_reserve_vcc 1
		.amdhsa_float_round_mode_32 0
		.amdhsa_float_round_mode_16_64 0
		.amdhsa_float_denorm_mode_32 3
		.amdhsa_float_denorm_mode_16_64 3
		.amdhsa_dx10_clamp 1
		.amdhsa_ieee_mode 1
		.amdhsa_fp16_overflow 0
		.amdhsa_tg_split 0
		.amdhsa_exception_fp_ieee_invalid_op 0
		.amdhsa_exception_fp_denorm_src 0
		.amdhsa_exception_fp_ieee_div_zero 0
		.amdhsa_exception_fp_ieee_overflow 0
		.amdhsa_exception_fp_ieee_underflow 0
		.amdhsa_exception_fp_ieee_inexact 0
		.amdhsa_exception_int_div_zero 0
	.end_amdhsa_kernel
	.section	.text._Z17wvSplitKQ_hf_sml_I6__halfN3c1015Float8_e4m3fnuzELi64ELi2ELi16ELi16ELi1ELi4EEviiiiiiPKT0_S5_PKT_PS6_PKfSB_ii,"axG",@progbits,_Z17wvSplitKQ_hf_sml_I6__halfN3c1015Float8_e4m3fnuzELi64ELi2ELi16ELi16ELi1ELi4EEviiiiiiPKT0_S5_PKT_PS6_PKfSB_ii,comdat
.Lfunc_end368:
	.size	_Z17wvSplitKQ_hf_sml_I6__halfN3c1015Float8_e4m3fnuzELi64ELi2ELi16ELi16ELi1ELi4EEviiiiiiPKT0_S5_PKT_PS6_PKfSB_ii, .Lfunc_end368-_Z17wvSplitKQ_hf_sml_I6__halfN3c1015Float8_e4m3fnuzELi64ELi2ELi16ELi16ELi1ELi4EEviiiiiiPKT0_S5_PKT_PS6_PKfSB_ii
                                        ; -- End function
	.section	.AMDGPU.csdata,"",@progbits
; Kernel info:
; codeLenInByte = 2632
; NumSgprs: 40
; NumVgprs: 72
; NumAgprs: 0
; TotalNumVgprs: 72
; ScratchSize: 0
; MemoryBound: 0
; FloatMode: 240
; IeeeMode: 1
; LDSByteSize: 65536 bytes/workgroup (compile time only)
; SGPRBlocks: 4
; VGPRBlocks: 8
; NumSGPRsForWavesPerEU: 40
; NumVGPRsForWavesPerEU: 72
; AccumOffset: 72
; Occupancy: 4
; WaveLimiterHint : 0
; COMPUTE_PGM_RSRC2:SCRATCH_EN: 0
; COMPUTE_PGM_RSRC2:USER_SGPR: 2
; COMPUTE_PGM_RSRC2:TRAP_HANDLER: 0
; COMPUTE_PGM_RSRC2:TGID_X_EN: 1
; COMPUTE_PGM_RSRC2:TGID_Y_EN: 0
; COMPUTE_PGM_RSRC2:TGID_Z_EN: 0
; COMPUTE_PGM_RSRC2:TIDIG_COMP_CNT: 1
; COMPUTE_PGM_RSRC3_GFX90A:ACCUM_OFFSET: 17
; COMPUTE_PGM_RSRC3_GFX90A:TG_SPLIT: 0
	.section	.text._Z13wvSplitKQ_hf_I6__halfN3c1015Float8_e4m3fnuzELi64ELi2ELi16ELi16ELi1ELi4EEviiiiiiPKT0_S5_PKT_PS6_PKfSB_ii,"axG",@progbits,_Z13wvSplitKQ_hf_I6__halfN3c1015Float8_e4m3fnuzELi64ELi2ELi16ELi16ELi1ELi4EEviiiiiiPKT0_S5_PKT_PS6_PKfSB_ii,comdat
	.protected	_Z13wvSplitKQ_hf_I6__halfN3c1015Float8_e4m3fnuzELi64ELi2ELi16ELi16ELi1ELi4EEviiiiiiPKT0_S5_PKT_PS6_PKfSB_ii ; -- Begin function _Z13wvSplitKQ_hf_I6__halfN3c1015Float8_e4m3fnuzELi64ELi2ELi16ELi16ELi1ELi4EEviiiiiiPKT0_S5_PKT_PS6_PKfSB_ii
	.globl	_Z13wvSplitKQ_hf_I6__halfN3c1015Float8_e4m3fnuzELi64ELi2ELi16ELi16ELi1ELi4EEviiiiiiPKT0_S5_PKT_PS6_PKfSB_ii
	.p2align	8
	.type	_Z13wvSplitKQ_hf_I6__halfN3c1015Float8_e4m3fnuzELi64ELi2ELi16ELi16ELi1ELi4EEviiiiiiPKT0_S5_PKT_PS6_PKfSB_ii,@function
_Z13wvSplitKQ_hf_I6__halfN3c1015Float8_e4m3fnuzELi64ELi2ELi16ELi16ELi1ELi4EEviiiiiiPKT0_S5_PKT_PS6_PKfSB_ii: ; @_Z13wvSplitKQ_hf_I6__halfN3c1015Float8_e4m3fnuzELi64ELi2ELi16ELi16ELi1ELi4EEviiiiiiPKT0_S5_PKT_PS6_PKfSB_ii
; %bb.0:
	s_load_dwordx4 s[4:7], s[0:1], 0x0
	s_load_dwordx2 s[16:17], s[0:1], 0x10
	s_load_dwordx4 s[12:15], s[0:1], 0x38
	s_load_dwordx4 s[8:11], s[0:1], 0x20
	v_and_b32_e32 v2, 0x3ff, v0
	v_bfe_u32 v3, v0, 10, 10
	v_lshlrev_b32_e32 v56, 4, v2
	s_waitcnt lgkmcnt(0)
	s_lshl_b32 s3, s5, 2
	v_lshl_add_u32 v4, v3, 10, v56
	s_min_u32 s3, s3, 0x10000
	v_cmp_gt_u32_e32 vcc, s3, v4
	s_and_saveexec_b64 s[18:19], vcc
	s_cbranch_execz .LBB369_3
; %bb.1:
	v_mov_b32_e32 v1, 0
	v_lshlrev_b32_e32 v0, 10, v3
	v_mov_b32_e32 v57, v1
	v_lshl_add_u64 v[0:1], v[0:1], 0, v[56:57]
	v_lshl_add_u64 v[0:1], s[8:9], 0, v[0:1]
	s_mov_b64 s[20:21], 0
	s_mov_b64 s[22:23], 0x4000
.LBB369_2:                              ; =>This Inner Loop Header: Depth=1
	global_load_dwordx4 v[6:9], v[0:1], off
	v_lshl_add_u64 v[0:1], v[0:1], 0, s[22:23]
	s_waitcnt vmcnt(0)
	ds_write_b128 v4, v[6:9]
	v_add_u32_e32 v4, 0x4000, v4
	v_cmp_le_u32_e32 vcc, s3, v4
	s_or_b64 s[20:21], vcc, s[20:21]
	s_andn2_b64 exec, exec, s[20:21]
	s_cbranch_execnz .LBB369_2
.LBB369_3:
	s_or_b64 exec, exec, s[18:19]
	s_load_dwordx2 s[22:23], s[0:1], 0x48
	;;#ASMSTART
	s_waitcnt vmcnt(0)
	;;#ASMEND
	s_waitcnt lgkmcnt(0)
	s_barrier
	v_cmp_gt_u32_e32 vcc, s22, v3
	s_and_saveexec_b64 s[18:19], vcc
	s_cbranch_execz .LBB369_41
; %bb.4:
	s_mul_i32 s2, s2, s22
	v_add_lshl_u32 v58, s2, v3, 1
	v_cmp_gt_u32_e32 vcc, s7, v58
	s_and_b64 exec, exec, vcc
	s_cbranch_execz .LBB369_41
; %bb.5:
	v_mbcnt_lo_u32_b32 v0, -1, 0
	v_mbcnt_hi_u32_b32 v0, -1, v0
	s_cmp_lg_u32 s4, 0
	v_and_b32_e32 v1, 63, v0
	s_cselect_b64 s[2:3], -1, 0
	s_add_i32 s28, s4, -16
	s_add_i32 s29, s7, -1
	v_cmp_lt_u32_e32 vcc, 43, v1
	s_mul_i32 s22, s22, s23
	s_cmp_lg_u64 s[10:11], 0
	v_cndmask_b32_e64 v3, 20, 0, vcc
	v_cmp_lt_u32_e32 vcc, 23, v1
	s_load_dword s26, s[12:13], 0x0
	s_load_dword s27, s[14:15], 0x0
	s_load_dwordx2 s[18:19], s[0:1], 0x18
	s_load_dwordx2 s[20:21], s[0:1], 0x30
	v_cndmask_b32_e64 v1, 40, 0, vcc
	s_cselect_b64 s[14:15], -1, 0
	s_lshl_b32 s30, s22, 1
	s_abs_i32 s22, s17
	v_add_lshl_u32 v57, v3, v0, 2
	v_add_lshl_u32 v68, v1, v0, 2
	v_cvt_f32_u32_e32 v0, s16
	v_cvt_f32_u32_e32 v1, s22
	s_sub_i32 s23, 0, s16
	v_cmp_eq_u32_e64 s[0:1], 0, v2
	v_rcp_iflag_f32_e32 v0, v0
	v_rcp_iflag_f32_e32 v1, v1
	s_lshl_b32 s31, s7, 1
	s_mov_b64 s[12:13], 0
	v_mul_f32_e32 v0, 0x4f7ffffe, v0
	v_mul_f32_e32 v1, 0x4f7ffffe, v1
	v_cvt_u32_f32_e32 v0, v0
	v_cvt_u32_f32_e32 v1, v1
	s_mul_i32 s17, s7, 3
	v_mov_b32_e32 v61, 0
	v_mul_lo_u32 v2, s23, v0
	s_sub_i32 s23, 0, s22
	v_readfirstlane_b32 s24, v1
	s_mul_i32 s23, s23, s24
	s_mul_hi_u32 s23, s24, s23
	s_add_i32 s24, s24, s23
	s_sub_i32 s23, 1, s22
	s_cmp_lt_u32 s22, 2
	s_cselect_b32 s23, s23, 1
	s_sub_i32 s25, s23, s22
	s_cmp_ge_u32 s23, s22
	s_cselect_b32 s33, s25, s23
	s_lshr_b32 s23, s24, 31
	s_mul_i32 s23, s23, s22
	s_sub_i32 s23, 2, s23
	s_sub_i32 s25, s23, s22
	s_cmp_ge_u32 s23, s22
	s_cselect_b32 s23, s25, s23
	s_sub_i32 s25, s23, s22
	s_cmp_ge_u32 s23, s22
	s_cselect_b32 s34, s25, s23
	s_mul_hi_u32 s23, s24, 3
	s_mul_i32 s23, s23, s22
	s_sub_i32 s23, 3, s23
	s_sub_i32 s24, s23, s22
	s_cmp_ge_u32 s23, s22
	s_cselect_b32 s23, s24, s23
	s_sub_i32 s24, s23, s22
	v_mul_hi_u32 v2, v0, v2
	s_cmp_ge_u32 s23, s22
	v_add_u32_e32 v69, v0, v2
	s_cselect_b32 s35, s24, s23
	v_mad_u64_u32 v[62:63], s[22:23], s5, 3, v[56:57]
	v_cndmask_b32_e64 v0, 0, 1, s[2:3]
	s_mul_i32 s33, s33, s16
	s_mul_i32 s34, s34, s16
	;; [unrolled: 1-line block ×3, first 2 shown]
	v_lshl_add_u32 v70, s5, 1, v56
	v_add_u32_e32 v63, s5, v56
	v_cmp_ne_u32_e64 s[2:3], 1, v0
	s_mov_b32 s5, 0xffff
	s_branch .LBB369_7
.LBB369_6:                              ;   in Loop: Header=BB369_7 Depth=1
	s_or_b64 exec, exec, s[22:23]
	v_add_u32_e32 v58, s30, v58
	v_cmp_le_u32_e32 vcc, s7, v58
	s_or_b64 s[12:13], vcc, s[12:13]
	s_andn2_b64 exec, exec, s[12:13]
	s_cbranch_execz .LBB369_41
.LBB369_7:                              ; =>This Loop Header: Depth=1
                                        ;     Child Loop BB369_11 Depth 2
	s_and_b64 vcc, exec, s[2:3]
	v_or_b32_e32 v71, 1, v58
	v_mov_b32_e32 v31, v61
	v_mov_b32_e32 v30, v61
	;; [unrolled: 1-line block ×9, first 2 shown]
	s_waitcnt lgkmcnt(0)
	v_mov_b32_e32 v22, v61
	v_mov_b32_e32 v21, v61
	;; [unrolled: 1-line block ×11, first 2 shown]
	s_waitcnt vmcnt(4)
	v_mov_b32_e32 v11, v61
	v_mov_b32_e32 v10, v61
	;; [unrolled: 1-line block ×12, first 2 shown]
	s_cbranch_vccnz .LBB369_28
; %bb.8:                                ;   in Loop: Header=BB369_7 Depth=1
	v_min_u32_e32 v0, s29, v58
	v_mul_lo_u32 v64, v0, s6
	v_or_b32_e32 v0, 1, v58
	v_min_u32_e32 v0, s29, v0
	v_mov_b32_e32 v4, 0
	v_mov_b32_e32 v65, v61
	v_mul_lo_u32 v66, v0, s6
	v_mov_b32_e32 v67, v61
	s_mov_b32 s36, 0
	v_mov_b32_e32 v5, v4
	v_mov_b32_e32 v6, v4
	;; [unrolled: 1-line block ×31, first 2 shown]
	s_branch .LBB369_11
.LBB369_9:                              ;   in Loop: Header=BB369_11 Depth=2
	s_or_b64 exec, exec, s[24:25]
.LBB369_10:                             ;   in Loop: Header=BB369_11 Depth=2
	s_or_b64 exec, exec, s[22:23]
	s_waitcnt vmcnt(0) lgkmcnt(0)
	v_mfma_f32_16x16x32_fp8_fp8 v[28:31], v[40:41], v[36:37], v[28:31]
	s_addk_i32 s36, 0x400
	s_cmp_ge_u32 s36, s4
	v_mfma_f32_16x16x32_fp8_fp8 v[24:27], v[40:41], v[32:33], v[24:27]
	v_mfma_f32_16x16x32_fp8_fp8 v[20:23], v[44:45], v[36:37], v[20:23]
	;; [unrolled: 1-line block ×15, first 2 shown]
	s_cbranch_scc1 .LBB369_28
.LBB369_11:                             ;   Parent Loop BB369_7 Depth=1
                                        ; =>  This Inner Loop Header: Depth=2
	v_add_u32_e32 v59, s36, v56
	v_min_u32_e32 v60, s28, v59
	s_waitcnt lgkmcnt(0)
	v_lshl_add_u64 v[32:33], s[18:19], 0, v[60:61]
	v_lshl_add_u64 v[40:41], v[32:33], 0, v[64:65]
	;; [unrolled: 1-line block ×3, first 2 shown]
	global_load_dwordx4 v[36:39], v[40:41], off nt
	global_load_dwordx4 v[32:35], v[42:43], off nt
	v_mov_b64_e32 v[54:55], 0
	v_cmp_gt_u32_e32 vcc, s4, v59
	v_mov_b64_e32 v[52:53], v[54:55]
	v_mov_b64_e32 v[50:51], v[54:55]
	;; [unrolled: 1-line block ×7, first 2 shown]
	s_and_saveexec_b64 s[22:23], vcc
	s_cbranch_execz .LBB369_10
; %bb.12:                               ;   in Loop: Header=BB369_11 Depth=2
	v_cmp_lt_u32_e32 vcc, s5, v59
                                        ; implicit-def: $vgpr42_vgpr43
	s_and_saveexec_b64 s[24:25], vcc
	s_xor_b64 s[24:25], exec, s[24:25]
	s_cbranch_execz .LBB369_14
; %bb.13:                               ;   in Loop: Header=BB369_11 Depth=2
	global_load_dwordx4 v[40:43], v59, s[8:9]
                                        ; implicit-def: $vgpr59
.LBB369_14:                             ;   in Loop: Header=BB369_11 Depth=2
	s_andn2_saveexec_b64 s[24:25], s[24:25]
	s_cbranch_execz .LBB369_16
; %bb.15:                               ;   in Loop: Header=BB369_11 Depth=2
	s_waitcnt vmcnt(0)
	ds_read_b128 v[40:43], v59
.LBB369_16:                             ;   in Loop: Header=BB369_11 Depth=2
	s_or_b64 exec, exec, s[24:25]
	v_add_u32_e32 v48, s36, v63
	v_cmp_lt_u32_e32 vcc, s5, v48
                                        ; implicit-def: $vgpr46_vgpr47
	s_and_saveexec_b64 s[24:25], vcc
	s_xor_b64 s[24:25], exec, s[24:25]
	s_cbranch_execz .LBB369_18
; %bb.17:                               ;   in Loop: Header=BB369_11 Depth=2
	global_load_dwordx4 v[44:47], v48, s[8:9]
                                        ; implicit-def: $vgpr48
.LBB369_18:                             ;   in Loop: Header=BB369_11 Depth=2
	s_andn2_saveexec_b64 s[24:25], s[24:25]
	s_cbranch_execz .LBB369_20
; %bb.19:                               ;   in Loop: Header=BB369_11 Depth=2
	s_waitcnt vmcnt(0)
	ds_read_b128 v[44:47], v48
.LBB369_20:                             ;   in Loop: Header=BB369_11 Depth=2
	s_or_b64 exec, exec, s[24:25]
	v_add_u32_e32 v52, s36, v70
	v_cmp_lt_u32_e32 vcc, s5, v52
                                        ; implicit-def: $vgpr50_vgpr51
	s_and_saveexec_b64 s[24:25], vcc
	s_xor_b64 s[24:25], exec, s[24:25]
	s_cbranch_execz .LBB369_22
; %bb.21:                               ;   in Loop: Header=BB369_11 Depth=2
	global_load_dwordx4 v[48:51], v52, s[8:9]
                                        ; implicit-def: $vgpr52
.LBB369_22:                             ;   in Loop: Header=BB369_11 Depth=2
	s_andn2_saveexec_b64 s[24:25], s[24:25]
	s_cbranch_execz .LBB369_24
; %bb.23:                               ;   in Loop: Header=BB369_11 Depth=2
	s_waitcnt vmcnt(0)
	ds_read_b128 v[48:51], v52
.LBB369_24:                             ;   in Loop: Header=BB369_11 Depth=2
	s_or_b64 exec, exec, s[24:25]
	v_add_u32_e32 v59, s36, v62
	v_cmp_lt_u32_e32 vcc, s5, v59
                                        ; implicit-def: $vgpr54_vgpr55
	s_and_saveexec_b64 s[24:25], vcc
	s_xor_b64 s[24:25], exec, s[24:25]
	s_cbranch_execz .LBB369_26
; %bb.25:                               ;   in Loop: Header=BB369_11 Depth=2
	global_load_dwordx4 v[52:55], v59, s[8:9]
                                        ; implicit-def: $vgpr59
.LBB369_26:                             ;   in Loop: Header=BB369_11 Depth=2
	s_andn2_saveexec_b64 s[24:25], s[24:25]
	s_cbranch_execz .LBB369_9
; %bb.27:                               ;   in Loop: Header=BB369_11 Depth=2
	s_waitcnt vmcnt(0)
	ds_read_b128 v[52:55], v59
	s_branch .LBB369_9
.LBB369_28:                             ;   in Loop: Header=BB369_7 Depth=1
	v_cvt_i32_f32_e32 v29, v29
	v_cvt_i32_f32_e32 v30, v30
	;; [unrolled: 1-line block ×4, first 2 shown]
	v_cvt_f32_i32_dpp v29, v29 row_shl:1 row_mask:0xf bank_mask:0xf bound_ctrl:1
	v_cvt_f32_i32_dpp v30, v30 row_shl:2 row_mask:0xf bank_mask:0xf bound_ctrl:1
	v_cvt_i32_f32_e32 v26, v26
	v_cvt_i32_f32_e32 v27, v27
	v_cvt_f32_i32_dpp v31, v31 row_shl:3 row_mask:0xf bank_mask:0xf bound_ctrl:1
	v_add_f32_e32 v28, v28, v29
	v_add_f32_e32 v28, v28, v30
	v_cvt_f32_i32_dpp v30, v25 row_shl:1 row_mask:0xf bank_mask:0xf bound_ctrl:1
	v_cvt_f32_i32_dpp v26, v26 row_shl:2 row_mask:0xf bank_mask:0xf bound_ctrl:1
	;; [unrolled: 1-line block ×3, first 2 shown]
	v_add_f32_e32 v28, v28, v31
	ds_bpermute_b32 v29, v57, v28
	v_add_f32_e32 v24, v24, v30
	v_add_f32_e32 v24, v24, v26
	v_cvt_i32_f32_e32 v21, v21
	v_add_f32_e32 v24, v24, v27
	v_cvt_i32_f32_e32 v27, v22
	v_cvt_i32_f32_e32 v23, v23
	s_waitcnt lgkmcnt(0)
	v_add_f32_e32 v25, v28, v29
	v_cvt_f32_i32_dpp v28, v21 row_shl:1 row_mask:0xf bank_mask:0xf bound_ctrl:1
	v_cvt_f32_i32_dpp v27, v27 row_shl:2 row_mask:0xf bank_mask:0xf bound_ctrl:1
	;; [unrolled: 1-line block ×3, first 2 shown]
	ds_bpermute_b32 v26, v57, v24
	v_add_f32_e32 v20, v20, v28
	v_add_f32_e32 v20, v20, v27
	v_cvt_i32_f32_e32 v17, v17
	v_cvt_i32_f32_e32 v13, v13
	v_add_f32_e32 v20, v20, v23
	v_cvt_i32_f32_e32 v23, v18
	v_cvt_i32_f32_e32 v14, v14
	;; [unrolled: 1-line block ×4, first 2 shown]
	s_waitcnt lgkmcnt(0)
	v_add_f32_e32 v21, v24, v26
	v_cvt_f32_i32_dpp v26, v17 row_shl:1 row_mask:0xf bank_mask:0xf bound_ctrl:1
	v_cvt_f32_i32_dpp v13, v13 row_shl:1 row_mask:0xf bank_mask:0xf bound_ctrl:1
	;; [unrolled: 1-line block ×4, first 2 shown]
	ds_bpermute_b32 v24, v57, v20
	v_cvt_f32_i32_dpp v19, v19 row_shl:3 row_mask:0xf bank_mask:0xf bound_ctrl:1
	v_cvt_f32_i32_dpp v15, v15 row_shl:3 row_mask:0xf bank_mask:0xf bound_ctrl:1
	v_cvt_i32_f32_e32 v1, v1
	v_cvt_i32_f32_e32 v2, v2
	v_add_f32_e32 v16, v16, v26
	v_add_f32_e32 v12, v12, v13
	v_add_f32_e32 v16, v16, v23
	v_add_f32_e32 v12, v12, v14
	v_add_f32_e32 v16, v16, v19
	v_add_f32_e32 v15, v12, v15
	v_cvt_f32_i32_dpp v1, v1 row_shl:1 row_mask:0xf bank_mask:0xf bound_ctrl:1
	s_waitcnt lgkmcnt(0)
	v_add_f32_e32 v17, v20, v24
	ds_bpermute_b32 v19, v57, v16
	ds_bpermute_b32 v20, v57, v15
	v_cvt_f32_i32_dpp v2, v2 row_shl:2 row_mask:0xf bank_mask:0xf bound_ctrl:1
	v_cvt_i32_f32_e32 v3, v3
	v_cvt_i32_f32_e32 v23, v9
	v_add_f32_e32 v0, v0, v1
	v_add_f32_e32 v0, v0, v2
	v_cvt_f32_i32_dpp v1, v3 row_shl:3 row_mask:0xf bank_mask:0xf bound_ctrl:1
	v_cvt_i32_f32_e32 v2, v5
	s_waitcnt lgkmcnt(1)
	v_add_f32_e32 v12, v16, v19
	s_waitcnt lgkmcnt(0)
	v_add_f32_e32 v9, v15, v20
	v_cvt_f32_i32_dpp v15, v23 row_shl:1 row_mask:0xf bank_mask:0xf bound_ctrl:1
	v_cvt_i32_f32_e32 v16, v10
	v_cvt_i32_f32_e32 v3, v6
	;; [unrolled: 1-line block ×4, first 2 shown]
	v_add_f32_e32 v0, v0, v1
	v_cvt_f32_i32_dpp v1, v2 row_shl:1 row_mask:0xf bank_mask:0xf bound_ctrl:1
	v_add_f32_e32 v8, v8, v15
	v_cvt_f32_i32_dpp v15, v16 row_shl:2 row_mask:0xf bank_mask:0xf bound_ctrl:1
	v_cvt_f32_i32_dpp v2, v3 row_shl:2 row_mask:0xf bank_mask:0xf bound_ctrl:1
	;; [unrolled: 1-line block ×4, first 2 shown]
	v_add_f32_e32 v1, v4, v1
	v_add_f32_e32 v8, v8, v15
	;; [unrolled: 1-line block ×5, first 2 shown]
	ds_bpermute_b32 v11, v57, v8
	ds_bpermute_b32 v5, v57, v0
	;; [unrolled: 1-line block ×5, first 2 shown]
	s_waitcnt lgkmcnt(4)
	v_add_f32_e32 v6, v8, v11
	s_waitcnt lgkmcnt(3)
	v_add_f32_e32 v4, v0, v5
	;; [unrolled: 2-line block ×3, first 2 shown]
	ds_bpermute_b32 v14, v68, v17
	ds_bpermute_b32 v13, v68, v12
	;; [unrolled: 1-line block ×6, first 2 shown]
	s_and_saveexec_b64 s[22:23], s[0:1]
	s_cbranch_execz .LBB369_6
; %bb.29:                               ;   in Loop: Header=BB369_7 Depth=1
	s_and_b64 vcc, exec, s[14:15]
	s_cbranch_vccz .LBB369_40
; %bb.30:                               ;   in Loop: Header=BB369_7 Depth=1
	v_mul_hi_u32 v0, v58, v69
	v_mul_lo_u32 v0, v0, s16
	v_sub_u32_e32 v0, v58, v0
	v_subrev_u32_e32 v1, s16, v0
	v_cmp_le_u32_e32 vcc, s16, v0
	v_or_b32_e32 v8, 1, v58
	v_mov_b32_e32 v31, v61
	v_cndmask_b32_e32 v0, v0, v1, vcc
	v_subrev_u32_e32 v1, s16, v0
	v_cmp_le_u32_e32 vcc, s16, v0
	v_mov_b32_e32 v33, v61
	v_mov_b32_e32 v35, v61
	v_cndmask_b32_e32 v60, v0, v1, vcc
	v_mul_hi_u32 v0, v8, v69
	v_mul_lo_u32 v0, v0, s16
	v_sub_u32_e32 v0, v8, v0
	v_subrev_u32_e32 v1, s16, v0
	v_cmp_le_u32_e32 vcc, s16, v0
	v_lshl_add_u64 v[26:27], v[60:61], 1, s[10:11]
	v_add_u32_e32 v30, s33, v60
	v_cndmask_b32_e32 v0, v0, v1, vcc
	v_subrev_u32_e32 v1, s16, v0
	v_cmp_le_u32_e32 vcc, s16, v0
	v_add_u32_e32 v34, s34, v60
	v_add_u32_e32 v60, s35, v60
	v_cndmask_b32_e32 v0, v0, v1, vcc
	v_mov_b32_e32 v1, v61
	v_add_u32_e32 v32, s33, v0
	v_add_u32_e32 v36, s34, v0
	v_mov_b32_e32 v37, v61
	v_lshl_add_u64 v[38:39], v[60:61], 1, s[10:11]
	v_add_u32_e32 v60, s35, v0
	v_lshl_add_u64 v[28:29], v[0:1], 1, s[10:11]
	v_lshl_add_u64 v[30:31], v[30:31], 1, s[10:11]
	;; [unrolled: 1-line block ×6, first 2 shown]
	global_load_ushort v0, v[26:27], off
	global_load_ushort v24, v[28:29], off
	;; [unrolled: 1-line block ×8, first 2 shown]
	v_mov_b32_e32 v59, v61
	s_cbranch_execnz .LBB369_32
.LBB369_31:                             ;   in Loop: Header=BB369_7 Depth=1
	v_mov_b32_e32 v59, v61
	s_waitcnt vmcnt(7)
	v_mov_b32_e32 v0, 0
	v_mov_b32_e32 v8, v71
	s_waitcnt vmcnt(6)
	v_mov_b32_e32 v24, 0
	s_waitcnt vmcnt(5)
	;; [unrolled: 2-line block ×7, first 2 shown]
	v_mov_b32_e32 v11, 0
.LBB369_32:                             ;   in Loop: Header=BB369_7 Depth=1
	s_waitcnt lgkmcnt(7)
	v_add_f32_e32 v1, v25, v22
	v_mul_f32_e32 v1, s26, v1
	s_waitcnt vmcnt(7)
	v_fma_mixlo_f16 v22, s27, v1, v0 op_sel_hi:[0,0,1]
	v_lshl_add_u64 v[0:1], v[58:59], 1, s[20:21]
	v_cmp_gt_u32_e32 vcc, s7, v8
	global_store_short v[0:1], v22, off
	s_and_saveexec_b64 s[24:25], vcc
	s_cbranch_execz .LBB369_34
; %bb.33:                               ;   in Loop: Header=BB369_7 Depth=1
	s_waitcnt lgkmcnt(6)
	v_add_f32_e32 v18, v21, v18
	v_mul_f32_e32 v18, s26, v18
	s_waitcnt vmcnt(7)
	v_fma_mixlo_f16 v18, s27, v18, v24 op_sel_hi:[0,0,1]
	global_store_short v[0:1], v18, off offset:2
.LBB369_34:                             ;   in Loop: Header=BB369_7 Depth=1
	s_or_b64 exec, exec, s[24:25]
	s_waitcnt lgkmcnt(5)
	v_add_f32_e32 v0, v17, v14
	v_mul_f32_e32 v0, s26, v0
	v_add_u32_e32 v60, s7, v58
	s_waitcnt vmcnt(6)
	v_fma_mixlo_f16 v14, s27, v0, v23 op_sel_hi:[0,0,1]
	v_lshl_add_u64 v[0:1], v[60:61], 1, s[20:21]
	global_store_short v[0:1], v14, off
	s_and_saveexec_b64 s[24:25], vcc
	s_cbranch_execz .LBB369_36
; %bb.35:                               ;   in Loop: Header=BB369_7 Depth=1
	s_waitcnt lgkmcnt(4)
	v_add_f32_e32 v0, v12, v13
	v_mul_f32_e32 v0, s26, v0
	s_waitcnt vmcnt(6)
	v_fma_mixlo_f16 v12, s27, v0, v20 op_sel_hi:[0,0,1]
	v_add_u32_e32 v0, s7, v8
	v_mov_b32_e32 v1, v61
	v_lshl_add_u64 v[0:1], v[0:1], 1, s[20:21]
	global_store_short v[0:1], v12, off
.LBB369_36:                             ;   in Loop: Header=BB369_7 Depth=1
	s_or_b64 exec, exec, s[24:25]
	s_waitcnt lgkmcnt(3)
	v_add_f32_e32 v0, v9, v10
	v_mul_f32_e32 v0, s26, v0
	v_add_u32_e32 v60, s7, v60
	s_waitcnt vmcnt(5)
	v_fma_mixlo_f16 v9, s27, v0, v19 op_sel_hi:[0,0,1]
	v_lshl_add_u64 v[0:1], v[60:61], 1, s[20:21]
	global_store_short v[0:1], v9, off
	s_and_saveexec_b64 s[24:25], vcc
	s_cbranch_execz .LBB369_38
; %bb.37:                               ;   in Loop: Header=BB369_7 Depth=1
	s_waitcnt lgkmcnt(2)
	v_add_f32_e32 v0, v6, v7
	v_mul_f32_e32 v0, s26, v0
	s_waitcnt vmcnt(5)
	v_fma_mixlo_f16 v6, s27, v0, v16 op_sel_hi:[0,0,1]
	v_add_u32_e32 v0, s31, v8
	v_mov_b32_e32 v1, v61
	v_lshl_add_u64 v[0:1], v[0:1], 1, s[20:21]
	global_store_short v[0:1], v6, off
.LBB369_38:                             ;   in Loop: Header=BB369_7 Depth=1
	s_or_b64 exec, exec, s[24:25]
	s_waitcnt lgkmcnt(1)
	v_add_f32_e32 v0, v4, v5
	v_mul_f32_e32 v0, s26, v0
	v_add_u32_e32 v60, s7, v60
	s_waitcnt vmcnt(4)
	v_fma_mixlo_f16 v4, s27, v0, v15 op_sel_hi:[0,0,1]
	v_lshl_add_u64 v[0:1], v[60:61], 1, s[20:21]
	global_store_short v[0:1], v4, off
	s_and_b64 exec, exec, vcc
	s_cbranch_execz .LBB369_6
; %bb.39:                               ;   in Loop: Header=BB369_7 Depth=1
	s_waitcnt lgkmcnt(0)
	v_add_f32_e32 v0, v2, v3
	v_mul_f32_e32 v0, s26, v0
	v_add_u32_e32 v60, s17, v8
	s_waitcnt vmcnt(4)
	v_fma_mixlo_f16 v2, s27, v0, v11 op_sel_hi:[0,0,1]
	v_lshl_add_u64 v[0:1], v[60:61], 1, s[20:21]
	global_store_short v[0:1], v2, off
	s_branch .LBB369_6
.LBB369_40:                             ;   in Loop: Header=BB369_7 Depth=1
                                        ; implicit-def: $vgpr11
                                        ; implicit-def: $vgpr15
                                        ; implicit-def: $vgpr16
                                        ; implicit-def: $vgpr19
                                        ; implicit-def: $vgpr20
                                        ; implicit-def: $vgpr23
                                        ; implicit-def: $vgpr24
                                        ; implicit-def: $vgpr0
                                        ; implicit-def: $vgpr8
	s_branch .LBB369_31
.LBB369_41:
	s_endpgm
	.section	.rodata,"a",@progbits
	.p2align	6, 0x0
	.amdhsa_kernel _Z13wvSplitKQ_hf_I6__halfN3c1015Float8_e4m3fnuzELi64ELi2ELi16ELi16ELi1ELi4EEviiiiiiPKT0_S5_PKT_PS6_PKfSB_ii
		.amdhsa_group_segment_fixed_size 65536
		.amdhsa_private_segment_fixed_size 0
		.amdhsa_kernarg_size 80
		.amdhsa_user_sgpr_count 2
		.amdhsa_user_sgpr_dispatch_ptr 0
		.amdhsa_user_sgpr_queue_ptr 0
		.amdhsa_user_sgpr_kernarg_segment_ptr 1
		.amdhsa_user_sgpr_dispatch_id 0
		.amdhsa_user_sgpr_kernarg_preload_length 0
		.amdhsa_user_sgpr_kernarg_preload_offset 0
		.amdhsa_user_sgpr_private_segment_size 0
		.amdhsa_uses_dynamic_stack 0
		.amdhsa_enable_private_segment 0
		.amdhsa_system_sgpr_workgroup_id_x 1
		.amdhsa_system_sgpr_workgroup_id_y 0
		.amdhsa_system_sgpr_workgroup_id_z 0
		.amdhsa_system_sgpr_workgroup_info 0
		.amdhsa_system_vgpr_workitem_id 1
		.amdhsa_next_free_vgpr 72
		.amdhsa_next_free_sgpr 37
		.amdhsa_accum_offset 72
		.amdhsa_reserve_vcc 1
		.amdhsa_float_round_mode_32 0
		.amdhsa_float_round_mode_16_64 0
		.amdhsa_float_denorm_mode_32 3
		.amdhsa_float_denorm_mode_16_64 3
		.amdhsa_dx10_clamp 1
		.amdhsa_ieee_mode 1
		.amdhsa_fp16_overflow 0
		.amdhsa_tg_split 0
		.amdhsa_exception_fp_ieee_invalid_op 0
		.amdhsa_exception_fp_denorm_src 0
		.amdhsa_exception_fp_ieee_div_zero 0
		.amdhsa_exception_fp_ieee_overflow 0
		.amdhsa_exception_fp_ieee_underflow 0
		.amdhsa_exception_fp_ieee_inexact 0
		.amdhsa_exception_int_div_zero 0
	.end_amdhsa_kernel
	.section	.text._Z13wvSplitKQ_hf_I6__halfN3c1015Float8_e4m3fnuzELi64ELi2ELi16ELi16ELi1ELi4EEviiiiiiPKT0_S5_PKT_PS6_PKfSB_ii,"axG",@progbits,_Z13wvSplitKQ_hf_I6__halfN3c1015Float8_e4m3fnuzELi64ELi2ELi16ELi16ELi1ELi4EEviiiiiiPKT0_S5_PKT_PS6_PKfSB_ii,comdat
.Lfunc_end369:
	.size	_Z13wvSplitKQ_hf_I6__halfN3c1015Float8_e4m3fnuzELi64ELi2ELi16ELi16ELi1ELi4EEviiiiiiPKT0_S5_PKT_PS6_PKfSB_ii, .Lfunc_end369-_Z13wvSplitKQ_hf_I6__halfN3c1015Float8_e4m3fnuzELi64ELi2ELi16ELi16ELi1ELi4EEviiiiiiPKT0_S5_PKT_PS6_PKfSB_ii
                                        ; -- End function
	.section	.AMDGPU.csdata,"",@progbits
; Kernel info:
; codeLenInByte = 2772
; NumSgprs: 43
; NumVgprs: 72
; NumAgprs: 0
; TotalNumVgprs: 72
; ScratchSize: 0
; MemoryBound: 1
; FloatMode: 240
; IeeeMode: 1
; LDSByteSize: 65536 bytes/workgroup (compile time only)
; SGPRBlocks: 5
; VGPRBlocks: 8
; NumSGPRsForWavesPerEU: 43
; NumVGPRsForWavesPerEU: 72
; AccumOffset: 72
; Occupancy: 4
; WaveLimiterHint : 0
; COMPUTE_PGM_RSRC2:SCRATCH_EN: 0
; COMPUTE_PGM_RSRC2:USER_SGPR: 2
; COMPUTE_PGM_RSRC2:TRAP_HANDLER: 0
; COMPUTE_PGM_RSRC2:TGID_X_EN: 1
; COMPUTE_PGM_RSRC2:TGID_Y_EN: 0
; COMPUTE_PGM_RSRC2:TGID_Z_EN: 0
; COMPUTE_PGM_RSRC2:TIDIG_COMP_CNT: 1
; COMPUTE_PGM_RSRC3_GFX90A:ACCUM_OFFSET: 17
; COMPUTE_PGM_RSRC3_GFX90A:TG_SPLIT: 0
	.section	.text._Z17wvSplitKQ_hf_sml_I14__hip_bfloat16N3c1013Float8_e4m3fnELi32ELi2ELi16ELi16ELi2ELi1EEviiiiiiPKT0_S5_PKT_PS6_PKfSB_ii,"axG",@progbits,_Z17wvSplitKQ_hf_sml_I14__hip_bfloat16N3c1013Float8_e4m3fnELi32ELi2ELi16ELi16ELi2ELi1EEviiiiiiPKT0_S5_PKT_PS6_PKfSB_ii,comdat
	.protected	_Z17wvSplitKQ_hf_sml_I14__hip_bfloat16N3c1013Float8_e4m3fnELi32ELi2ELi16ELi16ELi2ELi1EEviiiiiiPKT0_S5_PKT_PS6_PKfSB_ii ; -- Begin function _Z17wvSplitKQ_hf_sml_I14__hip_bfloat16N3c1013Float8_e4m3fnELi32ELi2ELi16ELi16ELi2ELi1EEviiiiiiPKT0_S5_PKT_PS6_PKfSB_ii
	.globl	_Z17wvSplitKQ_hf_sml_I14__hip_bfloat16N3c1013Float8_e4m3fnELi32ELi2ELi16ELi16ELi2ELi1EEviiiiiiPKT0_S5_PKT_PS6_PKfSB_ii
	.p2align	8
	.type	_Z17wvSplitKQ_hf_sml_I14__hip_bfloat16N3c1013Float8_e4m3fnELi32ELi2ELi16ELi16ELi2ELi1EEviiiiiiPKT0_S5_PKT_PS6_PKfSB_ii,@function
_Z17wvSplitKQ_hf_sml_I14__hip_bfloat16N3c1013Float8_e4m3fnELi32ELi2ELi16ELi16ELi2ELi1EEviiiiiiPKT0_S5_PKT_PS6_PKfSB_ii: ; @_Z17wvSplitKQ_hf_sml_I14__hip_bfloat16N3c1013Float8_e4m3fnELi32ELi2ELi16ELi16ELi2ELi1EEviiiiiiPKT0_S5_PKT_PS6_PKfSB_ii
; %bb.0:
	s_load_dwordx4 s[16:19], s[0:1], 0x0
	v_and_b32_e32 v4, 0x3ff, v0
	v_bfe_u32 v5, v0, 10, 10
	v_lshlrev_b32_e32 v40, 4, v4
	v_lshl_add_u32 v0, v5, 9, v40
	s_waitcnt lgkmcnt(0)
	s_min_u32 s3, s17, 0x10000
	v_cmp_gt_u32_e32 vcc, s3, v0
	s_and_saveexec_b64 s[4:5], vcc
	s_cbranch_execz .LBB370_9
; %bb.1:
	s_load_dwordx2 s[6:7], s[0:1], 0x20
	v_add_u32_e32 v1, 0x2000, v0
	v_cmp_gt_u32_e32 vcc, s3, v1
	s_waitcnt lgkmcnt(0)
	global_load_dwordx4 v[6:9], v0, s[6:7]
	s_waitcnt vmcnt(0)
	ds_write_b128 v0, v[6:9]
	s_and_saveexec_b64 s[8:9], vcc
	s_xor_b64 s[8:9], exec, s[8:9]
	s_cbranch_execz .LBB370_9
; %bb.2:
	v_mov_b32_e32 v1, 0
	v_lshl_add_u64 v[2:3], s[6:7], 0, v[0:1]
	v_add_co_u32_e32 v6, vcc, 0x2000, v2
	v_add_u32_e32 v1, 0x4000, v0
	s_nop 0
	v_addc_co_u32_e32 v7, vcc, 0, v3, vcc
	global_load_dwordx4 v[6:9], v[6:7], off
	v_cmp_gt_u32_e32 vcc, s3, v1
	s_waitcnt vmcnt(0)
	ds_write_b128 v0, v[6:9] offset:8192
	s_and_saveexec_b64 s[6:7], vcc
	s_xor_b64 s[6:7], exec, s[6:7]
	s_cbranch_execz .LBB370_9
; %bb.3:
	v_add_co_u32_e32 v6, vcc, 0x4000, v2
	v_add_u32_e32 v1, 0x6000, v0
	s_nop 0
	v_addc_co_u32_e32 v7, vcc, 0, v3, vcc
	global_load_dwordx4 v[6:9], v[6:7], off
	v_cmp_gt_u32_e32 vcc, s3, v1
	s_waitcnt vmcnt(0)
	ds_write_b128 v0, v[6:9] offset:16384
	s_and_saveexec_b64 s[6:7], vcc
	s_xor_b64 s[6:7], exec, s[6:7]
	s_cbranch_execz .LBB370_9
; %bb.4:
	;; [unrolled: 12-line block ×6, first 2 shown]
	v_add_co_u32_e32 v2, vcc, 0xe000, v2
	s_nop 1
	v_addc_co_u32_e32 v3, vcc, 0, v3, vcc
	global_load_dwordx4 v[6:9], v[2:3], off
	s_waitcnt vmcnt(0)
	ds_write_b128 v0, v[6:9] offset:57344
.LBB370_9:
	s_or_b64 exec, exec, s[4:5]
	s_load_dwordx2 s[4:5], s[0:1], 0x48
	;;#ASMSTART
	s_waitcnt vmcnt(0)
	;;#ASMEND
	s_waitcnt lgkmcnt(0)
	s_barrier
	v_cmp_gt_u32_e32 vcc, s4, v5
	s_and_saveexec_b64 s[6:7], vcc
	s_cbranch_execz .LBB370_33
; %bb.10:
	s_load_dword s17, s[0:1], 0x10
	s_mul_i32 s2, s2, s4
	v_add_lshl_u32 v32, s2, v5, 1
	v_cmp_gt_u32_e32 vcc, s19, v32
	s_and_b64 exec, exec, vcc
	s_cbranch_execz .LBB370_33
; %bb.11:
	v_mbcnt_lo_u32_b32 v0, -1, 0
	v_mbcnt_hi_u32_b32 v0, -1, v0
	v_and_b32_e32 v1, 63, v0
	v_cmp_lt_u32_e32 vcc, 43, v1
	s_load_dwordx8 s[8:15], s[0:1], 0x28
	s_load_dwordx2 s[6:7], s[0:1], 0x18
	v_cndmask_b32_e64 v2, 20, 0, vcc
	v_add_lshl_u32 v41, v2, v0, 2
	s_waitcnt lgkmcnt(0)
	v_cvt_f32_u32_e32 v2, s17
	v_cmp_lt_u32_e32 vcc, 23, v1
	s_cmp_lg_u32 s16, 0
	s_cselect_b64 s[2:3], -1, 0
	v_cndmask_b32_e64 v1, 40, 0, vcc
	v_add_lshl_u32 v42, v1, v0, 2
	v_rcp_iflag_f32_e32 v0, v2
	s_add_i32 s24, s16, -16
	s_add_i32 s25, s19, -1
	s_cmp_lg_u64 s[8:9], 0
	v_mul_f32_e32 v0, 0x4f7ffffe, v0
	v_cvt_u32_f32_e32 v0, v0
	s_mul_i32 s20, s4, s5
	s_load_dword s22, s[12:13], 0x0
	s_load_dword s23, s[14:15], 0x0
	s_cselect_b64 s[4:5], -1, 0
	s_sub_i32 s14, 0, s17
	v_mul_lo_u32 v1, s14, v0
	v_mul_hi_u32 v1, v0, v1
	v_add_u32_e32 v43, v0, v1
	v_cndmask_b32_e64 v0, 0, 1, s[2:3]
	v_cmp_ne_u32_e64 s[2:3], 1, v0
	v_cndmask_b32_e64 v0, 0, 1, s[4:5]
	v_cmp_eq_u32_e64 s[0:1], 0, v4
	s_mov_b64 s[12:13], 0
	s_lshl_b32 s26, s20, 1
	v_mov_b32_e32 v35, 0
	v_cmp_ne_u32_e64 s[4:5], 1, v0
	s_mov_b32 s27, 0x7f800000
	s_movk_i32 s28, 0x7fff
	s_branch .LBB370_14
.LBB370_12:                             ;   in Loop: Header=BB370_14 Depth=1
	s_or_b64 exec, exec, s[20:21]
	global_store_short_d16_hi v[0:1], v3, off offset:2
.LBB370_13:                             ;   in Loop: Header=BB370_14 Depth=1
	s_or_b64 exec, exec, s[14:15]
	v_add_u32_e32 v32, s26, v32
	v_cmp_le_u32_e32 vcc, s19, v32
	s_or_b64 s[12:13], vcc, s[12:13]
	s_andn2_b64 exec, exec, s[12:13]
	s_cbranch_execz .LBB370_33
.LBB370_14:                             ; =>This Loop Header: Depth=1
                                        ;     Child Loop BB370_18 Depth 2
	s_and_b64 vcc, exec, s[2:3]
	v_or_b32_e32 v44, 1, v32
	v_mov_b32_e32 v7, v35
	v_mov_b32_e32 v6, v35
	;; [unrolled: 1-line block ×3, first 2 shown]
	s_waitcnt vmcnt(1)
	v_mov_b32_e32 v4, v35
	s_waitcnt lgkmcnt(0)
	v_mov_b32_e32 v3, v35
	v_mov_b32_e32 v2, v35
	v_mov_b32_e32 v1, v35
	v_mov_b32_e32 v0, v35
	s_cbranch_vccnz .LBB370_21
; %bb.15:                               ;   in Loop: Header=BB370_14 Depth=1
	v_min_u32_e32 v0, s25, v32
	v_mul_lo_u32 v36, v0, s18
	v_min_u32_e32 v0, s25, v44
	v_mul_lo_u32 v38, v0, s18
	v_mov_b32_e32 v0, 0
	v_mov_b32_e32 v37, v35
	;; [unrolled: 1-line block ×3, first 2 shown]
	s_mov_b32 s29, 0
	v_mov_b32_e32 v1, v0
	v_mov_b32_e32 v2, v0
	;; [unrolled: 1-line block ×7, first 2 shown]
	s_branch .LBB370_18
.LBB370_16:                             ;   in Loop: Header=BB370_18 Depth=2
	s_or_b64 exec, exec, s[20:21]
.LBB370_17:                             ;   in Loop: Header=BB370_18 Depth=2
	s_or_b64 exec, exec, s[14:15]
	s_waitcnt vmcnt(3) lgkmcnt(0)
	v_mfma_f32_16x16x32_fp8_fp8 v[4:7], v[28:29], v[24:25], v[4:7]
	s_addk_i32 s29, 0x400
	s_cmp_ge_u32 s29, s16
	s_waitcnt vmcnt(2)
	v_mfma_f32_16x16x32_fp8_fp8 v[0:3], v[28:29], v[20:21], v[0:3]
	v_mfma_f32_16x16x32_fp8_fp8 v[4:7], v[30:31], v[26:27], v[4:7]
	;; [unrolled: 1-line block ×3, first 2 shown]
	s_waitcnt vmcnt(1)
	v_mfma_f32_16x16x32_fp8_fp8 v[4:7], v[12:13], v[16:17], v[4:7]
	s_waitcnt vmcnt(0)
	v_mfma_f32_16x16x32_fp8_fp8 v[0:3], v[12:13], v[8:9], v[0:3]
	v_mfma_f32_16x16x32_fp8_fp8 v[4:7], v[14:15], v[18:19], v[4:7]
	;; [unrolled: 1-line block ×3, first 2 shown]
	s_cbranch_scc1 .LBB370_21
.LBB370_18:                             ;   Parent Loop BB370_14 Depth=1
                                        ; =>  This Inner Loop Header: Depth=2
	v_add_u32_e32 v33, s29, v40
	v_min_u32_e32 v34, s24, v33
	v_lshl_add_u64 v[8:9], s[6:7], 0, v[34:35]
	v_add_u32_e32 v45, 0x200, v33
	v_lshl_add_u64 v[10:11], v[8:9], 0, v[36:37]
	v_lshl_add_u64 v[8:9], v[8:9], 0, v[38:39]
	v_min_u32_e32 v34, s24, v45
	global_load_dwordx4 v[24:27], v[10:11], off nt
	global_load_dwordx4 v[20:23], v[8:9], off nt
	v_lshl_add_u64 v[8:9], s[6:7], 0, v[34:35]
	v_lshl_add_u64 v[12:13], v[8:9], 0, v[36:37]
	;; [unrolled: 1-line block ×3, first 2 shown]
	global_load_dwordx4 v[16:19], v[12:13], off nt
	global_load_dwordx4 v[8:11], v[14:15], off nt
	v_mov_b64_e32 v[28:29], 0
	v_cmp_gt_u32_e32 vcc, s16, v33
	v_mov_b64_e32 v[30:31], v[28:29]
	v_mov_b64_e32 v[12:13], v[28:29]
	;; [unrolled: 1-line block ×3, first 2 shown]
	s_and_saveexec_b64 s[14:15], vcc
	s_cbranch_execz .LBB370_17
; %bb.19:                               ;   in Loop: Header=BB370_18 Depth=2
	ds_read_b128 v[28:31], v33
	v_mov_b64_e32 v[14:15], 0
	v_cmp_gt_u32_e32 vcc, s16, v45
	v_mov_b64_e32 v[12:13], v[14:15]
	s_and_saveexec_b64 s[20:21], vcc
	s_cbranch_execz .LBB370_16
; %bb.20:                               ;   in Loop: Header=BB370_18 Depth=2
	ds_read_b128 v[12:15], v33 offset:512
	s_branch .LBB370_16
.LBB370_21:                             ;   in Loop: Header=BB370_14 Depth=1
	s_nop 4
	v_cvt_i32_f32_e32 v5, v5
	v_cvt_i32_f32_e32 v1, v1
	;; [unrolled: 1-line block ×6, first 2 shown]
	v_cvt_f32_i32_dpp v5, v5 row_shl:1 row_mask:0xf bank_mask:0xf bound_ctrl:1
	v_cvt_f32_i32_dpp v1, v1 row_shl:1 row_mask:0xf bank_mask:0xf bound_ctrl:1
	;; [unrolled: 1-line block ×6, first 2 shown]
	v_add_f32_e32 v4, v4, v5
	v_add_f32_e32 v0, v0, v1
	v_add_f32_e32 v4, v4, v6
	v_add_f32_e32 v0, v0, v2
	v_add_f32_e32 v4, v4, v7
	v_add_f32_e32 v2, v0, v3
	ds_bpermute_b32 v5, v41, v4
	ds_bpermute_b32 v3, v41, v2
	s_waitcnt lgkmcnt(0)
	v_add_f32_e32 v0, v4, v5
	v_add_f32_e32 v2, v2, v3
	ds_bpermute_b32 v1, v42, v0
	ds_bpermute_b32 v3, v42, v2
	s_and_saveexec_b64 s[14:15], s[0:1]
	s_cbranch_execz .LBB370_13
; %bb.22:                               ;   in Loop: Header=BB370_14 Depth=1
	s_and_b64 vcc, exec, s[4:5]
	v_mov_b32_e32 v4, 0
	v_mov_b32_e32 v5, 0
	s_cbranch_vccnz .LBB370_24
; %bb.23:                               ;   in Loop: Header=BB370_14 Depth=1
	v_mul_hi_u32 v4, v32, v43
	v_mul_lo_u32 v4, v4, s17
	v_sub_u32_e32 v4, v32, v4
	v_subrev_u32_e32 v5, s17, v4
	v_cmp_le_u32_e32 vcc, s17, v4
	s_nop 1
	v_cndmask_b32_e32 v4, v4, v5, vcc
	v_subrev_u32_e32 v5, s17, v4
	v_cmp_le_u32_e32 vcc, s17, v4
	s_nop 1
	v_cndmask_b32_e32 v34, v4, v5, vcc
	v_mul_hi_u32 v4, v44, v43
	v_mul_lo_u32 v4, v4, s17
	v_sub_u32_e32 v4, v44, v4
	v_subrev_u32_e32 v5, s17, v4
	v_cmp_le_u32_e32 vcc, s17, v4
	v_lshl_add_u64 v[6:7], v[34:35], 1, s[8:9]
	s_nop 0
	v_cndmask_b32_e32 v4, v4, v5, vcc
	v_subrev_u32_e32 v5, s17, v4
	v_cmp_le_u32_e32 vcc, s17, v4
	s_nop 1
	v_cndmask_b32_e32 v34, v4, v5, vcc
	v_lshl_add_u64 v[8:9], v[34:35], 1, s[8:9]
	global_load_ushort v5, v[6:7], off
	global_load_ushort v4, v[8:9], off
.LBB370_24:                             ;   in Loop: Header=BB370_14 Depth=1
	s_waitcnt lgkmcnt(1)
	v_add_f32_e32 v0, v0, v1
	v_mul_f32_e32 v1, s22, v0
	s_waitcnt vmcnt(1)
	v_lshlrev_b32_e32 v0, 16, v5
	v_fmac_f32_e32 v0, s23, v1
	v_and_b32_e32 v1, 0x7f800000, v0
	v_cmp_ne_u32_e32 vcc, s27, v1
                                        ; implicit-def: $vgpr5
	s_and_saveexec_b64 s[20:21], vcc
	s_xor_b64 s[20:21], exec, s[20:21]
; %bb.25:                               ;   in Loop: Header=BB370_14 Depth=1
	v_bfe_u32 v1, v0, 16, 1
	v_add3_u32 v5, v0, v1, s28
                                        ; implicit-def: $vgpr0
; %bb.26:                               ;   in Loop: Header=BB370_14 Depth=1
	s_andn2_saveexec_b64 s[20:21], s[20:21]
; %bb.27:                               ;   in Loop: Header=BB370_14 Depth=1
	v_or_b32_e32 v1, 0x10000, v0
	v_cmp_eq_u32_sdwa vcc, v0, v35 src0_sel:WORD_0 src1_sel:DWORD
	s_nop 1
	v_cndmask_b32_e32 v5, v1, v0, vcc
; %bb.28:                               ;   in Loop: Header=BB370_14 Depth=1
	s_or_b64 exec, exec, s[20:21]
	v_mov_b32_e32 v33, v35
	v_lshl_add_u64 v[0:1], v[32:33], 1, s[10:11]
	v_cmp_gt_u32_e32 vcc, s19, v44
	global_store_short_d16_hi v[0:1], v5, off
	s_and_b64 exec, exec, vcc
	s_cbranch_execz .LBB370_13
; %bb.29:                               ;   in Loop: Header=BB370_14 Depth=1
	s_waitcnt lgkmcnt(0)
	v_add_f32_e32 v2, v2, v3
	v_mul_f32_e32 v3, s22, v2
	s_waitcnt vmcnt(1)
	v_lshlrev_b32_e32 v2, 16, v4
	v_fmac_f32_e32 v2, s23, v3
	v_and_b32_e32 v3, 0x7f800000, v2
	v_cmp_ne_u32_e32 vcc, s27, v3
                                        ; implicit-def: $vgpr3
	s_and_saveexec_b64 s[20:21], vcc
	s_xor_b64 s[20:21], exec, s[20:21]
; %bb.30:                               ;   in Loop: Header=BB370_14 Depth=1
	v_bfe_u32 v3, v2, 16, 1
	v_add3_u32 v3, v2, v3, s28
                                        ; implicit-def: $vgpr2
; %bb.31:                               ;   in Loop: Header=BB370_14 Depth=1
	s_andn2_saveexec_b64 s[20:21], s[20:21]
	s_cbranch_execz .LBB370_12
; %bb.32:                               ;   in Loop: Header=BB370_14 Depth=1
	v_or_b32_e32 v3, 0x10000, v2
	v_cmp_eq_u32_sdwa vcc, v2, v35 src0_sel:WORD_0 src1_sel:DWORD
	s_nop 1
	v_cndmask_b32_e32 v3, v3, v2, vcc
	s_branch .LBB370_12
.LBB370_33:
	s_endpgm
	.section	.rodata,"a",@progbits
	.p2align	6, 0x0
	.amdhsa_kernel _Z17wvSplitKQ_hf_sml_I14__hip_bfloat16N3c1013Float8_e4m3fnELi32ELi2ELi16ELi16ELi2ELi1EEviiiiiiPKT0_S5_PKT_PS6_PKfSB_ii
		.amdhsa_group_segment_fixed_size 65536
		.amdhsa_private_segment_fixed_size 0
		.amdhsa_kernarg_size 80
		.amdhsa_user_sgpr_count 2
		.amdhsa_user_sgpr_dispatch_ptr 0
		.amdhsa_user_sgpr_queue_ptr 0
		.amdhsa_user_sgpr_kernarg_segment_ptr 1
		.amdhsa_user_sgpr_dispatch_id 0
		.amdhsa_user_sgpr_kernarg_preload_length 0
		.amdhsa_user_sgpr_kernarg_preload_offset 0
		.amdhsa_user_sgpr_private_segment_size 0
		.amdhsa_uses_dynamic_stack 0
		.amdhsa_enable_private_segment 0
		.amdhsa_system_sgpr_workgroup_id_x 1
		.amdhsa_system_sgpr_workgroup_id_y 0
		.amdhsa_system_sgpr_workgroup_id_z 0
		.amdhsa_system_sgpr_workgroup_info 0
		.amdhsa_system_vgpr_workitem_id 1
		.amdhsa_next_free_vgpr 46
		.amdhsa_next_free_sgpr 30
		.amdhsa_accum_offset 48
		.amdhsa_reserve_vcc 1
		.amdhsa_float_round_mode_32 0
		.amdhsa_float_round_mode_16_64 0
		.amdhsa_float_denorm_mode_32 3
		.amdhsa_float_denorm_mode_16_64 3
		.amdhsa_dx10_clamp 1
		.amdhsa_ieee_mode 1
		.amdhsa_fp16_overflow 0
		.amdhsa_tg_split 0
		.amdhsa_exception_fp_ieee_invalid_op 0
		.amdhsa_exception_fp_denorm_src 0
		.amdhsa_exception_fp_ieee_div_zero 0
		.amdhsa_exception_fp_ieee_overflow 0
		.amdhsa_exception_fp_ieee_underflow 0
		.amdhsa_exception_fp_ieee_inexact 0
		.amdhsa_exception_int_div_zero 0
	.end_amdhsa_kernel
	.section	.text._Z17wvSplitKQ_hf_sml_I14__hip_bfloat16N3c1013Float8_e4m3fnELi32ELi2ELi16ELi16ELi2ELi1EEviiiiiiPKT0_S5_PKT_PS6_PKfSB_ii,"axG",@progbits,_Z17wvSplitKQ_hf_sml_I14__hip_bfloat16N3c1013Float8_e4m3fnELi32ELi2ELi16ELi16ELi2ELi1EEviiiiiiPKT0_S5_PKT_PS6_PKfSB_ii,comdat
.Lfunc_end370:
	.size	_Z17wvSplitKQ_hf_sml_I14__hip_bfloat16N3c1013Float8_e4m3fnELi32ELi2ELi16ELi16ELi2ELi1EEviiiiiiPKT0_S5_PKT_PS6_PKfSB_ii, .Lfunc_end370-_Z17wvSplitKQ_hf_sml_I14__hip_bfloat16N3c1013Float8_e4m3fnELi32ELi2ELi16ELi16ELi2ELi1EEviiiiiiPKT0_S5_PKT_PS6_PKfSB_ii
                                        ; -- End function
	.section	.AMDGPU.csdata,"",@progbits
; Kernel info:
; codeLenInByte = 1788
; NumSgprs: 36
; NumVgprs: 46
; NumAgprs: 0
; TotalNumVgprs: 46
; ScratchSize: 0
; MemoryBound: 0
; FloatMode: 240
; IeeeMode: 1
; LDSByteSize: 65536 bytes/workgroup (compile time only)
; SGPRBlocks: 4
; VGPRBlocks: 5
; NumSGPRsForWavesPerEU: 36
; NumVGPRsForWavesPerEU: 46
; AccumOffset: 48
; Occupancy: 2
; WaveLimiterHint : 0
; COMPUTE_PGM_RSRC2:SCRATCH_EN: 0
; COMPUTE_PGM_RSRC2:USER_SGPR: 2
; COMPUTE_PGM_RSRC2:TRAP_HANDLER: 0
; COMPUTE_PGM_RSRC2:TGID_X_EN: 1
; COMPUTE_PGM_RSRC2:TGID_Y_EN: 0
; COMPUTE_PGM_RSRC2:TGID_Z_EN: 0
; COMPUTE_PGM_RSRC2:TIDIG_COMP_CNT: 1
; COMPUTE_PGM_RSRC3_GFX90A:ACCUM_OFFSET: 11
; COMPUTE_PGM_RSRC3_GFX90A:TG_SPLIT: 0
	.section	.text._Z13wvSplitKQ_hf_I14__hip_bfloat16N3c1013Float8_e4m3fnELi32ELi2ELi16ELi16ELi2ELi1EEviiiiiiPKT0_S5_PKT_PS6_PKfSB_ii,"axG",@progbits,_Z13wvSplitKQ_hf_I14__hip_bfloat16N3c1013Float8_e4m3fnELi32ELi2ELi16ELi16ELi2ELi1EEviiiiiiPKT0_S5_PKT_PS6_PKfSB_ii,comdat
	.protected	_Z13wvSplitKQ_hf_I14__hip_bfloat16N3c1013Float8_e4m3fnELi32ELi2ELi16ELi16ELi2ELi1EEviiiiiiPKT0_S5_PKT_PS6_PKfSB_ii ; -- Begin function _Z13wvSplitKQ_hf_I14__hip_bfloat16N3c1013Float8_e4m3fnELi32ELi2ELi16ELi16ELi2ELi1EEviiiiiiPKT0_S5_PKT_PS6_PKfSB_ii
	.globl	_Z13wvSplitKQ_hf_I14__hip_bfloat16N3c1013Float8_e4m3fnELi32ELi2ELi16ELi16ELi2ELi1EEviiiiiiPKT0_S5_PKT_PS6_PKfSB_ii
	.p2align	8
	.type	_Z13wvSplitKQ_hf_I14__hip_bfloat16N3c1013Float8_e4m3fnELi32ELi2ELi16ELi16ELi2ELi1EEviiiiiiPKT0_S5_PKT_PS6_PKfSB_ii,@function
_Z13wvSplitKQ_hf_I14__hip_bfloat16N3c1013Float8_e4m3fnELi32ELi2ELi16ELi16ELi2ELi1EEviiiiiiPKT0_S5_PKT_PS6_PKfSB_ii: ; @_Z13wvSplitKQ_hf_I14__hip_bfloat16N3c1013Float8_e4m3fnELi32ELi2ELi16ELi16ELi2ELi1EEviiiiiiPKT0_S5_PKT_PS6_PKfSB_ii
; %bb.0:
	s_load_dwordx4 s[16:19], s[0:1], 0x0
	s_load_dwordx2 s[6:7], s[0:1], 0x20
	v_and_b32_e32 v4, 0x3ff, v0
	v_bfe_u32 v5, v0, 10, 10
	v_lshlrev_b32_e32 v40, 4, v4
	v_lshl_add_u32 v0, v5, 9, v40
	s_waitcnt lgkmcnt(0)
	s_min_u32 s3, s17, 0x10000
	v_cmp_gt_u32_e32 vcc, s3, v0
	s_and_saveexec_b64 s[4:5], vcc
	s_cbranch_execz .LBB371_9
; %bb.1:
	global_load_dwordx4 v[6:9], v0, s[6:7]
	v_add_u32_e32 v1, 0x2000, v0
	v_cmp_gt_u32_e32 vcc, s3, v1
	s_waitcnt vmcnt(0)
	ds_write_b128 v0, v[6:9]
	s_and_saveexec_b64 s[8:9], vcc
	s_xor_b64 s[8:9], exec, s[8:9]
	s_cbranch_execz .LBB371_9
; %bb.2:
	v_mov_b32_e32 v1, 0
	v_lshl_add_u64 v[2:3], s[6:7], 0, v[0:1]
	v_add_co_u32_e32 v6, vcc, 0x2000, v2
	v_add_u32_e32 v1, 0x4000, v0
	s_nop 0
	v_addc_co_u32_e32 v7, vcc, 0, v3, vcc
	global_load_dwordx4 v[6:9], v[6:7], off
	v_cmp_gt_u32_e32 vcc, s3, v1
	s_waitcnt vmcnt(0)
	ds_write_b128 v0, v[6:9] offset:8192
	s_and_saveexec_b64 s[8:9], vcc
	s_xor_b64 s[8:9], exec, s[8:9]
	s_cbranch_execz .LBB371_9
; %bb.3:
	v_add_co_u32_e32 v6, vcc, 0x4000, v2
	v_add_u32_e32 v1, 0x6000, v0
	s_nop 0
	v_addc_co_u32_e32 v7, vcc, 0, v3, vcc
	global_load_dwordx4 v[6:9], v[6:7], off
	v_cmp_gt_u32_e32 vcc, s3, v1
	s_waitcnt vmcnt(0)
	ds_write_b128 v0, v[6:9] offset:16384
	s_and_saveexec_b64 s[8:9], vcc
	s_xor_b64 s[8:9], exec, s[8:9]
	s_cbranch_execz .LBB371_9
; %bb.4:
	;; [unrolled: 12-line block ×6, first 2 shown]
	v_add_co_u32_e32 v2, vcc, 0xe000, v2
	s_nop 1
	v_addc_co_u32_e32 v3, vcc, 0, v3, vcc
	global_load_dwordx4 v[6:9], v[2:3], off
	s_waitcnt vmcnt(0)
	ds_write_b128 v0, v[6:9] offset:57344
.LBB371_9:
	s_or_b64 exec, exec, s[4:5]
	s_load_dwordx2 s[4:5], s[0:1], 0x48
	;;#ASMSTART
	s_waitcnt vmcnt(0)
	;;#ASMEND
	s_waitcnt lgkmcnt(0)
	s_barrier
	v_cmp_gt_u32_e32 vcc, s4, v5
	s_and_saveexec_b64 s[8:9], vcc
	s_cbranch_execz .LBB371_41
; %bb.10:
	s_load_dword s17, s[0:1], 0x10
	s_mul_i32 s2, s2, s4
	v_add_lshl_u32 v32, s2, v5, 1
	v_cmp_gt_u32_e32 vcc, s19, v32
	s_and_b64 exec, exec, vcc
	s_cbranch_execz .LBB371_41
; %bb.11:
	v_mbcnt_lo_u32_b32 v0, -1, 0
	v_mbcnt_hi_u32_b32 v0, -1, v0
	v_and_b32_e32 v1, 63, v0
	v_cmp_lt_u32_e32 vcc, 43, v1
	s_load_dwordx8 s[8:15], s[0:1], 0x28
	s_load_dwordx2 s[20:21], s[0:1], 0x18
	v_cndmask_b32_e64 v2, 20, 0, vcc
	v_add_lshl_u32 v41, v2, v0, 2
	s_waitcnt lgkmcnt(0)
	v_cvt_f32_u32_e32 v2, s17
	v_cmp_lt_u32_e32 vcc, 23, v1
	s_cmp_lg_u32 s16, 0
	s_cselect_b64 s[2:3], -1, 0
	v_cndmask_b32_e64 v1, 40, 0, vcc
	v_add_lshl_u32 v42, v1, v0, 2
	v_rcp_iflag_f32_e32 v0, v2
	s_add_i32 s28, s16, -16
	s_add_i32 s29, s19, -1
	s_cmp_lg_u64 s[8:9], 0
	v_mul_f32_e32 v0, 0x4f7ffffe, v0
	v_cvt_u32_f32_e32 v0, v0
	s_mul_i32 s22, s4, s5
	s_load_dword s26, s[12:13], 0x0
	s_load_dword s27, s[14:15], 0x0
	s_cselect_b64 s[4:5], -1, 0
	s_sub_i32 s14, 0, s17
	v_mul_lo_u32 v1, s14, v0
	v_mul_hi_u32 v1, v0, v1
	v_add_u32_e32 v43, v0, v1
	v_cndmask_b32_e64 v0, 0, 1, s[2:3]
	v_cmp_ne_u32_e64 s[2:3], 1, v0
	v_cndmask_b32_e64 v0, 0, 1, s[4:5]
	v_cmp_eq_u32_e64 s[0:1], 0, v4
	s_mov_b64 s[12:13], 0
	s_lshl_b32 s30, s22, 1
	v_mov_b32_e32 v35, 0
	s_mov_b32 s31, 0xffff
	v_cmp_ne_u32_e64 s[4:5], 1, v0
	s_mov_b32 s33, 0x7f800000
	s_movk_i32 s34, 0x7fff
	s_branch .LBB371_14
.LBB371_12:                             ;   in Loop: Header=BB371_14 Depth=1
	s_or_b64 exec, exec, s[22:23]
	global_store_short_d16_hi v[0:1], v3, off offset:2
.LBB371_13:                             ;   in Loop: Header=BB371_14 Depth=1
	s_or_b64 exec, exec, s[14:15]
	v_add_u32_e32 v32, s30, v32
	v_cmp_le_u32_e32 vcc, s19, v32
	s_or_b64 s[12:13], vcc, s[12:13]
	s_andn2_b64 exec, exec, s[12:13]
	s_cbranch_execz .LBB371_41
.LBB371_14:                             ; =>This Loop Header: Depth=1
                                        ;     Child Loop BB371_19 Depth 2
	s_and_b64 vcc, exec, s[2:3]
	v_or_b32_e32 v44, 1, v32
	v_mov_b32_e32 v7, v35
	v_mov_b32_e32 v6, v35
	;; [unrolled: 1-line block ×3, first 2 shown]
	s_waitcnt vmcnt(1)
	v_mov_b32_e32 v4, v35
	s_waitcnt lgkmcnt(0)
	v_mov_b32_e32 v3, v35
	v_mov_b32_e32 v2, v35
	;; [unrolled: 1-line block ×4, first 2 shown]
	s_cbranch_vccnz .LBB371_29
; %bb.15:                               ;   in Loop: Header=BB371_14 Depth=1
	v_min_u32_e32 v0, s29, v32
	v_mul_lo_u32 v36, v0, s18
	v_min_u32_e32 v0, s29, v44
	v_mul_lo_u32 v38, v0, s18
	v_mov_b32_e32 v0, 0
	v_mov_b32_e32 v37, v35
	;; [unrolled: 1-line block ×3, first 2 shown]
	s_mov_b32 s35, 0
	v_mov_b32_e32 v1, v0
	v_mov_b32_e32 v2, v0
	;; [unrolled: 1-line block ×7, first 2 shown]
	s_branch .LBB371_19
.LBB371_16:                             ;   in Loop: Header=BB371_19 Depth=2
	s_or_b64 exec, exec, s[24:25]
.LBB371_17:                             ;   in Loop: Header=BB371_19 Depth=2
	s_or_b64 exec, exec, s[22:23]
.LBB371_18:                             ;   in Loop: Header=BB371_19 Depth=2
	s_or_b64 exec, exec, s[14:15]
	s_waitcnt vmcnt(0) lgkmcnt(0)
	v_mfma_f32_16x16x32_fp8_fp8 v[4:7], v[24:25], v[20:21], v[4:7]
	s_addk_i32 s35, 0x400
	s_cmp_ge_u32 s35, s16
	v_mfma_f32_16x16x32_fp8_fp8 v[0:3], v[24:25], v[16:17], v[0:3]
	v_mfma_f32_16x16x32_fp8_fp8 v[4:7], v[26:27], v[22:23], v[4:7]
	;; [unrolled: 1-line block ×7, first 2 shown]
	s_cbranch_scc1 .LBB371_29
.LBB371_19:                             ;   Parent Loop BB371_14 Depth=1
                                        ; =>  This Inner Loop Header: Depth=2
	v_add_u32_e32 v33, s35, v40
	v_min_u32_e32 v34, s28, v33
	v_lshl_add_u64 v[8:9], s[20:21], 0, v[34:35]
	v_add_u32_e32 v45, 0x200, v33
	v_lshl_add_u64 v[10:11], v[8:9], 0, v[36:37]
	v_lshl_add_u64 v[8:9], v[8:9], 0, v[38:39]
	v_min_u32_e32 v34, s28, v45
	global_load_dwordx4 v[20:23], v[10:11], off nt
	global_load_dwordx4 v[16:19], v[8:9], off nt
	v_lshl_add_u64 v[8:9], s[20:21], 0, v[34:35]
	v_lshl_add_u64 v[24:25], v[8:9], 0, v[36:37]
	;; [unrolled: 1-line block ×3, first 2 shown]
	global_load_dwordx4 v[12:15], v[24:25], off nt
	global_load_dwordx4 v[8:11], v[26:27], off nt
	v_mov_b64_e32 v[30:31], 0
	v_cmp_gt_u32_e32 vcc, s16, v33
	v_mov_b64_e32 v[28:29], v[30:31]
	v_mov_b64_e32 v[26:27], v[30:31]
	;; [unrolled: 1-line block ×3, first 2 shown]
	s_and_saveexec_b64 s[14:15], vcc
	s_cbranch_execz .LBB371_18
; %bb.20:                               ;   in Loop: Header=BB371_19 Depth=2
	v_cmp_lt_u32_e32 vcc, s31, v33
                                        ; implicit-def: $vgpr26_vgpr27
	s_and_saveexec_b64 s[22:23], vcc
	s_xor_b64 s[22:23], exec, s[22:23]
	s_cbranch_execz .LBB371_22
; %bb.21:                               ;   in Loop: Header=BB371_19 Depth=2
	global_load_dwordx4 v[24:27], v33, s[6:7]
.LBB371_22:                             ;   in Loop: Header=BB371_19 Depth=2
	s_andn2_saveexec_b64 s[22:23], s[22:23]
	s_cbranch_execz .LBB371_24
; %bb.23:                               ;   in Loop: Header=BB371_19 Depth=2
	s_waitcnt vmcnt(0)
	ds_read_b128 v[24:27], v33
.LBB371_24:                             ;   in Loop: Header=BB371_19 Depth=2
	s_or_b64 exec, exec, s[22:23]
	v_mov_b64_e32 v[30:31], 0
	v_cmp_gt_u32_e32 vcc, s16, v45
	v_mov_b64_e32 v[28:29], v[30:31]
	s_and_saveexec_b64 s[22:23], vcc
	s_cbranch_execz .LBB371_17
; %bb.25:                               ;   in Loop: Header=BB371_19 Depth=2
	v_cmp_lt_u32_e32 vcc, s31, v45
                                        ; implicit-def: $vgpr30_vgpr31
	s_and_saveexec_b64 s[24:25], vcc
	s_xor_b64 s[24:25], exec, s[24:25]
	s_cbranch_execz .LBB371_27
; %bb.26:                               ;   in Loop: Header=BB371_19 Depth=2
	global_load_dwordx4 v[28:31], v45, s[6:7]
                                        ; implicit-def: $vgpr33
.LBB371_27:                             ;   in Loop: Header=BB371_19 Depth=2
	s_andn2_saveexec_b64 s[24:25], s[24:25]
	s_cbranch_execz .LBB371_16
; %bb.28:                               ;   in Loop: Header=BB371_19 Depth=2
	s_waitcnt vmcnt(0)
	ds_read_b128 v[28:31], v33 offset:512
	s_branch .LBB371_16
.LBB371_29:                             ;   in Loop: Header=BB371_14 Depth=1
	s_nop 4
	v_cvt_i32_f32_e32 v5, v5
	v_cvt_i32_f32_e32 v1, v1
	;; [unrolled: 1-line block ×6, first 2 shown]
	v_cvt_f32_i32_dpp v5, v5 row_shl:1 row_mask:0xf bank_mask:0xf bound_ctrl:1
	v_cvt_f32_i32_dpp v1, v1 row_shl:1 row_mask:0xf bank_mask:0xf bound_ctrl:1
	;; [unrolled: 1-line block ×6, first 2 shown]
	v_add_f32_e32 v4, v4, v5
	v_add_f32_e32 v0, v0, v1
	;; [unrolled: 1-line block ×6, first 2 shown]
	ds_bpermute_b32 v5, v41, v4
	ds_bpermute_b32 v3, v41, v2
	s_waitcnt lgkmcnt(0)
	v_add_f32_e32 v0, v4, v5
	v_add_f32_e32 v2, v2, v3
	ds_bpermute_b32 v1, v42, v0
	ds_bpermute_b32 v3, v42, v2
	s_and_saveexec_b64 s[14:15], s[0:1]
	s_cbranch_execz .LBB371_13
; %bb.30:                               ;   in Loop: Header=BB371_14 Depth=1
	s_and_b64 vcc, exec, s[4:5]
	v_mov_b32_e32 v4, 0
	v_mov_b32_e32 v5, 0
	s_cbranch_vccnz .LBB371_32
; %bb.31:                               ;   in Loop: Header=BB371_14 Depth=1
	v_mul_hi_u32 v4, v32, v43
	v_mul_lo_u32 v4, v4, s17
	v_sub_u32_e32 v4, v32, v4
	v_subrev_u32_e32 v5, s17, v4
	v_cmp_le_u32_e32 vcc, s17, v4
	s_nop 1
	v_cndmask_b32_e32 v4, v4, v5, vcc
	v_subrev_u32_e32 v5, s17, v4
	v_cmp_le_u32_e32 vcc, s17, v4
	s_nop 1
	v_cndmask_b32_e32 v34, v4, v5, vcc
	v_mul_hi_u32 v4, v44, v43
	v_mul_lo_u32 v4, v4, s17
	v_sub_u32_e32 v4, v44, v4
	v_subrev_u32_e32 v5, s17, v4
	v_cmp_le_u32_e32 vcc, s17, v4
	v_lshl_add_u64 v[6:7], v[34:35], 1, s[8:9]
	s_nop 0
	v_cndmask_b32_e32 v4, v4, v5, vcc
	v_subrev_u32_e32 v5, s17, v4
	v_cmp_le_u32_e32 vcc, s17, v4
	s_nop 1
	v_cndmask_b32_e32 v34, v4, v5, vcc
	v_lshl_add_u64 v[8:9], v[34:35], 1, s[8:9]
	global_load_ushort v5, v[6:7], off
	global_load_ushort v4, v[8:9], off
.LBB371_32:                             ;   in Loop: Header=BB371_14 Depth=1
	s_waitcnt lgkmcnt(1)
	v_add_f32_e32 v0, v0, v1
	v_mul_f32_e32 v1, s26, v0
	s_waitcnt vmcnt(1)
	v_lshlrev_b32_e32 v0, 16, v5
	v_fmac_f32_e32 v0, s27, v1
	v_and_b32_e32 v1, 0x7f800000, v0
	v_cmp_ne_u32_e32 vcc, s33, v1
                                        ; implicit-def: $vgpr5
	s_and_saveexec_b64 s[22:23], vcc
	s_xor_b64 s[22:23], exec, s[22:23]
; %bb.33:                               ;   in Loop: Header=BB371_14 Depth=1
	v_bfe_u32 v1, v0, 16, 1
	v_add3_u32 v5, v0, v1, s34
                                        ; implicit-def: $vgpr0
; %bb.34:                               ;   in Loop: Header=BB371_14 Depth=1
	s_andn2_saveexec_b64 s[22:23], s[22:23]
; %bb.35:                               ;   in Loop: Header=BB371_14 Depth=1
	v_or_b32_e32 v1, 0x10000, v0
	v_cmp_eq_u32_sdwa vcc, v0, v35 src0_sel:WORD_0 src1_sel:DWORD
	s_nop 1
	v_cndmask_b32_e32 v5, v1, v0, vcc
; %bb.36:                               ;   in Loop: Header=BB371_14 Depth=1
	s_or_b64 exec, exec, s[22:23]
	v_mov_b32_e32 v33, v35
	v_lshl_add_u64 v[0:1], v[32:33], 1, s[10:11]
	v_cmp_gt_u32_e32 vcc, s19, v44
	global_store_short_d16_hi v[0:1], v5, off
	s_and_b64 exec, exec, vcc
	s_cbranch_execz .LBB371_13
; %bb.37:                               ;   in Loop: Header=BB371_14 Depth=1
	s_waitcnt lgkmcnt(0)
	v_add_f32_e32 v2, v2, v3
	v_mul_f32_e32 v3, s26, v2
	s_waitcnt vmcnt(1)
	v_lshlrev_b32_e32 v2, 16, v4
	v_fmac_f32_e32 v2, s27, v3
	v_and_b32_e32 v3, 0x7f800000, v2
	v_cmp_ne_u32_e32 vcc, s33, v3
                                        ; implicit-def: $vgpr3
	s_and_saveexec_b64 s[22:23], vcc
	s_xor_b64 s[22:23], exec, s[22:23]
; %bb.38:                               ;   in Loop: Header=BB371_14 Depth=1
	v_bfe_u32 v3, v2, 16, 1
	v_add3_u32 v3, v2, v3, s34
                                        ; implicit-def: $vgpr2
; %bb.39:                               ;   in Loop: Header=BB371_14 Depth=1
	s_andn2_saveexec_b64 s[22:23], s[22:23]
	s_cbranch_execz .LBB371_12
; %bb.40:                               ;   in Loop: Header=BB371_14 Depth=1
	v_or_b32_e32 v3, 0x10000, v2
	v_cmp_eq_u32_sdwa vcc, v2, v35 src0_sel:WORD_0 src1_sel:DWORD
	s_nop 1
	v_cndmask_b32_e32 v3, v3, v2, vcc
	s_branch .LBB371_12
.LBB371_41:
	s_endpgm
	.section	.rodata,"a",@progbits
	.p2align	6, 0x0
	.amdhsa_kernel _Z13wvSplitKQ_hf_I14__hip_bfloat16N3c1013Float8_e4m3fnELi32ELi2ELi16ELi16ELi2ELi1EEviiiiiiPKT0_S5_PKT_PS6_PKfSB_ii
		.amdhsa_group_segment_fixed_size 65536
		.amdhsa_private_segment_fixed_size 0
		.amdhsa_kernarg_size 80
		.amdhsa_user_sgpr_count 2
		.amdhsa_user_sgpr_dispatch_ptr 0
		.amdhsa_user_sgpr_queue_ptr 0
		.amdhsa_user_sgpr_kernarg_segment_ptr 1
		.amdhsa_user_sgpr_dispatch_id 0
		.amdhsa_user_sgpr_kernarg_preload_length 0
		.amdhsa_user_sgpr_kernarg_preload_offset 0
		.amdhsa_user_sgpr_private_segment_size 0
		.amdhsa_uses_dynamic_stack 0
		.amdhsa_enable_private_segment 0
		.amdhsa_system_sgpr_workgroup_id_x 1
		.amdhsa_system_sgpr_workgroup_id_y 0
		.amdhsa_system_sgpr_workgroup_id_z 0
		.amdhsa_system_sgpr_workgroup_info 0
		.amdhsa_system_vgpr_workitem_id 1
		.amdhsa_next_free_vgpr 46
		.amdhsa_next_free_sgpr 36
		.amdhsa_accum_offset 48
		.amdhsa_reserve_vcc 1
		.amdhsa_float_round_mode_32 0
		.amdhsa_float_round_mode_16_64 0
		.amdhsa_float_denorm_mode_32 3
		.amdhsa_float_denorm_mode_16_64 3
		.amdhsa_dx10_clamp 1
		.amdhsa_ieee_mode 1
		.amdhsa_fp16_overflow 0
		.amdhsa_tg_split 0
		.amdhsa_exception_fp_ieee_invalid_op 0
		.amdhsa_exception_fp_denorm_src 0
		.amdhsa_exception_fp_ieee_div_zero 0
		.amdhsa_exception_fp_ieee_overflow 0
		.amdhsa_exception_fp_ieee_underflow 0
		.amdhsa_exception_fp_ieee_inexact 0
		.amdhsa_exception_int_div_zero 0
	.end_amdhsa_kernel
	.section	.text._Z13wvSplitKQ_hf_I14__hip_bfloat16N3c1013Float8_e4m3fnELi32ELi2ELi16ELi16ELi2ELi1EEviiiiiiPKT0_S5_PKT_PS6_PKfSB_ii,"axG",@progbits,_Z13wvSplitKQ_hf_I14__hip_bfloat16N3c1013Float8_e4m3fnELi32ELi2ELi16ELi16ELi2ELi1EEviiiiiiPKT0_S5_PKT_PS6_PKfSB_ii,comdat
.Lfunc_end371:
	.size	_Z13wvSplitKQ_hf_I14__hip_bfloat16N3c1013Float8_e4m3fnELi32ELi2ELi16ELi16ELi2ELi1EEviiiiiiPKT0_S5_PKT_PS6_PKfSB_ii, .Lfunc_end371-_Z13wvSplitKQ_hf_I14__hip_bfloat16N3c1013Float8_e4m3fnELi32ELi2ELi16ELi16ELi2ELi1EEviiiiiiPKT0_S5_PKT_PS6_PKfSB_ii
                                        ; -- End function
	.section	.AMDGPU.csdata,"",@progbits
; Kernel info:
; codeLenInByte = 1860
; NumSgprs: 42
; NumVgprs: 46
; NumAgprs: 0
; TotalNumVgprs: 46
; ScratchSize: 0
; MemoryBound: 1
; FloatMode: 240
; IeeeMode: 1
; LDSByteSize: 65536 bytes/workgroup (compile time only)
; SGPRBlocks: 5
; VGPRBlocks: 5
; NumSGPRsForWavesPerEU: 42
; NumVGPRsForWavesPerEU: 46
; AccumOffset: 48
; Occupancy: 2
; WaveLimiterHint : 0
; COMPUTE_PGM_RSRC2:SCRATCH_EN: 0
; COMPUTE_PGM_RSRC2:USER_SGPR: 2
; COMPUTE_PGM_RSRC2:TRAP_HANDLER: 0
; COMPUTE_PGM_RSRC2:TGID_X_EN: 1
; COMPUTE_PGM_RSRC2:TGID_Y_EN: 0
; COMPUTE_PGM_RSRC2:TGID_Z_EN: 0
; COMPUTE_PGM_RSRC2:TIDIG_COMP_CNT: 1
; COMPUTE_PGM_RSRC3_GFX90A:ACCUM_OFFSET: 11
; COMPUTE_PGM_RSRC3_GFX90A:TG_SPLIT: 0
	.section	.text._Z17wvSplitKQ_hf_sml_I14__hip_bfloat16N3c1013Float8_e4m3fnELi64ELi2ELi16ELi16ELi2ELi1EEviiiiiiPKT0_S5_PKT_PS6_PKfSB_ii,"axG",@progbits,_Z17wvSplitKQ_hf_sml_I14__hip_bfloat16N3c1013Float8_e4m3fnELi64ELi2ELi16ELi16ELi2ELi1EEviiiiiiPKT0_S5_PKT_PS6_PKfSB_ii,comdat
	.protected	_Z17wvSplitKQ_hf_sml_I14__hip_bfloat16N3c1013Float8_e4m3fnELi64ELi2ELi16ELi16ELi2ELi1EEviiiiiiPKT0_S5_PKT_PS6_PKfSB_ii ; -- Begin function _Z17wvSplitKQ_hf_sml_I14__hip_bfloat16N3c1013Float8_e4m3fnELi64ELi2ELi16ELi16ELi2ELi1EEviiiiiiPKT0_S5_PKT_PS6_PKfSB_ii
	.globl	_Z17wvSplitKQ_hf_sml_I14__hip_bfloat16N3c1013Float8_e4m3fnELi64ELi2ELi16ELi16ELi2ELi1EEviiiiiiPKT0_S5_PKT_PS6_PKfSB_ii
	.p2align	8
	.type	_Z17wvSplitKQ_hf_sml_I14__hip_bfloat16N3c1013Float8_e4m3fnELi64ELi2ELi16ELi16ELi2ELi1EEviiiiiiPKT0_S5_PKT_PS6_PKfSB_ii,@function
_Z17wvSplitKQ_hf_sml_I14__hip_bfloat16N3c1013Float8_e4m3fnELi64ELi2ELi16ELi16ELi2ELi1EEviiiiiiPKT0_S5_PKT_PS6_PKfSB_ii: ; @_Z17wvSplitKQ_hf_sml_I14__hip_bfloat16N3c1013Float8_e4m3fnELi64ELi2ELi16ELi16ELi2ELi1EEviiiiiiPKT0_S5_PKT_PS6_PKfSB_ii
; %bb.0:
	s_load_dwordx4 s[8:11], s[0:1], 0x0
	s_load_dword s22, s[0:1], 0x10
	s_load_dwordx4 s[4:7], s[0:1], 0x38
	s_load_dwordx2 s[12:13], s[0:1], 0x28
	v_and_b32_e32 v2, 0x3ff, v0
	v_bfe_u32 v3, v0, 10, 10
	v_lshlrev_b32_e32 v32, 4, v2
	v_lshl_add_u32 v4, v3, 10, v32
	s_waitcnt lgkmcnt(0)
	s_min_u32 s3, s9, 0x10000
	v_cmp_gt_u32_e32 vcc, s3, v4
	s_and_saveexec_b64 s[14:15], vcc
	s_cbranch_execz .LBB372_3
; %bb.1:
	s_load_dwordx2 s[16:17], s[0:1], 0x20
	v_mov_b32_e32 v1, 0
	v_lshlrev_b32_e32 v0, 10, v3
	v_mov_b32_e32 v33, v1
	v_lshl_add_u64 v[0:1], v[0:1], 0, v[32:33]
	s_waitcnt lgkmcnt(0)
	v_lshl_add_u64 v[0:1], s[16:17], 0, v[0:1]
	s_mov_b64 s[16:17], 0
	s_mov_b64 s[18:19], 0x4000
.LBB372_2:                              ; =>This Inner Loop Header: Depth=1
	global_load_dwordx4 v[6:9], v[0:1], off
	v_lshl_add_u64 v[0:1], v[0:1], 0, s[18:19]
	s_waitcnt vmcnt(0)
	ds_write_b128 v4, v[6:9]
	v_add_u32_e32 v4, 0x4000, v4
	v_cmp_le_u32_e32 vcc, s3, v4
	s_or_b64 s[16:17], vcc, s[16:17]
	s_andn2_b64 exec, exec, s[16:17]
	s_cbranch_execnz .LBB372_2
.LBB372_3:
	s_or_b64 exec, exec, s[14:15]
	s_load_dwordx2 s[18:19], s[0:1], 0x48
	;;#ASMSTART
	s_waitcnt vmcnt(0)
	;;#ASMEND
	s_waitcnt lgkmcnt(0)
	s_barrier
	v_cmp_gt_u32_e32 vcc, s18, v3
	s_and_saveexec_b64 s[14:15], vcc
	s_cbranch_execz .LBB372_27
; %bb.4:
	s_mul_i32 s2, s2, s18
	v_add_lshl_u32 v34, s2, v3, 1
	v_cmp_gt_u32_e32 vcc, s11, v34
	s_and_b64 exec, exec, vcc
	s_cbranch_execz .LBB372_27
; %bb.5:
	v_mbcnt_lo_u32_b32 v0, -1, 0
	v_mbcnt_hi_u32_b32 v0, -1, v0
	v_and_b32_e32 v1, 63, v0
	v_cmp_lt_u32_e32 vcc, 43, v1
	s_cmp_lg_u32 s8, 0
	s_cselect_b64 s[2:3], -1, 0
	v_cndmask_b32_e64 v3, 20, 0, vcc
	v_add_lshl_u32 v33, v3, v0, 2
	v_cvt_f32_u32_e32 v3, s22
	v_cmp_lt_u32_e32 vcc, 23, v1
	s_add_i32 s24, s8, -16
	s_add_i32 s25, s11, -1
	v_cndmask_b32_e64 v1, 40, 0, vcc
	v_add_lshl_u32 v42, v1, v0, 2
	v_rcp_iflag_f32_e32 v0, v3
	s_load_dword s9, s[4:5], 0x0
	s_load_dword s23, s[6:7], 0x0
	s_load_dwordx2 s[14:15], s[0:1], 0x18
	s_load_dwordx2 s[16:17], s[0:1], 0x30
	s_mul_i32 s18, s18, s19
	s_cmp_lg_u64 s[12:13], 0
	v_mul_f32_e32 v0, 0x4f7ffffe, v0
	v_cvt_u32_f32_e32 v0, v0
	s_cselect_b64 s[4:5], -1, 0
	s_lshl_b32 s26, s18, 1
	s_sub_i32 s18, 0, s22
	v_mul_lo_u32 v1, s18, v0
	v_mul_hi_u32 v1, v0, v1
	v_add_u32_e32 v43, v0, v1
	v_cndmask_b32_e64 v0, 0, 1, s[2:3]
	v_cmp_ne_u32_e64 s[2:3], 1, v0
	v_cndmask_b32_e64 v0, 0, 1, s[4:5]
	v_cmp_eq_u32_e64 s[0:1], 0, v2
	s_mov_b64 s[6:7], 0
	v_mov_b32_e32 v37, 0
	s_mov_b32 s27, 0x7f800000
	s_movk_i32 s28, 0x7fff
	v_cmp_ne_u32_e64 s[4:5], 1, v0
	s_branch .LBB372_8
.LBB372_6:                              ;   in Loop: Header=BB372_8 Depth=1
	s_or_b64 exec, exec, s[20:21]
	global_store_short_d16_hi v[0:1], v3, off offset:2
.LBB372_7:                              ;   in Loop: Header=BB372_8 Depth=1
	s_or_b64 exec, exec, s[18:19]
	v_add_u32_e32 v34, s26, v34
	v_cmp_le_u32_e32 vcc, s11, v34
	s_or_b64 s[6:7], vcc, s[6:7]
	s_andn2_b64 exec, exec, s[6:7]
	s_cbranch_execz .LBB372_27
.LBB372_8:                              ; =>This Loop Header: Depth=1
                                        ;     Child Loop BB372_12 Depth 2
	s_and_b64 vcc, exec, s[2:3]
	v_or_b32_e32 v44, 1, v34
	v_mov_b32_e32 v7, v37
	v_mov_b32_e32 v6, v37
	;; [unrolled: 1-line block ×3, first 2 shown]
	s_waitcnt vmcnt(1)
	v_mov_b32_e32 v4, v37
	s_waitcnt lgkmcnt(0)
	v_mov_b32_e32 v3, v37
	v_mov_b32_e32 v2, v37
	;; [unrolled: 1-line block ×4, first 2 shown]
	s_cbranch_vccnz .LBB372_15
; %bb.9:                                ;   in Loop: Header=BB372_8 Depth=1
	v_min_u32_e32 v0, s25, v34
	v_mul_lo_u32 v38, v0, s10
	v_min_u32_e32 v0, s25, v44
	v_mul_lo_u32 v40, v0, s10
	v_mov_b32_e32 v0, 0
	v_mov_b32_e32 v39, v37
	;; [unrolled: 1-line block ×3, first 2 shown]
	s_mov_b32 s29, 0
	v_mov_b32_e32 v1, v0
	v_mov_b32_e32 v2, v0
	;; [unrolled: 1-line block ×7, first 2 shown]
	s_branch .LBB372_12
.LBB372_10:                             ;   in Loop: Header=BB372_12 Depth=2
	s_or_b64 exec, exec, s[20:21]
.LBB372_11:                             ;   in Loop: Header=BB372_12 Depth=2
	s_or_b64 exec, exec, s[18:19]
	s_waitcnt vmcnt(3) lgkmcnt(0)
	v_mfma_f32_16x16x32_fp8_fp8 v[4:7], v[28:29], v[24:25], v[4:7]
	s_addk_i32 s29, 0x800
	s_cmp_ge_u32 s29, s8
	s_waitcnt vmcnt(2)
	v_mfma_f32_16x16x32_fp8_fp8 v[0:3], v[28:29], v[20:21], v[0:3]
	v_mfma_f32_16x16x32_fp8_fp8 v[4:7], v[30:31], v[26:27], v[4:7]
	;; [unrolled: 1-line block ×3, first 2 shown]
	s_waitcnt vmcnt(1)
	v_mfma_f32_16x16x32_fp8_fp8 v[4:7], v[12:13], v[16:17], v[4:7]
	s_waitcnt vmcnt(0)
	v_mfma_f32_16x16x32_fp8_fp8 v[0:3], v[12:13], v[8:9], v[0:3]
	v_mfma_f32_16x16x32_fp8_fp8 v[4:7], v[14:15], v[18:19], v[4:7]
	;; [unrolled: 1-line block ×3, first 2 shown]
	s_cbranch_scc1 .LBB372_15
.LBB372_12:                             ;   Parent Loop BB372_8 Depth=1
                                        ; =>  This Inner Loop Header: Depth=2
	v_add_u32_e32 v35, s29, v32
	v_min_u32_e32 v36, s24, v35
	s_waitcnt lgkmcnt(0)
	v_lshl_add_u64 v[8:9], s[14:15], 0, v[36:37]
	v_add_u32_e32 v45, 0x400, v35
	v_lshl_add_u64 v[10:11], v[8:9], 0, v[38:39]
	v_lshl_add_u64 v[8:9], v[8:9], 0, v[40:41]
	v_min_u32_e32 v36, s24, v45
	global_load_dwordx4 v[24:27], v[10:11], off nt
	global_load_dwordx4 v[20:23], v[8:9], off nt
	v_lshl_add_u64 v[8:9], s[14:15], 0, v[36:37]
	v_lshl_add_u64 v[12:13], v[8:9], 0, v[38:39]
	v_lshl_add_u64 v[14:15], v[8:9], 0, v[40:41]
	global_load_dwordx4 v[16:19], v[12:13], off nt
	global_load_dwordx4 v[8:11], v[14:15], off nt
	v_mov_b64_e32 v[28:29], 0
	v_cmp_gt_u32_e32 vcc, s8, v35
	v_mov_b64_e32 v[30:31], v[28:29]
	v_mov_b64_e32 v[12:13], v[28:29]
	;; [unrolled: 1-line block ×3, first 2 shown]
	s_and_saveexec_b64 s[18:19], vcc
	s_cbranch_execz .LBB372_11
; %bb.13:                               ;   in Loop: Header=BB372_12 Depth=2
	ds_read_b128 v[28:31], v35
	v_mov_b64_e32 v[14:15], 0
	v_cmp_gt_u32_e32 vcc, s8, v45
	v_mov_b64_e32 v[12:13], v[14:15]
	s_and_saveexec_b64 s[20:21], vcc
	s_cbranch_execz .LBB372_10
; %bb.14:                               ;   in Loop: Header=BB372_12 Depth=2
	ds_read_b128 v[12:15], v35 offset:1024
	s_branch .LBB372_10
.LBB372_15:                             ;   in Loop: Header=BB372_8 Depth=1
	s_nop 4
	v_cvt_i32_f32_e32 v5, v5
	v_cvt_i32_f32_e32 v1, v1
	;; [unrolled: 1-line block ×6, first 2 shown]
	v_cvt_f32_i32_dpp v5, v5 row_shl:1 row_mask:0xf bank_mask:0xf bound_ctrl:1
	v_cvt_f32_i32_dpp v1, v1 row_shl:1 row_mask:0xf bank_mask:0xf bound_ctrl:1
	;; [unrolled: 1-line block ×6, first 2 shown]
	v_add_f32_e32 v4, v4, v5
	v_add_f32_e32 v0, v0, v1
	;; [unrolled: 1-line block ×6, first 2 shown]
	ds_bpermute_b32 v5, v33, v4
	ds_bpermute_b32 v3, v33, v2
	s_waitcnt lgkmcnt(0)
	v_add_f32_e32 v0, v4, v5
	v_add_f32_e32 v2, v2, v3
	ds_bpermute_b32 v1, v42, v0
	ds_bpermute_b32 v3, v42, v2
	s_and_saveexec_b64 s[18:19], s[0:1]
	s_cbranch_execz .LBB372_7
; %bb.16:                               ;   in Loop: Header=BB372_8 Depth=1
	s_and_b64 vcc, exec, s[4:5]
	v_mov_b32_e32 v4, 0
	v_mov_b32_e32 v5, 0
	s_cbranch_vccnz .LBB372_18
; %bb.17:                               ;   in Loop: Header=BB372_8 Depth=1
	v_mul_hi_u32 v4, v34, v43
	v_mul_lo_u32 v4, v4, s22
	v_sub_u32_e32 v4, v34, v4
	v_subrev_u32_e32 v5, s22, v4
	v_cmp_le_u32_e32 vcc, s22, v4
	s_nop 1
	v_cndmask_b32_e32 v4, v4, v5, vcc
	v_subrev_u32_e32 v5, s22, v4
	v_cmp_le_u32_e32 vcc, s22, v4
	s_nop 1
	v_cndmask_b32_e32 v36, v4, v5, vcc
	v_mul_hi_u32 v4, v44, v43
	v_mul_lo_u32 v4, v4, s22
	v_sub_u32_e32 v4, v44, v4
	v_subrev_u32_e32 v5, s22, v4
	v_cmp_le_u32_e32 vcc, s22, v4
	v_lshl_add_u64 v[6:7], v[36:37], 1, s[12:13]
	s_nop 0
	v_cndmask_b32_e32 v4, v4, v5, vcc
	v_subrev_u32_e32 v5, s22, v4
	v_cmp_le_u32_e32 vcc, s22, v4
	s_nop 1
	v_cndmask_b32_e32 v36, v4, v5, vcc
	v_lshl_add_u64 v[8:9], v[36:37], 1, s[12:13]
	global_load_ushort v5, v[6:7], off
	global_load_ushort v4, v[8:9], off
.LBB372_18:                             ;   in Loop: Header=BB372_8 Depth=1
	s_waitcnt lgkmcnt(1)
	v_add_f32_e32 v0, v0, v1
	v_mul_f32_e32 v1, s9, v0
	s_waitcnt vmcnt(1)
	v_lshlrev_b32_e32 v0, 16, v5
	v_fmac_f32_e32 v0, s23, v1
	v_and_b32_e32 v1, 0x7f800000, v0
	v_cmp_ne_u32_e32 vcc, s27, v1
                                        ; implicit-def: $vgpr5
	s_and_saveexec_b64 s[20:21], vcc
	s_xor_b64 s[20:21], exec, s[20:21]
; %bb.19:                               ;   in Loop: Header=BB372_8 Depth=1
	v_bfe_u32 v1, v0, 16, 1
	v_add3_u32 v5, v0, v1, s28
                                        ; implicit-def: $vgpr0
; %bb.20:                               ;   in Loop: Header=BB372_8 Depth=1
	s_andn2_saveexec_b64 s[20:21], s[20:21]
; %bb.21:                               ;   in Loop: Header=BB372_8 Depth=1
	v_or_b32_e32 v1, 0x10000, v0
	v_cmp_eq_u32_sdwa vcc, v0, v37 src0_sel:WORD_0 src1_sel:DWORD
	s_nop 1
	v_cndmask_b32_e32 v5, v1, v0, vcc
; %bb.22:                               ;   in Loop: Header=BB372_8 Depth=1
	s_or_b64 exec, exec, s[20:21]
	v_mov_b32_e32 v35, v37
	v_lshl_add_u64 v[0:1], v[34:35], 1, s[16:17]
	v_cmp_gt_u32_e32 vcc, s11, v44
	global_store_short_d16_hi v[0:1], v5, off
	s_and_b64 exec, exec, vcc
	s_cbranch_execz .LBB372_7
; %bb.23:                               ;   in Loop: Header=BB372_8 Depth=1
	s_waitcnt lgkmcnt(0)
	v_add_f32_e32 v2, v2, v3
	v_mul_f32_e32 v3, s9, v2
	s_waitcnt vmcnt(1)
	v_lshlrev_b32_e32 v2, 16, v4
	v_fmac_f32_e32 v2, s23, v3
	v_and_b32_e32 v3, 0x7f800000, v2
	v_cmp_ne_u32_e32 vcc, s27, v3
                                        ; implicit-def: $vgpr3
	s_and_saveexec_b64 s[20:21], vcc
	s_xor_b64 s[20:21], exec, s[20:21]
; %bb.24:                               ;   in Loop: Header=BB372_8 Depth=1
	v_bfe_u32 v3, v2, 16, 1
	v_add3_u32 v3, v2, v3, s28
                                        ; implicit-def: $vgpr2
; %bb.25:                               ;   in Loop: Header=BB372_8 Depth=1
	s_andn2_saveexec_b64 s[20:21], s[20:21]
	s_cbranch_execz .LBB372_6
; %bb.26:                               ;   in Loop: Header=BB372_8 Depth=1
	v_or_b32_e32 v3, 0x10000, v2
	v_cmp_eq_u32_sdwa vcc, v2, v37 src0_sel:WORD_0 src1_sel:DWORD
	s_nop 1
	v_cndmask_b32_e32 v3, v3, v2, vcc
	s_branch .LBB372_6
.LBB372_27:
	s_endpgm
	.section	.rodata,"a",@progbits
	.p2align	6, 0x0
	.amdhsa_kernel _Z17wvSplitKQ_hf_sml_I14__hip_bfloat16N3c1013Float8_e4m3fnELi64ELi2ELi16ELi16ELi2ELi1EEviiiiiiPKT0_S5_PKT_PS6_PKfSB_ii
		.amdhsa_group_segment_fixed_size 65536
		.amdhsa_private_segment_fixed_size 0
		.amdhsa_kernarg_size 80
		.amdhsa_user_sgpr_count 2
		.amdhsa_user_sgpr_dispatch_ptr 0
		.amdhsa_user_sgpr_queue_ptr 0
		.amdhsa_user_sgpr_kernarg_segment_ptr 1
		.amdhsa_user_sgpr_dispatch_id 0
		.amdhsa_user_sgpr_kernarg_preload_length 0
		.amdhsa_user_sgpr_kernarg_preload_offset 0
		.amdhsa_user_sgpr_private_segment_size 0
		.amdhsa_uses_dynamic_stack 0
		.amdhsa_enable_private_segment 0
		.amdhsa_system_sgpr_workgroup_id_x 1
		.amdhsa_system_sgpr_workgroup_id_y 0
		.amdhsa_system_sgpr_workgroup_id_z 0
		.amdhsa_system_sgpr_workgroup_info 0
		.amdhsa_system_vgpr_workitem_id 1
		.amdhsa_next_free_vgpr 46
		.amdhsa_next_free_sgpr 30
		.amdhsa_accum_offset 48
		.amdhsa_reserve_vcc 1
		.amdhsa_float_round_mode_32 0
		.amdhsa_float_round_mode_16_64 0
		.amdhsa_float_denorm_mode_32 3
		.amdhsa_float_denorm_mode_16_64 3
		.amdhsa_dx10_clamp 1
		.amdhsa_ieee_mode 1
		.amdhsa_fp16_overflow 0
		.amdhsa_tg_split 0
		.amdhsa_exception_fp_ieee_invalid_op 0
		.amdhsa_exception_fp_denorm_src 0
		.amdhsa_exception_fp_ieee_div_zero 0
		.amdhsa_exception_fp_ieee_overflow 0
		.amdhsa_exception_fp_ieee_underflow 0
		.amdhsa_exception_fp_ieee_inexact 0
		.amdhsa_exception_int_div_zero 0
	.end_amdhsa_kernel
	.section	.text._Z17wvSplitKQ_hf_sml_I14__hip_bfloat16N3c1013Float8_e4m3fnELi64ELi2ELi16ELi16ELi2ELi1EEviiiiiiPKT0_S5_PKT_PS6_PKfSB_ii,"axG",@progbits,_Z17wvSplitKQ_hf_sml_I14__hip_bfloat16N3c1013Float8_e4m3fnELi64ELi2ELi16ELi16ELi2ELi1EEviiiiiiPKT0_S5_PKT_PS6_PKfSB_ii,comdat
.Lfunc_end372:
	.size	_Z17wvSplitKQ_hf_sml_I14__hip_bfloat16N3c1013Float8_e4m3fnELi64ELi2ELi16ELi16ELi2ELi1EEviiiiiiPKT0_S5_PKT_PS6_PKfSB_ii, .Lfunc_end372-_Z17wvSplitKQ_hf_sml_I14__hip_bfloat16N3c1013Float8_e4m3fnELi64ELi2ELi16ELi16ELi2ELi1EEviiiiiiPKT0_S5_PKT_PS6_PKfSB_ii
                                        ; -- End function
	.section	.AMDGPU.csdata,"",@progbits
; Kernel info:
; codeLenInByte = 1444
; NumSgprs: 36
; NumVgprs: 46
; NumAgprs: 0
; TotalNumVgprs: 46
; ScratchSize: 0
; MemoryBound: 0
; FloatMode: 240
; IeeeMode: 1
; LDSByteSize: 65536 bytes/workgroup (compile time only)
; SGPRBlocks: 4
; VGPRBlocks: 5
; NumSGPRsForWavesPerEU: 36
; NumVGPRsForWavesPerEU: 46
; AccumOffset: 48
; Occupancy: 4
; WaveLimiterHint : 0
; COMPUTE_PGM_RSRC2:SCRATCH_EN: 0
; COMPUTE_PGM_RSRC2:USER_SGPR: 2
; COMPUTE_PGM_RSRC2:TRAP_HANDLER: 0
; COMPUTE_PGM_RSRC2:TGID_X_EN: 1
; COMPUTE_PGM_RSRC2:TGID_Y_EN: 0
; COMPUTE_PGM_RSRC2:TGID_Z_EN: 0
; COMPUTE_PGM_RSRC2:TIDIG_COMP_CNT: 1
; COMPUTE_PGM_RSRC3_GFX90A:ACCUM_OFFSET: 11
; COMPUTE_PGM_RSRC3_GFX90A:TG_SPLIT: 0
	.section	.text._Z13wvSplitKQ_hf_I14__hip_bfloat16N3c1013Float8_e4m3fnELi64ELi2ELi16ELi16ELi2ELi1EEviiiiiiPKT0_S5_PKT_PS6_PKfSB_ii,"axG",@progbits,_Z13wvSplitKQ_hf_I14__hip_bfloat16N3c1013Float8_e4m3fnELi64ELi2ELi16ELi16ELi2ELi1EEviiiiiiPKT0_S5_PKT_PS6_PKfSB_ii,comdat
	.protected	_Z13wvSplitKQ_hf_I14__hip_bfloat16N3c1013Float8_e4m3fnELi64ELi2ELi16ELi16ELi2ELi1EEviiiiiiPKT0_S5_PKT_PS6_PKfSB_ii ; -- Begin function _Z13wvSplitKQ_hf_I14__hip_bfloat16N3c1013Float8_e4m3fnELi64ELi2ELi16ELi16ELi2ELi1EEviiiiiiPKT0_S5_PKT_PS6_PKfSB_ii
	.globl	_Z13wvSplitKQ_hf_I14__hip_bfloat16N3c1013Float8_e4m3fnELi64ELi2ELi16ELi16ELi2ELi1EEviiiiiiPKT0_S5_PKT_PS6_PKfSB_ii
	.p2align	8
	.type	_Z13wvSplitKQ_hf_I14__hip_bfloat16N3c1013Float8_e4m3fnELi64ELi2ELi16ELi16ELi2ELi1EEviiiiiiPKT0_S5_PKT_PS6_PKfSB_ii,@function
_Z13wvSplitKQ_hf_I14__hip_bfloat16N3c1013Float8_e4m3fnELi64ELi2ELi16ELi16ELi2ELi1EEviiiiiiPKT0_S5_PKT_PS6_PKfSB_ii: ; @_Z13wvSplitKQ_hf_I14__hip_bfloat16N3c1013Float8_e4m3fnELi64ELi2ELi16ELi16ELi2ELi1EEviiiiiiPKT0_S5_PKT_PS6_PKfSB_ii
; %bb.0:
	s_load_dwordx4 s[4:7], s[0:1], 0x0
	s_load_dword s26, s[0:1], 0x10
	s_load_dwordx4 s[12:15], s[0:1], 0x38
	s_load_dwordx4 s[8:11], s[0:1], 0x20
	v_and_b32_e32 v2, 0x3ff, v0
	v_bfe_u32 v3, v0, 10, 10
	v_lshlrev_b32_e32 v32, 4, v2
	v_lshl_add_u32 v4, v3, 10, v32
	s_waitcnt lgkmcnt(0)
	s_min_u32 s3, s5, 0x10000
	v_cmp_gt_u32_e32 vcc, s3, v4
	s_and_saveexec_b64 s[16:17], vcc
	s_cbranch_execz .LBB373_3
; %bb.1:
	v_mov_b32_e32 v1, 0
	v_lshlrev_b32_e32 v0, 10, v3
	v_mov_b32_e32 v33, v1
	v_lshl_add_u64 v[0:1], v[0:1], 0, v[32:33]
	v_lshl_add_u64 v[0:1], s[8:9], 0, v[0:1]
	s_mov_b64 s[18:19], 0
	s_mov_b64 s[20:21], 0x4000
.LBB373_2:                              ; =>This Inner Loop Header: Depth=1
	global_load_dwordx4 v[6:9], v[0:1], off
	v_lshl_add_u64 v[0:1], v[0:1], 0, s[20:21]
	s_waitcnt vmcnt(0)
	ds_write_b128 v4, v[6:9]
	v_add_u32_e32 v4, 0x4000, v4
	v_cmp_le_u32_e32 vcc, s3, v4
	s_or_b64 s[18:19], vcc, s[18:19]
	s_andn2_b64 exec, exec, s[18:19]
	s_cbranch_execnz .LBB373_2
.LBB373_3:
	s_or_b64 exec, exec, s[16:17]
	s_load_dwordx2 s[20:21], s[0:1], 0x48
	;;#ASMSTART
	s_waitcnt vmcnt(0)
	;;#ASMEND
	s_waitcnt lgkmcnt(0)
	s_barrier
	v_cmp_gt_u32_e32 vcc, s20, v3
	s_and_saveexec_b64 s[16:17], vcc
	s_cbranch_execz .LBB373_35
; %bb.4:
	s_mul_i32 s2, s2, s20
	v_add_lshl_u32 v34, s2, v3, 1
	v_cmp_gt_u32_e32 vcc, s7, v34
	s_and_b64 exec, exec, vcc
	s_cbranch_execz .LBB373_35
; %bb.5:
	v_mbcnt_lo_u32_b32 v0, -1, 0
	v_mbcnt_hi_u32_b32 v0, -1, v0
	v_and_b32_e32 v1, 63, v0
	v_cmp_lt_u32_e32 vcc, 43, v1
	s_cmp_lg_u32 s4, 0
	s_load_dword s5, s[12:13], 0x0
	s_load_dword s27, s[14:15], 0x0
	s_load_dwordx2 s[16:17], s[0:1], 0x18
	s_load_dwordx2 s[18:19], s[0:1], 0x30
	v_cndmask_b32_e64 v3, 20, 0, vcc
	v_add_lshl_u32 v33, v3, v0, 2
	v_cvt_f32_u32_e32 v3, s26
	v_cmp_lt_u32_e32 vcc, 23, v1
	s_cselect_b64 s[2:3], -1, 0
	s_add_i32 s28, s4, -16
	v_cndmask_b32_e64 v1, 40, 0, vcc
	v_add_lshl_u32 v42, v1, v0, 2
	v_rcp_iflag_f32_e32 v0, v3
	s_add_i32 s29, s7, -1
	s_mul_i32 s20, s20, s21
	s_cmp_lg_u64 s[10:11], 0
	v_mul_f32_e32 v0, 0x4f7ffffe, v0
	v_cvt_u32_f32_e32 v0, v0
	s_cselect_b64 s[14:15], -1, 0
	s_lshl_b32 s30, s20, 1
	s_sub_i32 s20, 0, s26
	v_mul_lo_u32 v1, s20, v0
	v_mul_hi_u32 v1, v0, v1
	v_add_u32_e32 v43, v0, v1
	v_cndmask_b32_e64 v0, 0, 1, s[2:3]
	v_cmp_eq_u32_e64 s[0:1], 0, v2
	s_mov_b64 s[12:13], 0
	v_mov_b32_e32 v37, 0
	v_cmp_ne_u32_e64 s[2:3], 1, v0
	s_mov_b32 s31, 0xffff
	s_mov_b32 s33, 0x7f800000
	s_movk_i32 s34, 0x7fff
	s_branch .LBB373_8
.LBB373_6:                              ;   in Loop: Header=BB373_8 Depth=1
	s_or_b64 exec, exec, s[22:23]
	global_store_short_d16_hi v[0:1], v3, off offset:2
.LBB373_7:                              ;   in Loop: Header=BB373_8 Depth=1
	s_or_b64 exec, exec, s[20:21]
	v_add_u32_e32 v34, s30, v34
	v_cmp_le_u32_e32 vcc, s7, v34
	s_or_b64 s[12:13], vcc, s[12:13]
	s_andn2_b64 exec, exec, s[12:13]
	s_cbranch_execz .LBB373_35
.LBB373_8:                              ; =>This Loop Header: Depth=1
                                        ;     Child Loop BB373_13 Depth 2
	s_and_b64 vcc, exec, s[2:3]
	v_or_b32_e32 v44, 1, v34
	v_mov_b32_e32 v7, v37
	v_mov_b32_e32 v6, v37
	v_mov_b32_e32 v5, v37
	s_waitcnt vmcnt(1)
	v_mov_b32_e32 v4, v37
	s_waitcnt lgkmcnt(0)
	v_mov_b32_e32 v3, v37
	v_mov_b32_e32 v2, v37
	;; [unrolled: 1-line block ×4, first 2 shown]
	s_cbranch_vccnz .LBB373_23
; %bb.9:                                ;   in Loop: Header=BB373_8 Depth=1
	v_min_u32_e32 v0, s29, v34
	v_mul_lo_u32 v38, v0, s6
	v_min_u32_e32 v0, s29, v44
	v_mul_lo_u32 v40, v0, s6
	v_mov_b32_e32 v0, 0
	v_mov_b32_e32 v39, v37
	;; [unrolled: 1-line block ×3, first 2 shown]
	s_mov_b32 s35, 0
	v_mov_b32_e32 v1, v0
	v_mov_b32_e32 v2, v0
	;; [unrolled: 1-line block ×7, first 2 shown]
	s_branch .LBB373_13
.LBB373_10:                             ;   in Loop: Header=BB373_13 Depth=2
	s_or_b64 exec, exec, s[24:25]
.LBB373_11:                             ;   in Loop: Header=BB373_13 Depth=2
	s_or_b64 exec, exec, s[22:23]
.LBB373_12:                             ;   in Loop: Header=BB373_13 Depth=2
	s_or_b64 exec, exec, s[20:21]
	s_waitcnt vmcnt(0) lgkmcnt(0)
	v_mfma_f32_16x16x32_fp8_fp8 v[4:7], v[24:25], v[20:21], v[4:7]
	s_addk_i32 s35, 0x800
	s_cmp_ge_u32 s35, s4
	v_mfma_f32_16x16x32_fp8_fp8 v[0:3], v[24:25], v[16:17], v[0:3]
	v_mfma_f32_16x16x32_fp8_fp8 v[4:7], v[26:27], v[22:23], v[4:7]
	;; [unrolled: 1-line block ×7, first 2 shown]
	s_cbranch_scc1 .LBB373_23
.LBB373_13:                             ;   Parent Loop BB373_8 Depth=1
                                        ; =>  This Inner Loop Header: Depth=2
	v_add_u32_e32 v35, s35, v32
	v_min_u32_e32 v36, s28, v35
	s_waitcnt lgkmcnt(0)
	v_lshl_add_u64 v[8:9], s[16:17], 0, v[36:37]
	v_add_u32_e32 v45, 0x400, v35
	v_lshl_add_u64 v[10:11], v[8:9], 0, v[38:39]
	v_lshl_add_u64 v[8:9], v[8:9], 0, v[40:41]
	v_min_u32_e32 v36, s28, v45
	global_load_dwordx4 v[20:23], v[10:11], off nt
	global_load_dwordx4 v[16:19], v[8:9], off nt
	v_lshl_add_u64 v[8:9], s[16:17], 0, v[36:37]
	v_lshl_add_u64 v[24:25], v[8:9], 0, v[38:39]
	;; [unrolled: 1-line block ×3, first 2 shown]
	global_load_dwordx4 v[12:15], v[24:25], off nt
	global_load_dwordx4 v[8:11], v[26:27], off nt
	v_mov_b64_e32 v[30:31], 0
	v_cmp_gt_u32_e32 vcc, s4, v35
	v_mov_b64_e32 v[28:29], v[30:31]
	v_mov_b64_e32 v[26:27], v[30:31]
	;; [unrolled: 1-line block ×3, first 2 shown]
	s_and_saveexec_b64 s[20:21], vcc
	s_cbranch_execz .LBB373_12
; %bb.14:                               ;   in Loop: Header=BB373_13 Depth=2
	v_cmp_lt_u32_e32 vcc, s31, v35
                                        ; implicit-def: $vgpr26_vgpr27
	s_and_saveexec_b64 s[22:23], vcc
	s_xor_b64 s[22:23], exec, s[22:23]
	s_cbranch_execz .LBB373_16
; %bb.15:                               ;   in Loop: Header=BB373_13 Depth=2
	global_load_dwordx4 v[24:27], v35, s[8:9]
.LBB373_16:                             ;   in Loop: Header=BB373_13 Depth=2
	s_andn2_saveexec_b64 s[22:23], s[22:23]
	s_cbranch_execz .LBB373_18
; %bb.17:                               ;   in Loop: Header=BB373_13 Depth=2
	s_waitcnt vmcnt(0)
	ds_read_b128 v[24:27], v35
.LBB373_18:                             ;   in Loop: Header=BB373_13 Depth=2
	s_or_b64 exec, exec, s[22:23]
	v_mov_b64_e32 v[30:31], 0
	v_cmp_gt_u32_e32 vcc, s4, v45
	v_mov_b64_e32 v[28:29], v[30:31]
	s_and_saveexec_b64 s[22:23], vcc
	s_cbranch_execz .LBB373_11
; %bb.19:                               ;   in Loop: Header=BB373_13 Depth=2
	v_cmp_lt_u32_e32 vcc, s31, v45
                                        ; implicit-def: $vgpr30_vgpr31
	s_and_saveexec_b64 s[24:25], vcc
	s_xor_b64 s[24:25], exec, s[24:25]
	s_cbranch_execz .LBB373_21
; %bb.20:                               ;   in Loop: Header=BB373_13 Depth=2
	global_load_dwordx4 v[28:31], v45, s[8:9]
                                        ; implicit-def: $vgpr35
.LBB373_21:                             ;   in Loop: Header=BB373_13 Depth=2
	s_andn2_saveexec_b64 s[24:25], s[24:25]
	s_cbranch_execz .LBB373_10
; %bb.22:                               ;   in Loop: Header=BB373_13 Depth=2
	s_waitcnt vmcnt(0)
	ds_read_b128 v[28:31], v35 offset:1024
	s_branch .LBB373_10
.LBB373_23:                             ;   in Loop: Header=BB373_8 Depth=1
	s_nop 4
	v_cvt_i32_f32_e32 v5, v5
	v_cvt_i32_f32_e32 v1, v1
	;; [unrolled: 1-line block ×6, first 2 shown]
	v_cvt_f32_i32_dpp v5, v5 row_shl:1 row_mask:0xf bank_mask:0xf bound_ctrl:1
	v_cvt_f32_i32_dpp v1, v1 row_shl:1 row_mask:0xf bank_mask:0xf bound_ctrl:1
	;; [unrolled: 1-line block ×6, first 2 shown]
	v_add_f32_e32 v4, v4, v5
	v_add_f32_e32 v0, v0, v1
	;; [unrolled: 1-line block ×6, first 2 shown]
	ds_bpermute_b32 v5, v33, v4
	ds_bpermute_b32 v3, v33, v2
	s_waitcnt lgkmcnt(0)
	v_add_f32_e32 v0, v4, v5
	v_add_f32_e32 v2, v2, v3
	ds_bpermute_b32 v1, v42, v0
	ds_bpermute_b32 v3, v42, v2
	s_and_saveexec_b64 s[20:21], s[0:1]
	s_cbranch_execz .LBB373_7
; %bb.24:                               ;   in Loop: Header=BB373_8 Depth=1
	s_andn2_b64 vcc, exec, s[14:15]
	v_mov_b32_e32 v4, 0
	v_mov_b32_e32 v5, 0
	s_cbranch_vccnz .LBB373_26
; %bb.25:                               ;   in Loop: Header=BB373_8 Depth=1
	v_mul_hi_u32 v4, v34, v43
	v_mul_lo_u32 v4, v4, s26
	v_sub_u32_e32 v4, v34, v4
	v_subrev_u32_e32 v5, s26, v4
	v_cmp_le_u32_e32 vcc, s26, v4
	s_nop 1
	v_cndmask_b32_e32 v4, v4, v5, vcc
	v_subrev_u32_e32 v5, s26, v4
	v_cmp_le_u32_e32 vcc, s26, v4
	s_nop 1
	v_cndmask_b32_e32 v36, v4, v5, vcc
	v_mul_hi_u32 v4, v44, v43
	v_mul_lo_u32 v4, v4, s26
	v_sub_u32_e32 v4, v44, v4
	v_subrev_u32_e32 v5, s26, v4
	v_cmp_le_u32_e32 vcc, s26, v4
	v_lshl_add_u64 v[6:7], v[36:37], 1, s[10:11]
	s_nop 0
	v_cndmask_b32_e32 v4, v4, v5, vcc
	v_subrev_u32_e32 v5, s26, v4
	v_cmp_le_u32_e32 vcc, s26, v4
	s_nop 1
	v_cndmask_b32_e32 v36, v4, v5, vcc
	v_lshl_add_u64 v[8:9], v[36:37], 1, s[10:11]
	global_load_ushort v5, v[6:7], off
	global_load_ushort v4, v[8:9], off
.LBB373_26:                             ;   in Loop: Header=BB373_8 Depth=1
	s_waitcnt lgkmcnt(1)
	v_add_f32_e32 v0, v0, v1
	v_mul_f32_e32 v1, s5, v0
	s_waitcnt vmcnt(1)
	v_lshlrev_b32_e32 v0, 16, v5
	v_fmac_f32_e32 v0, s27, v1
	v_and_b32_e32 v1, 0x7f800000, v0
	v_cmp_ne_u32_e32 vcc, s33, v1
                                        ; implicit-def: $vgpr5
	s_and_saveexec_b64 s[22:23], vcc
	s_xor_b64 s[22:23], exec, s[22:23]
; %bb.27:                               ;   in Loop: Header=BB373_8 Depth=1
	v_bfe_u32 v1, v0, 16, 1
	v_add3_u32 v5, v0, v1, s34
                                        ; implicit-def: $vgpr0
; %bb.28:                               ;   in Loop: Header=BB373_8 Depth=1
	s_andn2_saveexec_b64 s[22:23], s[22:23]
; %bb.29:                               ;   in Loop: Header=BB373_8 Depth=1
	v_or_b32_e32 v1, 0x10000, v0
	v_cmp_eq_u32_sdwa vcc, v0, v37 src0_sel:WORD_0 src1_sel:DWORD
	s_nop 1
	v_cndmask_b32_e32 v5, v1, v0, vcc
; %bb.30:                               ;   in Loop: Header=BB373_8 Depth=1
	s_or_b64 exec, exec, s[22:23]
	v_mov_b32_e32 v35, v37
	v_lshl_add_u64 v[0:1], v[34:35], 1, s[18:19]
	v_cmp_gt_u32_e32 vcc, s7, v44
	global_store_short_d16_hi v[0:1], v5, off
	s_and_b64 exec, exec, vcc
	s_cbranch_execz .LBB373_7
; %bb.31:                               ;   in Loop: Header=BB373_8 Depth=1
	s_waitcnt lgkmcnt(0)
	v_add_f32_e32 v2, v2, v3
	v_mul_f32_e32 v3, s5, v2
	s_waitcnt vmcnt(1)
	v_lshlrev_b32_e32 v2, 16, v4
	v_fmac_f32_e32 v2, s27, v3
	v_and_b32_e32 v3, 0x7f800000, v2
	v_cmp_ne_u32_e32 vcc, s33, v3
                                        ; implicit-def: $vgpr3
	s_and_saveexec_b64 s[22:23], vcc
	s_xor_b64 s[22:23], exec, s[22:23]
; %bb.32:                               ;   in Loop: Header=BB373_8 Depth=1
	v_bfe_u32 v3, v2, 16, 1
	v_add3_u32 v3, v2, v3, s34
                                        ; implicit-def: $vgpr2
; %bb.33:                               ;   in Loop: Header=BB373_8 Depth=1
	s_andn2_saveexec_b64 s[22:23], s[22:23]
	s_cbranch_execz .LBB373_6
; %bb.34:                               ;   in Loop: Header=BB373_8 Depth=1
	v_or_b32_e32 v3, 0x10000, v2
	v_cmp_eq_u32_sdwa vcc, v2, v37 src0_sel:WORD_0 src1_sel:DWORD
	s_nop 1
	v_cndmask_b32_e32 v3, v3, v2, vcc
	s_branch .LBB373_6
.LBB373_35:
	s_endpgm
	.section	.rodata,"a",@progbits
	.p2align	6, 0x0
	.amdhsa_kernel _Z13wvSplitKQ_hf_I14__hip_bfloat16N3c1013Float8_e4m3fnELi64ELi2ELi16ELi16ELi2ELi1EEviiiiiiPKT0_S5_PKT_PS6_PKfSB_ii
		.amdhsa_group_segment_fixed_size 65536
		.amdhsa_private_segment_fixed_size 0
		.amdhsa_kernarg_size 80
		.amdhsa_user_sgpr_count 2
		.amdhsa_user_sgpr_dispatch_ptr 0
		.amdhsa_user_sgpr_queue_ptr 0
		.amdhsa_user_sgpr_kernarg_segment_ptr 1
		.amdhsa_user_sgpr_dispatch_id 0
		.amdhsa_user_sgpr_kernarg_preload_length 0
		.amdhsa_user_sgpr_kernarg_preload_offset 0
		.amdhsa_user_sgpr_private_segment_size 0
		.amdhsa_uses_dynamic_stack 0
		.amdhsa_enable_private_segment 0
		.amdhsa_system_sgpr_workgroup_id_x 1
		.amdhsa_system_sgpr_workgroup_id_y 0
		.amdhsa_system_sgpr_workgroup_id_z 0
		.amdhsa_system_sgpr_workgroup_info 0
		.amdhsa_system_vgpr_workitem_id 1
		.amdhsa_next_free_vgpr 46
		.amdhsa_next_free_sgpr 36
		.amdhsa_accum_offset 48
		.amdhsa_reserve_vcc 1
		.amdhsa_float_round_mode_32 0
		.amdhsa_float_round_mode_16_64 0
		.amdhsa_float_denorm_mode_32 3
		.amdhsa_float_denorm_mode_16_64 3
		.amdhsa_dx10_clamp 1
		.amdhsa_ieee_mode 1
		.amdhsa_fp16_overflow 0
		.amdhsa_tg_split 0
		.amdhsa_exception_fp_ieee_invalid_op 0
		.amdhsa_exception_fp_denorm_src 0
		.amdhsa_exception_fp_ieee_div_zero 0
		.amdhsa_exception_fp_ieee_overflow 0
		.amdhsa_exception_fp_ieee_underflow 0
		.amdhsa_exception_fp_ieee_inexact 0
		.amdhsa_exception_int_div_zero 0
	.end_amdhsa_kernel
	.section	.text._Z13wvSplitKQ_hf_I14__hip_bfloat16N3c1013Float8_e4m3fnELi64ELi2ELi16ELi16ELi2ELi1EEviiiiiiPKT0_S5_PKT_PS6_PKfSB_ii,"axG",@progbits,_Z13wvSplitKQ_hf_I14__hip_bfloat16N3c1013Float8_e4m3fnELi64ELi2ELi16ELi16ELi2ELi1EEviiiiiiPKT0_S5_PKT_PS6_PKfSB_ii,comdat
.Lfunc_end373:
	.size	_Z13wvSplitKQ_hf_I14__hip_bfloat16N3c1013Float8_e4m3fnELi64ELi2ELi16ELi16ELi2ELi1EEviiiiiiPKT0_S5_PKT_PS6_PKfSB_ii, .Lfunc_end373-_Z13wvSplitKQ_hf_I14__hip_bfloat16N3c1013Float8_e4m3fnELi64ELi2ELi16ELi16ELi2ELi1EEviiiiiiPKT0_S5_PKT_PS6_PKfSB_ii
                                        ; -- End function
	.section	.AMDGPU.csdata,"",@progbits
; Kernel info:
; codeLenInByte = 1492
; NumSgprs: 42
; NumVgprs: 46
; NumAgprs: 0
; TotalNumVgprs: 46
; ScratchSize: 0
; MemoryBound: 1
; FloatMode: 240
; IeeeMode: 1
; LDSByteSize: 65536 bytes/workgroup (compile time only)
; SGPRBlocks: 5
; VGPRBlocks: 5
; NumSGPRsForWavesPerEU: 42
; NumVGPRsForWavesPerEU: 46
; AccumOffset: 48
; Occupancy: 4
; WaveLimiterHint : 0
; COMPUTE_PGM_RSRC2:SCRATCH_EN: 0
; COMPUTE_PGM_RSRC2:USER_SGPR: 2
; COMPUTE_PGM_RSRC2:TRAP_HANDLER: 0
; COMPUTE_PGM_RSRC2:TGID_X_EN: 1
; COMPUTE_PGM_RSRC2:TGID_Y_EN: 0
; COMPUTE_PGM_RSRC2:TGID_Z_EN: 0
; COMPUTE_PGM_RSRC2:TIDIG_COMP_CNT: 1
; COMPUTE_PGM_RSRC3_GFX90A:ACCUM_OFFSET: 11
; COMPUTE_PGM_RSRC3_GFX90A:TG_SPLIT: 0
	.section	.text._Z17wvSplitKQ_hf_sml_I14__hip_bfloat16N3c1013Float8_e4m3fnELi32ELi2ELi16ELi16ELi2ELi2EEviiiiiiPKT0_S5_PKT_PS6_PKfSB_ii,"axG",@progbits,_Z17wvSplitKQ_hf_sml_I14__hip_bfloat16N3c1013Float8_e4m3fnELi32ELi2ELi16ELi16ELi2ELi2EEviiiiiiPKT0_S5_PKT_PS6_PKfSB_ii,comdat
	.protected	_Z17wvSplitKQ_hf_sml_I14__hip_bfloat16N3c1013Float8_e4m3fnELi32ELi2ELi16ELi16ELi2ELi2EEviiiiiiPKT0_S5_PKT_PS6_PKfSB_ii ; -- Begin function _Z17wvSplitKQ_hf_sml_I14__hip_bfloat16N3c1013Float8_e4m3fnELi32ELi2ELi16ELi16ELi2ELi2EEviiiiiiPKT0_S5_PKT_PS6_PKfSB_ii
	.globl	_Z17wvSplitKQ_hf_sml_I14__hip_bfloat16N3c1013Float8_e4m3fnELi32ELi2ELi16ELi16ELi2ELi2EEviiiiiiPKT0_S5_PKT_PS6_PKfSB_ii
	.p2align	8
	.type	_Z17wvSplitKQ_hf_sml_I14__hip_bfloat16N3c1013Float8_e4m3fnELi32ELi2ELi16ELi16ELi2ELi2EEviiiiiiPKT0_S5_PKT_PS6_PKfSB_ii,@function
_Z17wvSplitKQ_hf_sml_I14__hip_bfloat16N3c1013Float8_e4m3fnELi32ELi2ELi16ELi16ELi2ELi2EEviiiiiiPKT0_S5_PKT_PS6_PKfSB_ii: ; @_Z17wvSplitKQ_hf_sml_I14__hip_bfloat16N3c1013Float8_e4m3fnELi32ELi2ELi16ELi16ELi2ELi2EEviiiiiiPKT0_S5_PKT_PS6_PKfSB_ii
; %bb.0:
	s_load_dwordx4 s[16:19], s[0:1], 0x0
	v_and_b32_e32 v4, 0x3ff, v0
	v_bfe_u32 v5, v0, 10, 10
	v_lshlrev_b32_e32 v56, 4, v4
	v_lshl_add_u32 v0, v5, 9, v56
	s_waitcnt lgkmcnt(0)
	s_lshl_b32 s3, s17, 1
	s_min_u32 s3, s3, 0x10000
	v_cmp_gt_u32_e32 vcc, s3, v0
	s_and_saveexec_b64 s[4:5], vcc
	s_cbranch_execz .LBB374_9
; %bb.1:
	s_load_dwordx2 s[6:7], s[0:1], 0x20
	v_add_u32_e32 v1, 0x2000, v0
	v_cmp_gt_u32_e32 vcc, s3, v1
	s_waitcnt lgkmcnt(0)
	global_load_dwordx4 v[6:9], v0, s[6:7]
	s_waitcnt vmcnt(0)
	ds_write_b128 v0, v[6:9]
	s_and_saveexec_b64 s[8:9], vcc
	s_xor_b64 s[8:9], exec, s[8:9]
	s_cbranch_execz .LBB374_9
; %bb.2:
	v_mov_b32_e32 v1, 0
	v_lshl_add_u64 v[2:3], s[6:7], 0, v[0:1]
	v_add_co_u32_e32 v6, vcc, 0x2000, v2
	v_add_u32_e32 v1, 0x4000, v0
	s_nop 0
	v_addc_co_u32_e32 v7, vcc, 0, v3, vcc
	global_load_dwordx4 v[6:9], v[6:7], off
	v_cmp_gt_u32_e32 vcc, s3, v1
	s_waitcnt vmcnt(0)
	ds_write_b128 v0, v[6:9] offset:8192
	s_and_saveexec_b64 s[6:7], vcc
	s_xor_b64 s[6:7], exec, s[6:7]
	s_cbranch_execz .LBB374_9
; %bb.3:
	v_add_co_u32_e32 v6, vcc, 0x4000, v2
	v_add_u32_e32 v1, 0x6000, v0
	s_nop 0
	v_addc_co_u32_e32 v7, vcc, 0, v3, vcc
	global_load_dwordx4 v[6:9], v[6:7], off
	v_cmp_gt_u32_e32 vcc, s3, v1
	s_waitcnt vmcnt(0)
	ds_write_b128 v0, v[6:9] offset:16384
	s_and_saveexec_b64 s[6:7], vcc
	s_xor_b64 s[6:7], exec, s[6:7]
	s_cbranch_execz .LBB374_9
; %bb.4:
	;; [unrolled: 12-line block ×6, first 2 shown]
	v_add_co_u32_e32 v2, vcc, 0xe000, v2
	s_nop 1
	v_addc_co_u32_e32 v3, vcc, 0, v3, vcc
	global_load_dwordx4 v[6:9], v[2:3], off
	s_waitcnt vmcnt(0)
	ds_write_b128 v0, v[6:9] offset:57344
.LBB374_9:
	s_or_b64 exec, exec, s[4:5]
	s_load_dwordx2 s[4:5], s[0:1], 0x48
	;;#ASMSTART
	s_waitcnt vmcnt(0)
	;;#ASMEND
	s_waitcnt lgkmcnt(0)
	s_barrier
	v_cmp_gt_u32_e32 vcc, s4, v5
	s_and_saveexec_b64 s[6:7], vcc
	s_cbranch_execz .LBB374_43
; %bb.10:
	s_load_dwordx2 s[20:21], s[0:1], 0x10
	s_mul_i32 s2, s2, s4
	v_add_lshl_u32 v48, s2, v5, 1
	v_cmp_gt_u32_e32 vcc, s19, v48
	s_and_b64 exec, exec, vcc
	s_cbranch_execz .LBB374_43
; %bb.11:
	v_mbcnt_lo_u32_b32 v0, -1, 0
	v_mbcnt_hi_u32_b32 v0, -1, v0
	v_and_b32_e32 v1, 63, v0
	v_cmp_lt_u32_e32 vcc, 43, v1
	s_load_dwordx8 s[8:15], s[0:1], 0x28
	s_load_dwordx2 s[22:23], s[0:1], 0x18
	v_cndmask_b32_e64 v2, 20, 0, vcc
	v_add_lshl_u32 v57, v2, v0, 2
	s_waitcnt lgkmcnt(0)
	v_cvt_f32_u32_e32 v2, s20
	v_cmp_lt_u32_e32 vcc, 23, v1
	s_cmp_lg_u32 s16, 0
	s_cselect_b64 s[2:3], -1, 0
	v_cndmask_b32_e64 v1, 40, 0, vcc
	v_add_lshl_u32 v58, v1, v0, 2
	v_rcp_iflag_f32_e32 v0, v2
	s_add_i32 s30, s16, -16
	s_add_i32 s31, s19, -1
	s_mul_i32 s6, s4, s5
	v_mul_f32_e32 v0, 0x4f7ffffe, v0
	v_cvt_u32_f32_e32 v0, v0
	s_cmp_lg_u64 s[8:9], 0
	s_cselect_b64 s[4:5], -1, 0
	s_lshl_b32 s33, s6, 1
	s_sub_i32 s6, 0, s20
	v_mul_lo_u32 v1, s6, v0
	s_abs_i32 s6, s21
	s_sub_i32 s7, 1, s6
	s_cmp_lt_u32 s6, 2
	s_load_dword s28, s[12:13], 0x0
	s_load_dword s29, s[14:15], 0x0
	s_cselect_b32 s7, s7, 1
	v_mul_hi_u32 v1, v0, v1
	s_sub_i32 s14, s7, s6
	v_add_u32_e32 v59, v0, v1
	s_cmp_ge_u32 s7, s6
	v_cndmask_b32_e64 v0, 0, 1, s[2:3]
	s_cselect_b32 s21, s14, s7
	v_cmp_ne_u32_e64 s[2:3], 1, v0
	v_cndmask_b32_e64 v0, 0, 1, s[4:5]
	v_cmp_eq_u32_e64 s[0:1], 0, v4
	s_mov_b64 s[12:13], 0
	v_mov_b32_e32 v51, 0
	s_mul_i32 s21, s21, s20
	v_add_u32_e32 v60, s17, v56
	s_mov_b32 s17, 0x7f800000
	s_movk_i32 s34, 0x7fff
	v_cmp_ne_u32_e64 s[4:5], 1, v0
	s_branch .LBB374_14
.LBB374_12:                             ;   in Loop: Header=BB374_14 Depth=1
	s_or_b64 exec, exec, s[6:7]
	v_add_u32_e32 v50, s19, v61
	v_lshl_add_u64 v[2:3], v[50:51], 1, s[10:11]
	global_store_short_d16_hi v[2:3], v0, off
.LBB374_13:                             ;   in Loop: Header=BB374_14 Depth=1
	s_or_b64 exec, exec, s[14:15]
	v_add_u32_e32 v48, s33, v48
	v_cmp_le_u32_e32 vcc, s19, v48
	s_or_b64 s[12:13], vcc, s[12:13]
	s_andn2_b64 exec, exec, s[12:13]
	s_cbranch_execz .LBB374_43
.LBB374_14:                             ; =>This Loop Header: Depth=1
                                        ;     Child Loop BB374_18 Depth 2
	s_and_b64 vcc, exec, s[2:3]
	v_or_b32_e32 v61, 1, v48
	v_mov_b32_e32 v15, v51
	v_mov_b32_e32 v14, v51
	;; [unrolled: 1-line block ×5, first 2 shown]
	s_waitcnt lgkmcnt(0)
	v_mov_b32_e32 v10, v51
	v_mov_b32_e32 v9, v51
	;; [unrolled: 1-line block ×4, first 2 shown]
	s_waitcnt vmcnt(2)
	v_mov_b32_e32 v6, v51
	v_mov_b32_e32 v5, v51
	;; [unrolled: 1-line block ×7, first 2 shown]
	s_cbranch_vccnz .LBB374_21
; %bb.15:                               ;   in Loop: Header=BB374_14 Depth=1
	v_min_u32_e32 v0, s31, v48
	v_mul_lo_u32 v52, v0, s18
	v_min_u32_e32 v0, s31, v61
	v_mul_lo_u32 v54, v0, s18
	v_mov_b32_e32 v0, 0
	v_mov_b32_e32 v53, v51
	v_mov_b32_e32 v55, v51
	s_mov_b32 s24, 0
	v_mov_b32_e32 v1, v0
	v_mov_b32_e32 v2, v0
	;; [unrolled: 1-line block ×15, first 2 shown]
	s_branch .LBB374_18
.LBB374_16:                             ;   in Loop: Header=BB374_18 Depth=2
	s_or_b64 exec, exec, s[14:15]
.LBB374_17:                             ;   in Loop: Header=BB374_18 Depth=2
	s_or_b64 exec, exec, s[6:7]
	s_waitcnt vmcnt(3) lgkmcnt(0)
	v_mfma_f32_16x16x32_fp8_fp8 v[12:15], v[40:41], v[28:29], v[12:15]
	s_addk_i32 s24, 0x400
	s_cmp_ge_u32 s24, s16
	s_waitcnt vmcnt(2)
	v_mfma_f32_16x16x32_fp8_fp8 v[8:11], v[40:41], v[32:33], v[8:11]
	v_mfma_f32_16x16x32_fp8_fp8 v[4:7], v[44:45], v[28:29], v[4:7]
	v_mfma_f32_16x16x32_fp8_fp8 v[0:3], v[44:45], v[32:33], v[0:3]
	v_mfma_f32_16x16x32_fp8_fp8 v[12:15], v[42:43], v[30:31], v[12:15]
	v_mfma_f32_16x16x32_fp8_fp8 v[8:11], v[42:43], v[34:35], v[8:11]
	v_mfma_f32_16x16x32_fp8_fp8 v[4:7], v[46:47], v[30:31], v[4:7]
	v_mfma_f32_16x16x32_fp8_fp8 v[0:3], v[46:47], v[34:35], v[0:3]
	s_waitcnt vmcnt(1)
	v_mfma_f32_16x16x32_fp8_fp8 v[12:15], v[36:37], v[20:21], v[12:15]
	s_waitcnt vmcnt(0)
	v_mfma_f32_16x16x32_fp8_fp8 v[8:11], v[36:37], v[16:17], v[8:11]
	v_mfma_f32_16x16x32_fp8_fp8 v[4:7], v[24:25], v[20:21], v[4:7]
	;; [unrolled: 1-line block ×7, first 2 shown]
	s_cbranch_scc1 .LBB374_21
.LBB374_18:                             ;   Parent Loop BB374_14 Depth=1
                                        ; =>  This Inner Loop Header: Depth=2
	v_add_u32_e32 v49, s24, v56
	v_min_u32_e32 v50, s30, v49
	v_lshl_add_u64 v[16:17], s[22:23], 0, v[50:51]
	v_add_u32_e32 v62, 0x200, v49
	v_lshl_add_u64 v[18:19], v[16:17], 0, v[52:53]
	v_lshl_add_u64 v[16:17], v[16:17], 0, v[54:55]
	v_min_u32_e32 v50, s30, v62
	global_load_dwordx4 v[28:31], v[18:19], off nt
	global_load_dwordx4 v[32:35], v[16:17], off nt
	v_lshl_add_u64 v[16:17], s[22:23], 0, v[50:51]
	v_lshl_add_u64 v[24:25], v[16:17], 0, v[52:53]
	;; [unrolled: 1-line block ×3, first 2 shown]
	global_load_dwordx4 v[20:23], v[24:25], off nt
	global_load_dwordx4 v[16:19], v[26:27], off nt
	v_mov_b64_e32 v[40:41], 0
	v_cmp_gt_u32_e32 vcc, s16, v49
	v_mov_b64_e32 v[42:43], v[40:41]
	v_mov_b64_e32 v[36:37], v[40:41]
	;; [unrolled: 1-line block ×7, first 2 shown]
	s_and_saveexec_b64 s[6:7], vcc
	s_cbranch_execz .LBB374_17
; %bb.19:                               ;   in Loop: Header=BB374_18 Depth=2
	v_add_u32_e32 v50, s24, v60
	ds_read_b128 v[40:43], v49
	ds_read_b128 v[44:47], v50
	v_mov_b64_e32 v[26:27], 0
	v_cmp_gt_u32_e32 vcc, s16, v62
	v_mov_b64_e32 v[24:25], v[26:27]
	v_mov_b64_e32 v[38:39], v[26:27]
	;; [unrolled: 1-line block ×3, first 2 shown]
	s_and_saveexec_b64 s[14:15], vcc
	s_cbranch_execz .LBB374_16
; %bb.20:                               ;   in Loop: Header=BB374_18 Depth=2
	ds_read_b128 v[36:39], v49 offset:512
	ds_read_b128 v[24:27], v50 offset:512
	s_branch .LBB374_16
.LBB374_21:                             ;   in Loop: Header=BB374_14 Depth=1
	s_nop 2
	v_cvt_i32_f32_e32 v13, v13
	v_cvt_i32_f32_e32 v14, v14
	;; [unrolled: 1-line block ×4, first 2 shown]
	v_cvt_f32_i32_dpp v13, v13 row_shl:1 row_mask:0xf bank_mask:0xf bound_ctrl:1
	v_cvt_i32_f32_e32 v1, v1
	v_cvt_f32_i32_dpp v14, v14 row_shl:2 row_mask:0xf bank_mask:0xf bound_ctrl:1
	v_cvt_i32_f32_e32 v10, v10
	v_cvt_i32_f32_e32 v6, v6
	;; [unrolled: 1-line block ×5, first 2 shown]
	v_cvt_f32_i32_dpp v5, v5 row_shl:1 row_mask:0xf bank_mask:0xf bound_ctrl:1
	v_cvt_i32_f32_e32 v7, v7
	v_cvt_i32_f32_e32 v3, v3
	v_cvt_f32_i32_dpp v9, v9 row_shl:1 row_mask:0xf bank_mask:0xf bound_ctrl:1
	v_add_f32_e32 v12, v12, v13
	v_cvt_f32_i32_dpp v1, v1 row_shl:1 row_mask:0xf bank_mask:0xf bound_ctrl:1
	v_add_f32_e32 v12, v12, v14
	v_cvt_f32_i32_dpp v14, v10 row_shl:2 row_mask:0xf bank_mask:0xf bound_ctrl:1
	v_cvt_f32_i32_dpp v6, v6 row_shl:2 row_mask:0xf bank_mask:0xf bound_ctrl:1
	;; [unrolled: 1-line block ×5, first 2 shown]
	v_add_f32_e32 v4, v4, v5
	v_cvt_f32_i32_dpp v5, v7 row_shl:3 row_mask:0xf bank_mask:0xf bound_ctrl:1
	v_cvt_f32_i32_dpp v3, v3 row_shl:3 row_mask:0xf bank_mask:0xf bound_ctrl:1
	v_add_f32_e32 v8, v8, v9
	v_add_f32_e32 v0, v0, v1
	;; [unrolled: 1-line block ×9, first 2 shown]
	ds_bpermute_b32 v13, v57, v12
	ds_bpermute_b32 v11, v57, v8
	;; [unrolled: 1-line block ×4, first 2 shown]
	s_waitcnt lgkmcnt(0)
	v_add_f32_e32 v9, v12, v13
	v_add_f32_e32 v7, v8, v11
	;; [unrolled: 1-line block ×4, first 2 shown]
	ds_bpermute_b32 v10, v58, v9
	ds_bpermute_b32 v8, v58, v7
	;; [unrolled: 1-line block ×4, first 2 shown]
	s_and_saveexec_b64 s[14:15], s[0:1]
	s_cbranch_execz .LBB374_13
; %bb.22:                               ;   in Loop: Header=BB374_14 Depth=1
	s_and_b64 vcc, exec, s[4:5]
	v_mov_b32_e32 v6, 0
	v_mov_b32_e32 v11, 0
	;; [unrolled: 1-line block ×4, first 2 shown]
	s_cbranch_vccnz .LBB374_24
; %bb.23:                               ;   in Loop: Header=BB374_14 Depth=1
	v_mul_hi_u32 v0, v48, v59
	v_mul_lo_u32 v0, v0, s20
	v_sub_u32_e32 v0, v48, v0
	v_subrev_u32_e32 v1, s20, v0
	v_cmp_le_u32_e32 vcc, s20, v0
	s_nop 1
	v_cndmask_b32_e32 v0, v0, v1, vcc
	v_subrev_u32_e32 v1, s20, v0
	v_cmp_le_u32_e32 vcc, s20, v0
	s_nop 1
	v_cndmask_b32_e32 v50, v0, v1, vcc
	v_mul_hi_u32 v0, v61, v59
	v_mul_lo_u32 v0, v0, s20
	v_sub_u32_e32 v0, v61, v0
	v_subrev_u32_e32 v1, s20, v0
	v_cmp_le_u32_e32 vcc, s20, v0
	v_lshl_add_u64 v[14:15], v[50:51], 1, s[8:9]
	v_add_u32_e32 v50, s21, v50
	v_cndmask_b32_e32 v0, v0, v1, vcc
	v_subrev_u32_e32 v1, s20, v0
	v_cmp_le_u32_e32 vcc, s20, v0
	v_lshl_add_u64 v[18:19], v[50:51], 1, s[8:9]
	s_nop 0
	v_cndmask_b32_e32 v0, v0, v1, vcc
	v_mov_b32_e32 v1, v51
	v_add_u32_e32 v50, s21, v0
	v_lshl_add_u64 v[16:17], v[0:1], 1, s[8:9]
	v_lshl_add_u64 v[20:21], v[50:51], 1, s[8:9]
	global_load_ushort v0, v[14:15], off
	global_load_ushort v12, v[16:17], off
	;; [unrolled: 1-line block ×4, first 2 shown]
.LBB374_24:                             ;   in Loop: Header=BB374_14 Depth=1
	s_waitcnt lgkmcnt(3)
	v_add_f32_e32 v1, v9, v10
	v_mul_f32_e32 v1, s28, v1
	s_waitcnt vmcnt(3)
	v_lshlrev_b32_e32 v0, 16, v0
	v_fmac_f32_e32 v0, s29, v1
	v_and_b32_e32 v1, 0x7f800000, v0
	v_cmp_ne_u32_e32 vcc, s17, v1
                                        ; implicit-def: $vgpr9
	s_and_saveexec_b64 s[6:7], vcc
	s_xor_b64 s[6:7], exec, s[6:7]
; %bb.25:                               ;   in Loop: Header=BB374_14 Depth=1
	v_bfe_u32 v1, v0, 16, 1
	v_add3_u32 v9, v0, v1, s34
                                        ; implicit-def: $vgpr0
; %bb.26:                               ;   in Loop: Header=BB374_14 Depth=1
	s_andn2_saveexec_b64 s[6:7], s[6:7]
; %bb.27:                               ;   in Loop: Header=BB374_14 Depth=1
	v_or_b32_e32 v1, 0x10000, v0
	v_cmp_eq_u32_sdwa vcc, v0, v51 src0_sel:WORD_0 src1_sel:DWORD
	s_nop 1
	v_cndmask_b32_e32 v9, v1, v0, vcc
; %bb.28:                               ;   in Loop: Header=BB374_14 Depth=1
	s_or_b64 exec, exec, s[6:7]
	v_mov_b32_e32 v49, v51
	v_lshl_add_u64 v[0:1], v[48:49], 1, s[10:11]
	v_cmp_gt_u32_e32 vcc, s19, v61
	global_store_short_d16_hi v[0:1], v9, off
	s_and_saveexec_b64 s[24:25], vcc
	s_cbranch_execz .LBB374_34
; %bb.29:                               ;   in Loop: Header=BB374_14 Depth=1
	s_waitcnt lgkmcnt(2)
	v_add_f32_e32 v7, v7, v8
	v_mul_f32_e32 v8, s28, v7
	s_waitcnt vmcnt(3)
	v_lshlrev_b32_e32 v7, 16, v12
	v_fmac_f32_e32 v7, s29, v8
	v_and_b32_e32 v8, 0x7f800000, v7
	v_cmp_ne_u32_e64 s[6:7], s17, v8
                                        ; implicit-def: $vgpr8
	s_and_saveexec_b64 s[26:27], s[6:7]
	s_xor_b64 s[6:7], exec, s[26:27]
; %bb.30:                               ;   in Loop: Header=BB374_14 Depth=1
	v_bfe_u32 v8, v7, 16, 1
	v_add3_u32 v8, v7, v8, s34
                                        ; implicit-def: $vgpr7
; %bb.31:                               ;   in Loop: Header=BB374_14 Depth=1
	s_andn2_saveexec_b64 s[26:27], s[6:7]
; %bb.32:                               ;   in Loop: Header=BB374_14 Depth=1
	v_or_b32_e32 v8, 0x10000, v7
	v_cmp_eq_u32_sdwa s[6:7], v7, v51 src0_sel:WORD_0 src1_sel:DWORD
	s_nop 1
	v_cndmask_b32_e64 v8, v8, v7, s[6:7]
; %bb.33:                               ;   in Loop: Header=BB374_14 Depth=1
	s_or_b64 exec, exec, s[26:27]
	global_store_short_d16_hi v[0:1], v8, off offset:2
.LBB374_34:                             ;   in Loop: Header=BB374_14 Depth=1
	s_or_b64 exec, exec, s[24:25]
	s_waitcnt lgkmcnt(1)
	v_add_f32_e32 v0, v4, v5
	v_mul_f32_e32 v1, s28, v0
	s_waitcnt vmcnt(2)
	v_lshlrev_b32_e32 v0, 16, v11
	v_fmac_f32_e32 v0, s29, v1
	v_and_b32_e32 v1, 0x7f800000, v0
	v_cmp_ne_u32_e64 s[6:7], s17, v1
                                        ; implicit-def: $vgpr1
	s_and_saveexec_b64 s[24:25], s[6:7]
	s_xor_b64 s[6:7], exec, s[24:25]
; %bb.35:                               ;   in Loop: Header=BB374_14 Depth=1
	v_bfe_u32 v1, v0, 16, 1
	v_add3_u32 v1, v0, v1, s34
                                        ; implicit-def: $vgpr0
; %bb.36:                               ;   in Loop: Header=BB374_14 Depth=1
	s_andn2_saveexec_b64 s[24:25], s[6:7]
; %bb.37:                               ;   in Loop: Header=BB374_14 Depth=1
	v_or_b32_e32 v1, 0x10000, v0
	v_cmp_eq_u32_sdwa s[6:7], v0, v51 src0_sel:WORD_0 src1_sel:DWORD
	s_nop 1
	v_cndmask_b32_e64 v1, v1, v0, s[6:7]
; %bb.38:                               ;   in Loop: Header=BB374_14 Depth=1
	s_or_b64 exec, exec, s[24:25]
	v_add_u32_e32 v50, s19, v48
	v_lshl_add_u64 v[4:5], v[50:51], 1, s[10:11]
	global_store_short_d16_hi v[4:5], v1, off
	s_and_b64 exec, exec, vcc
	s_cbranch_execz .LBB374_13
; %bb.39:                               ;   in Loop: Header=BB374_14 Depth=1
	s_waitcnt lgkmcnt(0)
	v_add_f32_e32 v0, v2, v3
	v_mul_f32_e32 v0, s28, v0
	s_waitcnt vmcnt(2)
	v_lshlrev_b32_e32 v1, 16, v6
	v_fmac_f32_e32 v1, s29, v0
	v_and_b32_e32 v0, 0x7f800000, v1
	v_cmp_ne_u32_e32 vcc, s17, v0
                                        ; implicit-def: $vgpr0
	s_and_saveexec_b64 s[6:7], vcc
	s_xor_b64 s[6:7], exec, s[6:7]
; %bb.40:                               ;   in Loop: Header=BB374_14 Depth=1
	v_bfe_u32 v0, v1, 16, 1
	v_add3_u32 v0, v1, v0, s34
                                        ; implicit-def: $vgpr1
; %bb.41:                               ;   in Loop: Header=BB374_14 Depth=1
	s_andn2_saveexec_b64 s[6:7], s[6:7]
	s_cbranch_execz .LBB374_12
; %bb.42:                               ;   in Loop: Header=BB374_14 Depth=1
	v_or_b32_e32 v0, 0x10000, v1
	v_cmp_eq_u32_sdwa vcc, v1, v51 src0_sel:WORD_0 src1_sel:DWORD
	s_nop 1
	v_cndmask_b32_e32 v0, v0, v1, vcc
	s_branch .LBB374_12
.LBB374_43:
	s_endpgm
	.section	.rodata,"a",@progbits
	.p2align	6, 0x0
	.amdhsa_kernel _Z17wvSplitKQ_hf_sml_I14__hip_bfloat16N3c1013Float8_e4m3fnELi32ELi2ELi16ELi16ELi2ELi2EEviiiiiiPKT0_S5_PKT_PS6_PKfSB_ii
		.amdhsa_group_segment_fixed_size 65536
		.amdhsa_private_segment_fixed_size 0
		.amdhsa_kernarg_size 80
		.amdhsa_user_sgpr_count 2
		.amdhsa_user_sgpr_dispatch_ptr 0
		.amdhsa_user_sgpr_queue_ptr 0
		.amdhsa_user_sgpr_kernarg_segment_ptr 1
		.amdhsa_user_sgpr_dispatch_id 0
		.amdhsa_user_sgpr_kernarg_preload_length 0
		.amdhsa_user_sgpr_kernarg_preload_offset 0
		.amdhsa_user_sgpr_private_segment_size 0
		.amdhsa_uses_dynamic_stack 0
		.amdhsa_enable_private_segment 0
		.amdhsa_system_sgpr_workgroup_id_x 1
		.amdhsa_system_sgpr_workgroup_id_y 0
		.amdhsa_system_sgpr_workgroup_id_z 0
		.amdhsa_system_sgpr_workgroup_info 0
		.amdhsa_system_vgpr_workitem_id 1
		.amdhsa_next_free_vgpr 63
		.amdhsa_next_free_sgpr 35
		.amdhsa_accum_offset 64
		.amdhsa_reserve_vcc 1
		.amdhsa_float_round_mode_32 0
		.amdhsa_float_round_mode_16_64 0
		.amdhsa_float_denorm_mode_32 3
		.amdhsa_float_denorm_mode_16_64 3
		.amdhsa_dx10_clamp 1
		.amdhsa_ieee_mode 1
		.amdhsa_fp16_overflow 0
		.amdhsa_tg_split 0
		.amdhsa_exception_fp_ieee_invalid_op 0
		.amdhsa_exception_fp_denorm_src 0
		.amdhsa_exception_fp_ieee_div_zero 0
		.amdhsa_exception_fp_ieee_overflow 0
		.amdhsa_exception_fp_ieee_underflow 0
		.amdhsa_exception_fp_ieee_inexact 0
		.amdhsa_exception_int_div_zero 0
	.end_amdhsa_kernel
	.section	.text._Z17wvSplitKQ_hf_sml_I14__hip_bfloat16N3c1013Float8_e4m3fnELi32ELi2ELi16ELi16ELi2ELi2EEviiiiiiPKT0_S5_PKT_PS6_PKfSB_ii,"axG",@progbits,_Z17wvSplitKQ_hf_sml_I14__hip_bfloat16N3c1013Float8_e4m3fnELi32ELi2ELi16ELi16ELi2ELi2EEviiiiiiPKT0_S5_PKT_PS6_PKfSB_ii,comdat
.Lfunc_end374:
	.size	_Z17wvSplitKQ_hf_sml_I14__hip_bfloat16N3c1013Float8_e4m3fnELi32ELi2ELi16ELi16ELi2ELi2EEviiiiiiPKT0_S5_PKT_PS6_PKfSB_ii, .Lfunc_end374-_Z17wvSplitKQ_hf_sml_I14__hip_bfloat16N3c1013Float8_e4m3fnELi32ELi2ELi16ELi16ELi2ELi2EEviiiiiiPKT0_S5_PKT_PS6_PKfSB_ii
                                        ; -- End function
	.section	.AMDGPU.csdata,"",@progbits
; Kernel info:
; codeLenInByte = 2436
; NumSgprs: 41
; NumVgprs: 63
; NumAgprs: 0
; TotalNumVgprs: 63
; ScratchSize: 0
; MemoryBound: 0
; FloatMode: 240
; IeeeMode: 1
; LDSByteSize: 65536 bytes/workgroup (compile time only)
; SGPRBlocks: 5
; VGPRBlocks: 7
; NumSGPRsForWavesPerEU: 41
; NumVGPRsForWavesPerEU: 63
; AccumOffset: 64
; Occupancy: 2
; WaveLimiterHint : 0
; COMPUTE_PGM_RSRC2:SCRATCH_EN: 0
; COMPUTE_PGM_RSRC2:USER_SGPR: 2
; COMPUTE_PGM_RSRC2:TRAP_HANDLER: 0
; COMPUTE_PGM_RSRC2:TGID_X_EN: 1
; COMPUTE_PGM_RSRC2:TGID_Y_EN: 0
; COMPUTE_PGM_RSRC2:TGID_Z_EN: 0
; COMPUTE_PGM_RSRC2:TIDIG_COMP_CNT: 1
; COMPUTE_PGM_RSRC3_GFX90A:ACCUM_OFFSET: 15
; COMPUTE_PGM_RSRC3_GFX90A:TG_SPLIT: 0
	.section	.text._Z13wvSplitKQ_hf_I14__hip_bfloat16N3c1013Float8_e4m3fnELi32ELi2ELi16ELi16ELi2ELi2EEviiiiiiPKT0_S5_PKT_PS6_PKfSB_ii,"axG",@progbits,_Z13wvSplitKQ_hf_I14__hip_bfloat16N3c1013Float8_e4m3fnELi32ELi2ELi16ELi16ELi2ELi2EEviiiiiiPKT0_S5_PKT_PS6_PKfSB_ii,comdat
	.protected	_Z13wvSplitKQ_hf_I14__hip_bfloat16N3c1013Float8_e4m3fnELi32ELi2ELi16ELi16ELi2ELi2EEviiiiiiPKT0_S5_PKT_PS6_PKfSB_ii ; -- Begin function _Z13wvSplitKQ_hf_I14__hip_bfloat16N3c1013Float8_e4m3fnELi32ELi2ELi16ELi16ELi2ELi2EEviiiiiiPKT0_S5_PKT_PS6_PKfSB_ii
	.globl	_Z13wvSplitKQ_hf_I14__hip_bfloat16N3c1013Float8_e4m3fnELi32ELi2ELi16ELi16ELi2ELi2EEviiiiiiPKT0_S5_PKT_PS6_PKfSB_ii
	.p2align	8
	.type	_Z13wvSplitKQ_hf_I14__hip_bfloat16N3c1013Float8_e4m3fnELi32ELi2ELi16ELi16ELi2ELi2EEviiiiiiPKT0_S5_PKT_PS6_PKfSB_ii,@function
_Z13wvSplitKQ_hf_I14__hip_bfloat16N3c1013Float8_e4m3fnELi32ELi2ELi16ELi16ELi2ELi2EEviiiiiiPKT0_S5_PKT_PS6_PKfSB_ii: ; @_Z13wvSplitKQ_hf_I14__hip_bfloat16N3c1013Float8_e4m3fnELi32ELi2ELi16ELi16ELi2ELi2EEviiiiiiPKT0_S5_PKT_PS6_PKfSB_ii
; %bb.0:
	s_load_dwordx4 s[16:19], s[0:1], 0x0
	s_load_dwordx2 s[6:7], s[0:1], 0x20
	v_and_b32_e32 v4, 0x3ff, v0
	v_bfe_u32 v5, v0, 10, 10
	v_lshlrev_b32_e32 v56, 4, v4
	s_waitcnt lgkmcnt(0)
	s_lshl_b32 s3, s17, 1
	v_lshl_add_u32 v0, v5, 9, v56
	s_min_u32 s3, s3, 0x10000
	v_cmp_gt_u32_e32 vcc, s3, v0
	s_and_saveexec_b64 s[4:5], vcc
	s_cbranch_execz .LBB375_9
; %bb.1:
	global_load_dwordx4 v[6:9], v0, s[6:7]
	v_add_u32_e32 v1, 0x2000, v0
	v_cmp_gt_u32_e32 vcc, s3, v1
	s_waitcnt vmcnt(0)
	ds_write_b128 v0, v[6:9]
	s_and_saveexec_b64 s[8:9], vcc
	s_xor_b64 s[8:9], exec, s[8:9]
	s_cbranch_execz .LBB375_9
; %bb.2:
	v_mov_b32_e32 v1, 0
	v_lshl_add_u64 v[2:3], s[6:7], 0, v[0:1]
	v_add_co_u32_e32 v6, vcc, 0x2000, v2
	v_add_u32_e32 v1, 0x4000, v0
	s_nop 0
	v_addc_co_u32_e32 v7, vcc, 0, v3, vcc
	global_load_dwordx4 v[6:9], v[6:7], off
	v_cmp_gt_u32_e32 vcc, s3, v1
	s_waitcnt vmcnt(0)
	ds_write_b128 v0, v[6:9] offset:8192
	s_and_saveexec_b64 s[8:9], vcc
	s_xor_b64 s[8:9], exec, s[8:9]
	s_cbranch_execz .LBB375_9
; %bb.3:
	v_add_co_u32_e32 v6, vcc, 0x4000, v2
	v_add_u32_e32 v1, 0x6000, v0
	s_nop 0
	v_addc_co_u32_e32 v7, vcc, 0, v3, vcc
	global_load_dwordx4 v[6:9], v[6:7], off
	v_cmp_gt_u32_e32 vcc, s3, v1
	s_waitcnt vmcnt(0)
	ds_write_b128 v0, v[6:9] offset:16384
	s_and_saveexec_b64 s[8:9], vcc
	s_xor_b64 s[8:9], exec, s[8:9]
	s_cbranch_execz .LBB375_9
; %bb.4:
	;; [unrolled: 12-line block ×6, first 2 shown]
	v_add_co_u32_e32 v2, vcc, 0xe000, v2
	s_nop 1
	v_addc_co_u32_e32 v3, vcc, 0, v3, vcc
	global_load_dwordx4 v[6:9], v[2:3], off
	s_waitcnt vmcnt(0)
	ds_write_b128 v0, v[6:9] offset:57344
.LBB375_9:
	s_or_b64 exec, exec, s[4:5]
	s_load_dwordx2 s[4:5], s[0:1], 0x48
	;;#ASMSTART
	s_waitcnt vmcnt(0)
	;;#ASMEND
	s_waitcnt lgkmcnt(0)
	s_barrier
	v_cmp_gt_u32_e32 vcc, s4, v5
	s_and_saveexec_b64 s[8:9], vcc
	s_cbranch_execz .LBB375_59
; %bb.10:
	s_load_dwordx2 s[20:21], s[0:1], 0x10
	s_mul_i32 s2, s2, s4
	v_add_lshl_u32 v48, s2, v5, 1
	v_cmp_gt_u32_e32 vcc, s19, v48
	s_and_b64 exec, exec, vcc
	s_cbranch_execz .LBB375_59
; %bb.11:
	v_mbcnt_lo_u32_b32 v0, -1, 0
	v_mbcnt_hi_u32_b32 v0, -1, v0
	v_and_b32_e32 v1, 63, v0
	v_cmp_lt_u32_e32 vcc, 43, v1
	s_load_dwordx8 s[8:15], s[0:1], 0x28
	s_load_dwordx2 s[22:23], s[0:1], 0x18
	v_cndmask_b32_e64 v2, 20, 0, vcc
	v_add_lshl_u32 v57, v2, v0, 2
	s_waitcnt lgkmcnt(0)
	v_cvt_f32_u32_e32 v2, s20
	v_cmp_lt_u32_e32 vcc, 23, v1
	s_cmp_lg_u32 s16, 0
	s_cselect_b64 s[2:3], -1, 0
	v_cndmask_b32_e64 v1, 40, 0, vcc
	v_add_lshl_u32 v58, v1, v0, 2
	v_rcp_iflag_f32_e32 v0, v2
	s_add_i32 s33, s16, -16
	s_add_i32 s34, s19, -1
	s_mul_i32 s4, s4, s5
	v_mul_f32_e32 v0, 0x4f7ffffe, v0
	v_cvt_u32_f32_e32 v0, v0
	s_cmp_lg_u64 s[8:9], 0
	s_load_dword s30, s[12:13], 0x0
	s_load_dword s31, s[14:15], 0x0
	s_cselect_b64 s[14:15], -1, 0
	s_lshl_b32 s35, s4, 1
	s_sub_i32 s4, 0, s20
	v_mul_lo_u32 v1, s4, v0
	s_abs_i32 s4, s21
	s_sub_i32 s5, 1, s4
	s_cmp_lt_u32 s4, 2
	s_cselect_b32 s5, s5, 1
	s_sub_i32 s21, s5, s4
	v_mul_hi_u32 v1, v0, v1
	s_cmp_ge_u32 s5, s4
	v_add_u32_e32 v59, v0, v1
	s_cselect_b32 s21, s21, s5
	v_cndmask_b32_e64 v0, 0, 1, s[2:3]
	v_cmp_eq_u32_e64 s[0:1], 0, v4
	s_mov_b64 s[12:13], 0
	v_mov_b32_e32 v51, 0
	s_mul_i32 s21, s21, s20
	v_cmp_ne_u32_e64 s[2:3], 1, v0
	s_mov_b32 s36, 0xffff
	s_mov_b32 s37, 0x7f800000
	s_movk_i32 s38, 0x7fff
	s_branch .LBB375_14
.LBB375_12:                             ;   in Loop: Header=BB375_14 Depth=1
	s_or_b64 exec, exec, s[4:5]
	v_add_u32_e32 v50, s19, v60
	v_lshl_add_u64 v[2:3], v[50:51], 1, s[10:11]
	global_store_short_d16_hi v[2:3], v0, off
.LBB375_13:                             ;   in Loop: Header=BB375_14 Depth=1
	s_or_b64 exec, exec, s[24:25]
	v_add_u32_e32 v48, s35, v48
	v_cmp_le_u32_e32 vcc, s19, v48
	s_or_b64 s[12:13], vcc, s[12:13]
	s_andn2_b64 exec, exec, s[12:13]
	s_cbranch_execz .LBB375_59
.LBB375_14:                             ; =>This Loop Header: Depth=1
                                        ;     Child Loop BB375_19 Depth 2
	s_and_b64 vcc, exec, s[2:3]
	v_or_b32_e32 v60, 1, v48
	v_mov_b32_e32 v15, v51
	v_mov_b32_e32 v14, v51
	;; [unrolled: 1-line block ×5, first 2 shown]
	s_waitcnt lgkmcnt(0)
	v_mov_b32_e32 v10, v51
	v_mov_b32_e32 v9, v51
	;; [unrolled: 1-line block ×4, first 2 shown]
	s_waitcnt vmcnt(2)
	v_mov_b32_e32 v6, v51
	v_mov_b32_e32 v5, v51
	;; [unrolled: 1-line block ×7, first 2 shown]
	s_cbranch_vccnz .LBB375_37
; %bb.15:                               ;   in Loop: Header=BB375_14 Depth=1
	v_min_u32_e32 v0, s34, v48
	v_mul_lo_u32 v52, v0, s18
	v_min_u32_e32 v0, s34, v60
	v_mul_lo_u32 v54, v0, s18
	v_mov_b32_e32 v0, 0
	v_mov_b32_e32 v53, v51
	;; [unrolled: 1-line block ×3, first 2 shown]
	s_mov_b32 s28, 0
	v_mov_b32_e32 v1, v0
	v_mov_b32_e32 v2, v0
	;; [unrolled: 1-line block ×15, first 2 shown]
	s_branch .LBB375_19
.LBB375_16:                             ;   in Loop: Header=BB375_19 Depth=2
	s_or_b64 exec, exec, s[26:27]
.LBB375_17:                             ;   in Loop: Header=BB375_19 Depth=2
	s_or_b64 exec, exec, s[24:25]
.LBB375_18:                             ;   in Loop: Header=BB375_19 Depth=2
	s_or_b64 exec, exec, s[4:5]
	s_waitcnt vmcnt(0) lgkmcnt(0)
	v_mfma_f32_16x16x32_fp8_fp8 v[12:15], v[32:33], v[24:25], v[12:15]
	s_addk_i32 s28, 0x400
	s_cmp_ge_u32 s28, s16
	v_mfma_f32_16x16x32_fp8_fp8 v[8:11], v[32:33], v[28:29], v[8:11]
	v_mfma_f32_16x16x32_fp8_fp8 v[4:7], v[36:37], v[24:25], v[4:7]
	;; [unrolled: 1-line block ×15, first 2 shown]
	s_cbranch_scc1 .LBB375_37
.LBB375_19:                             ;   Parent Loop BB375_14 Depth=1
                                        ; =>  This Inner Loop Header: Depth=2
	v_add_u32_e32 v61, s28, v56
	v_min_u32_e32 v50, s33, v61
	v_lshl_add_u64 v[16:17], s[22:23], 0, v[50:51]
	v_add_u32_e32 v49, 0x200, v61
	v_lshl_add_u64 v[18:19], v[16:17], 0, v[52:53]
	v_lshl_add_u64 v[16:17], v[16:17], 0, v[54:55]
	v_min_u32_e32 v50, s33, v49
	global_load_dwordx4 v[24:27], v[18:19], off nt
	global_load_dwordx4 v[28:31], v[16:17], off nt
	v_lshl_add_u64 v[16:17], s[22:23], 0, v[50:51]
	v_lshl_add_u64 v[32:33], v[16:17], 0, v[52:53]
	;; [unrolled: 1-line block ×3, first 2 shown]
	global_load_dwordx4 v[20:23], v[32:33], off nt
	global_load_dwordx4 v[16:19], v[34:35], off nt
	v_mov_b64_e32 v[46:47], 0
	v_cmp_gt_u32_e32 vcc, s16, v61
	v_mov_b64_e32 v[44:45], v[46:47]
	v_mov_b64_e32 v[38:39], v[46:47]
	;; [unrolled: 1-line block ×7, first 2 shown]
	s_and_saveexec_b64 s[4:5], vcc
	s_cbranch_execz .LBB375_18
; %bb.20:                               ;   in Loop: Header=BB375_19 Depth=2
	v_cmp_lt_u32_e32 vcc, s36, v61
                                        ; implicit-def: $vgpr34_vgpr35
	s_and_saveexec_b64 s[24:25], vcc
	s_xor_b64 s[24:25], exec, s[24:25]
	s_cbranch_execz .LBB375_22
; %bb.21:                               ;   in Loop: Header=BB375_19 Depth=2
	global_load_dwordx4 v[32:35], v61, s[6:7]
.LBB375_22:                             ;   in Loop: Header=BB375_19 Depth=2
	s_andn2_saveexec_b64 s[24:25], s[24:25]
	s_cbranch_execz .LBB375_24
; %bb.23:                               ;   in Loop: Header=BB375_19 Depth=2
	s_waitcnt vmcnt(0)
	ds_read_b128 v[32:35], v61
.LBB375_24:                             ;   in Loop: Header=BB375_19 Depth=2
	s_or_b64 exec, exec, s[24:25]
	v_add_u32_e32 v50, s17, v61
	v_cmp_lt_u32_e32 vcc, s36, v50
                                        ; implicit-def: $vgpr38_vgpr39
	s_and_saveexec_b64 s[24:25], vcc
	s_xor_b64 s[24:25], exec, s[24:25]
	s_cbranch_execz .LBB375_26
; %bb.25:                               ;   in Loop: Header=BB375_19 Depth=2
	global_load_dwordx4 v[36:39], v50, s[6:7]
.LBB375_26:                             ;   in Loop: Header=BB375_19 Depth=2
	s_andn2_saveexec_b64 s[24:25], s[24:25]
	s_cbranch_execz .LBB375_28
; %bb.27:                               ;   in Loop: Header=BB375_19 Depth=2
	s_waitcnt vmcnt(0)
	ds_read_b128 v[36:39], v50
.LBB375_28:                             ;   in Loop: Header=BB375_19 Depth=2
	s_or_b64 exec, exec, s[24:25]
	v_mov_b64_e32 v[46:47], 0
	v_cmp_gt_u32_e32 vcc, s16, v49
	v_mov_b64_e32 v[44:45], v[46:47]
	v_mov_b64_e32 v[42:43], v[46:47]
	;; [unrolled: 1-line block ×3, first 2 shown]
	s_and_saveexec_b64 s[24:25], vcc
	s_cbranch_execz .LBB375_17
; %bb.29:                               ;   in Loop: Header=BB375_19 Depth=2
	v_cmp_lt_u32_e32 vcc, s36, v49
                                        ; implicit-def: $vgpr42_vgpr43
	s_and_saveexec_b64 s[26:27], vcc
	s_xor_b64 s[26:27], exec, s[26:27]
	s_cbranch_execz .LBB375_31
; %bb.30:                               ;   in Loop: Header=BB375_19 Depth=2
	global_load_dwordx4 v[40:43], v49, s[6:7]
                                        ; implicit-def: $vgpr61
.LBB375_31:                             ;   in Loop: Header=BB375_19 Depth=2
	s_andn2_saveexec_b64 s[26:27], s[26:27]
	s_cbranch_execz .LBB375_33
; %bb.32:                               ;   in Loop: Header=BB375_19 Depth=2
	s_waitcnt vmcnt(0)
	ds_read_b128 v[40:43], v61 offset:512
.LBB375_33:                             ;   in Loop: Header=BB375_19 Depth=2
	s_or_b64 exec, exec, s[26:27]
	v_add_u32_e32 v44, s17, v49
	v_cmp_lt_u32_e32 vcc, s36, v44
                                        ; implicit-def: $vgpr46_vgpr47
	s_and_saveexec_b64 s[26:27], vcc
	s_xor_b64 s[26:27], exec, s[26:27]
	s_cbranch_execz .LBB375_35
; %bb.34:                               ;   in Loop: Header=BB375_19 Depth=2
	global_load_dwordx4 v[44:47], v44, s[6:7]
                                        ; implicit-def: $vgpr50
.LBB375_35:                             ;   in Loop: Header=BB375_19 Depth=2
	s_andn2_saveexec_b64 s[26:27], s[26:27]
	s_cbranch_execz .LBB375_16
; %bb.36:                               ;   in Loop: Header=BB375_19 Depth=2
	s_waitcnt vmcnt(0)
	ds_read_b128 v[44:47], v50 offset:512
	s_branch .LBB375_16
.LBB375_37:                             ;   in Loop: Header=BB375_14 Depth=1
	s_nop 2
	v_cvt_i32_f32_e32 v13, v13
	v_cvt_i32_f32_e32 v14, v14
	;; [unrolled: 1-line block ×4, first 2 shown]
	v_cvt_f32_i32_dpp v13, v13 row_shl:1 row_mask:0xf bank_mask:0xf bound_ctrl:1
	v_cvt_i32_f32_e32 v1, v1
	v_cvt_f32_i32_dpp v14, v14 row_shl:2 row_mask:0xf bank_mask:0xf bound_ctrl:1
	v_cvt_i32_f32_e32 v10, v10
	v_cvt_i32_f32_e32 v6, v6
	;; [unrolled: 1-line block ×5, first 2 shown]
	v_cvt_f32_i32_dpp v5, v5 row_shl:1 row_mask:0xf bank_mask:0xf bound_ctrl:1
	v_cvt_i32_f32_e32 v7, v7
	v_cvt_i32_f32_e32 v3, v3
	v_cvt_f32_i32_dpp v9, v9 row_shl:1 row_mask:0xf bank_mask:0xf bound_ctrl:1
	v_add_f32_e32 v12, v12, v13
	v_cvt_f32_i32_dpp v1, v1 row_shl:1 row_mask:0xf bank_mask:0xf bound_ctrl:1
	v_add_f32_e32 v12, v12, v14
	v_cvt_f32_i32_dpp v14, v10 row_shl:2 row_mask:0xf bank_mask:0xf bound_ctrl:1
	v_cvt_f32_i32_dpp v6, v6 row_shl:2 row_mask:0xf bank_mask:0xf bound_ctrl:1
	;; [unrolled: 1-line block ×5, first 2 shown]
	v_add_f32_e32 v4, v4, v5
	v_cvt_f32_i32_dpp v5, v7 row_shl:3 row_mask:0xf bank_mask:0xf bound_ctrl:1
	v_cvt_f32_i32_dpp v3, v3 row_shl:3 row_mask:0xf bank_mask:0xf bound_ctrl:1
	v_add_f32_e32 v8, v8, v9
	v_add_f32_e32 v0, v0, v1
	;; [unrolled: 1-line block ×9, first 2 shown]
	ds_bpermute_b32 v13, v57, v12
	ds_bpermute_b32 v11, v57, v8
	;; [unrolled: 1-line block ×4, first 2 shown]
	s_waitcnt lgkmcnt(0)
	v_add_f32_e32 v9, v12, v13
	v_add_f32_e32 v7, v8, v11
	;; [unrolled: 1-line block ×4, first 2 shown]
	ds_bpermute_b32 v10, v58, v9
	ds_bpermute_b32 v8, v58, v7
	;; [unrolled: 1-line block ×4, first 2 shown]
	s_and_saveexec_b64 s[24:25], s[0:1]
	s_cbranch_execz .LBB375_13
; %bb.38:                               ;   in Loop: Header=BB375_14 Depth=1
	s_andn2_b64 vcc, exec, s[14:15]
	v_mov_b32_e32 v6, 0
	v_mov_b32_e32 v11, 0
	;; [unrolled: 1-line block ×4, first 2 shown]
	s_cbranch_vccnz .LBB375_40
; %bb.39:                               ;   in Loop: Header=BB375_14 Depth=1
	v_mul_hi_u32 v0, v48, v59
	v_mul_lo_u32 v0, v0, s20
	v_sub_u32_e32 v0, v48, v0
	v_subrev_u32_e32 v1, s20, v0
	v_cmp_le_u32_e32 vcc, s20, v0
	s_nop 1
	v_cndmask_b32_e32 v0, v0, v1, vcc
	v_subrev_u32_e32 v1, s20, v0
	v_cmp_le_u32_e32 vcc, s20, v0
	s_nop 1
	v_cndmask_b32_e32 v50, v0, v1, vcc
	v_mul_hi_u32 v0, v60, v59
	v_mul_lo_u32 v0, v0, s20
	v_sub_u32_e32 v0, v60, v0
	v_subrev_u32_e32 v1, s20, v0
	v_cmp_le_u32_e32 vcc, s20, v0
	v_lshl_add_u64 v[14:15], v[50:51], 1, s[8:9]
	v_add_u32_e32 v50, s21, v50
	v_cndmask_b32_e32 v0, v0, v1, vcc
	v_subrev_u32_e32 v1, s20, v0
	v_cmp_le_u32_e32 vcc, s20, v0
	v_lshl_add_u64 v[18:19], v[50:51], 1, s[8:9]
	s_nop 0
	v_cndmask_b32_e32 v0, v0, v1, vcc
	v_mov_b32_e32 v1, v51
	v_add_u32_e32 v50, s21, v0
	v_lshl_add_u64 v[16:17], v[0:1], 1, s[8:9]
	v_lshl_add_u64 v[20:21], v[50:51], 1, s[8:9]
	global_load_ushort v0, v[14:15], off
	global_load_ushort v12, v[16:17], off
	;; [unrolled: 1-line block ×4, first 2 shown]
.LBB375_40:                             ;   in Loop: Header=BB375_14 Depth=1
	s_waitcnt lgkmcnt(3)
	v_add_f32_e32 v1, v9, v10
	v_mul_f32_e32 v1, s30, v1
	s_waitcnt vmcnt(3)
	v_lshlrev_b32_e32 v0, 16, v0
	v_fmac_f32_e32 v0, s31, v1
	v_and_b32_e32 v1, 0x7f800000, v0
	v_cmp_ne_u32_e32 vcc, s37, v1
                                        ; implicit-def: $vgpr9
	s_and_saveexec_b64 s[4:5], vcc
	s_xor_b64 s[4:5], exec, s[4:5]
; %bb.41:                               ;   in Loop: Header=BB375_14 Depth=1
	v_bfe_u32 v1, v0, 16, 1
	v_add3_u32 v9, v0, v1, s38
                                        ; implicit-def: $vgpr0
; %bb.42:                               ;   in Loop: Header=BB375_14 Depth=1
	s_andn2_saveexec_b64 s[4:5], s[4:5]
; %bb.43:                               ;   in Loop: Header=BB375_14 Depth=1
	v_or_b32_e32 v1, 0x10000, v0
	v_cmp_eq_u32_sdwa vcc, v0, v51 src0_sel:WORD_0 src1_sel:DWORD
	s_nop 1
	v_cndmask_b32_e32 v9, v1, v0, vcc
; %bb.44:                               ;   in Loop: Header=BB375_14 Depth=1
	s_or_b64 exec, exec, s[4:5]
	v_mov_b32_e32 v49, v51
	v_lshl_add_u64 v[0:1], v[48:49], 1, s[10:11]
	v_cmp_gt_u32_e32 vcc, s19, v60
	global_store_short_d16_hi v[0:1], v9, off
	s_and_saveexec_b64 s[26:27], vcc
	s_cbranch_execz .LBB375_50
; %bb.45:                               ;   in Loop: Header=BB375_14 Depth=1
	s_waitcnt lgkmcnt(2)
	v_add_f32_e32 v7, v7, v8
	v_mul_f32_e32 v8, s30, v7
	s_waitcnt vmcnt(3)
	v_lshlrev_b32_e32 v7, 16, v12
	v_fmac_f32_e32 v7, s31, v8
	v_and_b32_e32 v8, 0x7f800000, v7
	v_cmp_ne_u32_e64 s[4:5], s37, v8
                                        ; implicit-def: $vgpr8
	s_and_saveexec_b64 s[28:29], s[4:5]
	s_xor_b64 s[4:5], exec, s[28:29]
; %bb.46:                               ;   in Loop: Header=BB375_14 Depth=1
	v_bfe_u32 v8, v7, 16, 1
	v_add3_u32 v8, v7, v8, s38
                                        ; implicit-def: $vgpr7
; %bb.47:                               ;   in Loop: Header=BB375_14 Depth=1
	s_andn2_saveexec_b64 s[28:29], s[4:5]
; %bb.48:                               ;   in Loop: Header=BB375_14 Depth=1
	v_or_b32_e32 v8, 0x10000, v7
	v_cmp_eq_u32_sdwa s[4:5], v7, v51 src0_sel:WORD_0 src1_sel:DWORD
	s_nop 1
	v_cndmask_b32_e64 v8, v8, v7, s[4:5]
; %bb.49:                               ;   in Loop: Header=BB375_14 Depth=1
	s_or_b64 exec, exec, s[28:29]
	global_store_short_d16_hi v[0:1], v8, off offset:2
.LBB375_50:                             ;   in Loop: Header=BB375_14 Depth=1
	s_or_b64 exec, exec, s[26:27]
	s_waitcnt lgkmcnt(1)
	v_add_f32_e32 v0, v4, v5
	v_mul_f32_e32 v1, s30, v0
	s_waitcnt vmcnt(2)
	v_lshlrev_b32_e32 v0, 16, v11
	v_fmac_f32_e32 v0, s31, v1
	v_and_b32_e32 v1, 0x7f800000, v0
	v_cmp_ne_u32_e64 s[4:5], s37, v1
                                        ; implicit-def: $vgpr1
	s_and_saveexec_b64 s[26:27], s[4:5]
	s_xor_b64 s[4:5], exec, s[26:27]
; %bb.51:                               ;   in Loop: Header=BB375_14 Depth=1
	v_bfe_u32 v1, v0, 16, 1
	v_add3_u32 v1, v0, v1, s38
                                        ; implicit-def: $vgpr0
; %bb.52:                               ;   in Loop: Header=BB375_14 Depth=1
	s_andn2_saveexec_b64 s[26:27], s[4:5]
; %bb.53:                               ;   in Loop: Header=BB375_14 Depth=1
	v_or_b32_e32 v1, 0x10000, v0
	v_cmp_eq_u32_sdwa s[4:5], v0, v51 src0_sel:WORD_0 src1_sel:DWORD
	s_nop 1
	v_cndmask_b32_e64 v1, v1, v0, s[4:5]
; %bb.54:                               ;   in Loop: Header=BB375_14 Depth=1
	s_or_b64 exec, exec, s[26:27]
	v_add_u32_e32 v50, s19, v48
	v_lshl_add_u64 v[4:5], v[50:51], 1, s[10:11]
	global_store_short_d16_hi v[4:5], v1, off
	s_and_b64 exec, exec, vcc
	s_cbranch_execz .LBB375_13
; %bb.55:                               ;   in Loop: Header=BB375_14 Depth=1
	s_waitcnt lgkmcnt(0)
	v_add_f32_e32 v0, v2, v3
	v_mul_f32_e32 v0, s30, v0
	s_waitcnt vmcnt(2)
	v_lshlrev_b32_e32 v1, 16, v6
	v_fmac_f32_e32 v1, s31, v0
	v_and_b32_e32 v0, 0x7f800000, v1
	v_cmp_ne_u32_e32 vcc, s37, v0
                                        ; implicit-def: $vgpr0
	s_and_saveexec_b64 s[4:5], vcc
	s_xor_b64 s[4:5], exec, s[4:5]
; %bb.56:                               ;   in Loop: Header=BB375_14 Depth=1
	v_bfe_u32 v0, v1, 16, 1
	v_add3_u32 v0, v1, v0, s38
                                        ; implicit-def: $vgpr1
; %bb.57:                               ;   in Loop: Header=BB375_14 Depth=1
	s_andn2_saveexec_b64 s[4:5], s[4:5]
	s_cbranch_execz .LBB375_12
; %bb.58:                               ;   in Loop: Header=BB375_14 Depth=1
	v_or_b32_e32 v0, 0x10000, v1
	v_cmp_eq_u32_sdwa vcc, v1, v51 src0_sel:WORD_0 src1_sel:DWORD
	s_nop 1
	v_cndmask_b32_e32 v0, v0, v1, vcc
	s_branch .LBB375_12
.LBB375_59:
	s_endpgm
	.section	.rodata,"a",@progbits
	.p2align	6, 0x0
	.amdhsa_kernel _Z13wvSplitKQ_hf_I14__hip_bfloat16N3c1013Float8_e4m3fnELi32ELi2ELi16ELi16ELi2ELi2EEviiiiiiPKT0_S5_PKT_PS6_PKfSB_ii
		.amdhsa_group_segment_fixed_size 65536
		.amdhsa_private_segment_fixed_size 0
		.amdhsa_kernarg_size 80
		.amdhsa_user_sgpr_count 2
		.amdhsa_user_sgpr_dispatch_ptr 0
		.amdhsa_user_sgpr_queue_ptr 0
		.amdhsa_user_sgpr_kernarg_segment_ptr 1
		.amdhsa_user_sgpr_dispatch_id 0
		.amdhsa_user_sgpr_kernarg_preload_length 0
		.amdhsa_user_sgpr_kernarg_preload_offset 0
		.amdhsa_user_sgpr_private_segment_size 0
		.amdhsa_uses_dynamic_stack 0
		.amdhsa_enable_private_segment 0
		.amdhsa_system_sgpr_workgroup_id_x 1
		.amdhsa_system_sgpr_workgroup_id_y 0
		.amdhsa_system_sgpr_workgroup_id_z 0
		.amdhsa_system_sgpr_workgroup_info 0
		.amdhsa_system_vgpr_workitem_id 1
		.amdhsa_next_free_vgpr 62
		.amdhsa_next_free_sgpr 39
		.amdhsa_accum_offset 64
		.amdhsa_reserve_vcc 1
		.amdhsa_float_round_mode_32 0
		.amdhsa_float_round_mode_16_64 0
		.amdhsa_float_denorm_mode_32 3
		.amdhsa_float_denorm_mode_16_64 3
		.amdhsa_dx10_clamp 1
		.amdhsa_ieee_mode 1
		.amdhsa_fp16_overflow 0
		.amdhsa_tg_split 0
		.amdhsa_exception_fp_ieee_invalid_op 0
		.amdhsa_exception_fp_denorm_src 0
		.amdhsa_exception_fp_ieee_div_zero 0
		.amdhsa_exception_fp_ieee_overflow 0
		.amdhsa_exception_fp_ieee_underflow 0
		.amdhsa_exception_fp_ieee_inexact 0
		.amdhsa_exception_int_div_zero 0
	.end_amdhsa_kernel
	.section	.text._Z13wvSplitKQ_hf_I14__hip_bfloat16N3c1013Float8_e4m3fnELi32ELi2ELi16ELi16ELi2ELi2EEviiiiiiPKT0_S5_PKT_PS6_PKfSB_ii,"axG",@progbits,_Z13wvSplitKQ_hf_I14__hip_bfloat16N3c1013Float8_e4m3fnELi32ELi2ELi16ELi16ELi2ELi2EEviiiiiiPKT0_S5_PKT_PS6_PKfSB_ii,comdat
.Lfunc_end375:
	.size	_Z13wvSplitKQ_hf_I14__hip_bfloat16N3c1013Float8_e4m3fnELi32ELi2ELi16ELi16ELi2ELi2EEviiiiiiPKT0_S5_PKT_PS6_PKfSB_ii, .Lfunc_end375-_Z13wvSplitKQ_hf_I14__hip_bfloat16N3c1013Float8_e4m3fnELi32ELi2ELi16ELi16ELi2ELi2EEviiiiiiPKT0_S5_PKT_PS6_PKfSB_ii
                                        ; -- End function
	.section	.AMDGPU.csdata,"",@progbits
; Kernel info:
; codeLenInByte = 2572
; NumSgprs: 45
; NumVgprs: 62
; NumAgprs: 0
; TotalNumVgprs: 62
; ScratchSize: 0
; MemoryBound: 1
; FloatMode: 240
; IeeeMode: 1
; LDSByteSize: 65536 bytes/workgroup (compile time only)
; SGPRBlocks: 5
; VGPRBlocks: 7
; NumSGPRsForWavesPerEU: 45
; NumVGPRsForWavesPerEU: 62
; AccumOffset: 64
; Occupancy: 2
; WaveLimiterHint : 0
; COMPUTE_PGM_RSRC2:SCRATCH_EN: 0
; COMPUTE_PGM_RSRC2:USER_SGPR: 2
; COMPUTE_PGM_RSRC2:TRAP_HANDLER: 0
; COMPUTE_PGM_RSRC2:TGID_X_EN: 1
; COMPUTE_PGM_RSRC2:TGID_Y_EN: 0
; COMPUTE_PGM_RSRC2:TGID_Z_EN: 0
; COMPUTE_PGM_RSRC2:TIDIG_COMP_CNT: 1
; COMPUTE_PGM_RSRC3_GFX90A:ACCUM_OFFSET: 15
; COMPUTE_PGM_RSRC3_GFX90A:TG_SPLIT: 0
	.section	.text._Z17wvSplitKQ_hf_sml_I14__hip_bfloat16N3c1013Float8_e4m3fnELi64ELi2ELi16ELi16ELi2ELi2EEviiiiiiPKT0_S5_PKT_PS6_PKfSB_ii,"axG",@progbits,_Z17wvSplitKQ_hf_sml_I14__hip_bfloat16N3c1013Float8_e4m3fnELi64ELi2ELi16ELi16ELi2ELi2EEviiiiiiPKT0_S5_PKT_PS6_PKfSB_ii,comdat
	.protected	_Z17wvSplitKQ_hf_sml_I14__hip_bfloat16N3c1013Float8_e4m3fnELi64ELi2ELi16ELi16ELi2ELi2EEviiiiiiPKT0_S5_PKT_PS6_PKfSB_ii ; -- Begin function _Z17wvSplitKQ_hf_sml_I14__hip_bfloat16N3c1013Float8_e4m3fnELi64ELi2ELi16ELi16ELi2ELi2EEviiiiiiPKT0_S5_PKT_PS6_PKfSB_ii
	.globl	_Z17wvSplitKQ_hf_sml_I14__hip_bfloat16N3c1013Float8_e4m3fnELi64ELi2ELi16ELi16ELi2ELi2EEviiiiiiPKT0_S5_PKT_PS6_PKfSB_ii
	.p2align	8
	.type	_Z17wvSplitKQ_hf_sml_I14__hip_bfloat16N3c1013Float8_e4m3fnELi64ELi2ELi16ELi16ELi2ELi2EEviiiiiiPKT0_S5_PKT_PS6_PKfSB_ii,@function
_Z17wvSplitKQ_hf_sml_I14__hip_bfloat16N3c1013Float8_e4m3fnELi64ELi2ELi16ELi16ELi2ELi2EEviiiiiiPKT0_S5_PKT_PS6_PKfSB_ii: ; @_Z17wvSplitKQ_hf_sml_I14__hip_bfloat16N3c1013Float8_e4m3fnELi64ELi2ELi16ELi16ELi2ELi2EEviiiiiiPKT0_S5_PKT_PS6_PKfSB_ii
; %bb.0:
	s_load_dwordx4 s[8:11], s[0:1], 0x0
	s_load_dwordx2 s[12:13], s[0:1], 0x10
	s_load_dwordx4 s[4:7], s[0:1], 0x38
	s_load_dwordx2 s[14:15], s[0:1], 0x28
	v_and_b32_e32 v2, 0x3ff, v0
	v_bfe_u32 v3, v0, 10, 10
	v_lshlrev_b32_e32 v48, 4, v2
	s_waitcnt lgkmcnt(0)
	s_lshl_b32 s3, s9, 1
	v_lshl_add_u32 v4, v3, 10, v48
	s_min_u32 s3, s3, 0x10000
	v_cmp_gt_u32_e32 vcc, s3, v4
	s_and_saveexec_b64 s[16:17], vcc
	s_cbranch_execz .LBB376_3
; %bb.1:
	s_load_dwordx2 s[18:19], s[0:1], 0x20
	v_mov_b32_e32 v1, 0
	v_lshlrev_b32_e32 v0, 10, v3
	v_mov_b32_e32 v49, v1
	v_lshl_add_u64 v[0:1], v[0:1], 0, v[48:49]
	s_waitcnt lgkmcnt(0)
	v_lshl_add_u64 v[0:1], s[18:19], 0, v[0:1]
	s_mov_b64 s[18:19], 0
	s_mov_b64 s[20:21], 0x4000
.LBB376_2:                              ; =>This Inner Loop Header: Depth=1
	global_load_dwordx4 v[6:9], v[0:1], off
	v_lshl_add_u64 v[0:1], v[0:1], 0, s[20:21]
	s_waitcnt vmcnt(0)
	ds_write_b128 v4, v[6:9]
	v_add_u32_e32 v4, 0x4000, v4
	v_cmp_le_u32_e32 vcc, s3, v4
	s_or_b64 s[18:19], vcc, s[18:19]
	s_andn2_b64 exec, exec, s[18:19]
	s_cbranch_execnz .LBB376_2
.LBB376_3:
	s_or_b64 exec, exec, s[16:17]
	s_load_dwordx2 s[20:21], s[0:1], 0x48
	;;#ASMSTART
	s_waitcnt vmcnt(0)
	;;#ASMEND
	s_waitcnt lgkmcnt(0)
	s_barrier
	v_cmp_gt_u32_e32 vcc, s20, v3
	s_and_saveexec_b64 s[16:17], vcc
	s_cbranch_execz .LBB376_37
; %bb.4:
	s_mul_i32 s2, s2, s20
	v_add_lshl_u32 v50, s2, v3, 1
	v_cmp_gt_u32_e32 vcc, s11, v50
	s_and_b64 exec, exec, vcc
	s_cbranch_execz .LBB376_37
; %bb.5:
	v_mbcnt_lo_u32_b32 v0, -1, 0
	v_mbcnt_hi_u32_b32 v0, -1, v0
	v_and_b32_e32 v1, 63, v0
	v_cmp_lt_u32_e32 vcc, 43, v1
	s_cmp_lg_u32 s8, 0
	s_cselect_b64 s[2:3], -1, 0
	v_cndmask_b32_e64 v3, 20, 0, vcc
	v_add_lshl_u32 v49, v3, v0, 2
	v_cvt_f32_u32_e32 v3, s12
	v_cmp_lt_u32_e32 vcc, 23, v1
	s_add_i32 s30, s8, -16
	s_add_i32 s31, s11, -1
	v_cndmask_b32_e64 v1, 40, 0, vcc
	v_add_lshl_u32 v58, v1, v0, 2
	v_rcp_iflag_f32_e32 v0, v3
	s_load_dword s28, s[4:5], 0x0
	s_load_dword s29, s[6:7], 0x0
	s_load_dwordx2 s[16:17], s[0:1], 0x18
	s_load_dwordx2 s[18:19], s[0:1], 0x30
	s_mul_i32 s4, s20, s21
	s_cmp_lg_u64 s[14:15], 0
	v_mul_f32_e32 v0, 0x4f7ffffe, v0
	v_cvt_u32_f32_e32 v0, v0
	s_cselect_b64 s[20:21], -1, 0
	s_lshl_b32 s33, s4, 1
	s_sub_i32 s4, 0, s12
	v_mul_lo_u32 v1, s4, v0
	s_abs_i32 s4, s13
	s_sub_i32 s5, 1, s4
	s_cmp_lt_u32 s4, 2
	s_cselect_b32 s5, s5, 1
	s_sub_i32 s13, s5, s4
	v_mul_hi_u32 v1, v0, v1
	s_cmp_ge_u32 s5, s4
	v_add_u32_e32 v59, v0, v1
	s_cselect_b32 s13, s13, s5
	v_cndmask_b32_e64 v0, 0, 1, s[2:3]
	v_cmp_eq_u32_e64 s[0:1], 0, v2
	s_mov_b64 s[6:7], 0
	v_mov_b32_e32 v53, 0
	s_mul_i32 s13, s13, s12
	v_add_u32_e32 v60, s9, v48
	v_cmp_ne_u32_e64 s[2:3], 1, v0
	s_mov_b32 s9, 0x7f800000
	s_movk_i32 s34, 0x7fff
	s_branch .LBB376_8
.LBB376_6:                              ;   in Loop: Header=BB376_8 Depth=1
	s_or_b64 exec, exec, s[4:5]
	v_add_u32_e32 v52, s11, v61
	v_lshl_add_u64 v[2:3], v[52:53], 1, s[18:19]
	global_store_short_d16_hi v[2:3], v0, off
.LBB376_7:                              ;   in Loop: Header=BB376_8 Depth=1
	s_or_b64 exec, exec, s[22:23]
	v_add_u32_e32 v50, s33, v50
	v_cmp_le_u32_e32 vcc, s11, v50
	s_or_b64 s[6:7], vcc, s[6:7]
	s_andn2_b64 exec, exec, s[6:7]
	s_cbranch_execz .LBB376_37
.LBB376_8:                              ; =>This Loop Header: Depth=1
                                        ;     Child Loop BB376_12 Depth 2
	s_and_b64 vcc, exec, s[2:3]
	v_or_b32_e32 v61, 1, v50
	v_mov_b32_e32 v15, v53
	v_mov_b32_e32 v14, v53
	;; [unrolled: 1-line block ×5, first 2 shown]
	s_waitcnt lgkmcnt(0)
	v_mov_b32_e32 v10, v53
	v_mov_b32_e32 v9, v53
	;; [unrolled: 1-line block ×4, first 2 shown]
	s_waitcnt vmcnt(2)
	v_mov_b32_e32 v6, v53
	v_mov_b32_e32 v5, v53
	;; [unrolled: 1-line block ×7, first 2 shown]
	s_cbranch_vccnz .LBB376_15
; %bb.9:                                ;   in Loop: Header=BB376_8 Depth=1
	v_min_u32_e32 v0, s31, v50
	v_mul_lo_u32 v54, v0, s10
	v_min_u32_e32 v0, s31, v61
	v_mul_lo_u32 v56, v0, s10
	v_mov_b32_e32 v0, 0
	v_mov_b32_e32 v55, v53
	;; [unrolled: 1-line block ×3, first 2 shown]
	s_mov_b32 s24, 0
	v_mov_b32_e32 v1, v0
	v_mov_b32_e32 v2, v0
	;; [unrolled: 1-line block ×15, first 2 shown]
	s_branch .LBB376_12
.LBB376_10:                             ;   in Loop: Header=BB376_12 Depth=2
	s_or_b64 exec, exec, s[22:23]
.LBB376_11:                             ;   in Loop: Header=BB376_12 Depth=2
	s_or_b64 exec, exec, s[4:5]
	s_waitcnt vmcnt(3) lgkmcnt(1)
	v_mfma_f32_16x16x32_fp8_fp8 v[12:15], v[40:41], v[28:29], v[12:15]
	s_addk_i32 s24, 0x800
	s_cmp_ge_u32 s24, s8
	s_waitcnt vmcnt(2)
	v_mfma_f32_16x16x32_fp8_fp8 v[8:11], v[40:41], v[32:33], v[8:11]
	s_waitcnt lgkmcnt(0)
	v_mfma_f32_16x16x32_fp8_fp8 v[4:7], v[44:45], v[28:29], v[4:7]
	v_mfma_f32_16x16x32_fp8_fp8 v[0:3], v[44:45], v[32:33], v[0:3]
	;; [unrolled: 1-line block ×6, first 2 shown]
	s_waitcnt vmcnt(1)
	v_mfma_f32_16x16x32_fp8_fp8 v[12:15], v[36:37], v[20:21], v[12:15]
	s_waitcnt vmcnt(0)
	v_mfma_f32_16x16x32_fp8_fp8 v[8:11], v[36:37], v[16:17], v[8:11]
	v_mfma_f32_16x16x32_fp8_fp8 v[4:7], v[24:25], v[20:21], v[4:7]
	;; [unrolled: 1-line block ×7, first 2 shown]
	s_cbranch_scc1 .LBB376_15
.LBB376_12:                             ;   Parent Loop BB376_8 Depth=1
                                        ; =>  This Inner Loop Header: Depth=2
	v_add_u32_e32 v51, s24, v48
	v_min_u32_e32 v52, s30, v51
	s_waitcnt lgkmcnt(0)
	v_lshl_add_u64 v[16:17], s[16:17], 0, v[52:53]
	v_add_u32_e32 v62, 0x400, v51
	v_lshl_add_u64 v[18:19], v[16:17], 0, v[54:55]
	v_lshl_add_u64 v[16:17], v[16:17], 0, v[56:57]
	v_min_u32_e32 v52, s30, v62
	global_load_dwordx4 v[28:31], v[18:19], off nt
	global_load_dwordx4 v[32:35], v[16:17], off nt
	v_lshl_add_u64 v[16:17], s[16:17], 0, v[52:53]
	v_lshl_add_u64 v[24:25], v[16:17], 0, v[54:55]
	;; [unrolled: 1-line block ×3, first 2 shown]
	global_load_dwordx4 v[20:23], v[24:25], off nt
	global_load_dwordx4 v[16:19], v[26:27], off nt
	v_mov_b64_e32 v[40:41], 0
	v_cmp_gt_u32_e32 vcc, s8, v51
	v_mov_b64_e32 v[42:43], v[40:41]
	v_mov_b64_e32 v[36:37], v[40:41]
	;; [unrolled: 1-line block ×7, first 2 shown]
	s_and_saveexec_b64 s[4:5], vcc
	s_cbranch_execz .LBB376_11
; %bb.13:                               ;   in Loop: Header=BB376_12 Depth=2
	v_add_u32_e32 v52, s24, v60
	ds_read_b128 v[40:43], v51
	ds_read_b128 v[44:47], v52
	v_mov_b64_e32 v[26:27], 0
	v_cmp_gt_u32_e32 vcc, s8, v62
	v_mov_b64_e32 v[24:25], v[26:27]
	v_mov_b64_e32 v[38:39], v[26:27]
	;; [unrolled: 1-line block ×3, first 2 shown]
	s_and_saveexec_b64 s[22:23], vcc
	s_cbranch_execz .LBB376_10
; %bb.14:                               ;   in Loop: Header=BB376_12 Depth=2
	ds_read_b128 v[36:39], v51 offset:1024
	ds_read_b128 v[24:27], v52 offset:1024
	s_branch .LBB376_10
.LBB376_15:                             ;   in Loop: Header=BB376_8 Depth=1
	s_nop 2
	v_cvt_i32_f32_e32 v13, v13
	v_cvt_i32_f32_e32 v14, v14
	;; [unrolled: 1-line block ×4, first 2 shown]
	v_cvt_f32_i32_dpp v13, v13 row_shl:1 row_mask:0xf bank_mask:0xf bound_ctrl:1
	v_cvt_i32_f32_e32 v1, v1
	v_cvt_f32_i32_dpp v14, v14 row_shl:2 row_mask:0xf bank_mask:0xf bound_ctrl:1
	v_cvt_i32_f32_e32 v10, v10
	v_cvt_i32_f32_e32 v6, v6
	v_cvt_i32_f32_e32 v2, v2
	v_cvt_i32_f32_e32 v15, v15
	v_cvt_i32_f32_e32 v11, v11
	v_cvt_f32_i32_dpp v5, v5 row_shl:1 row_mask:0xf bank_mask:0xf bound_ctrl:1
	v_cvt_i32_f32_e32 v7, v7
	v_cvt_i32_f32_e32 v3, v3
	v_cvt_f32_i32_dpp v9, v9 row_shl:1 row_mask:0xf bank_mask:0xf bound_ctrl:1
	v_add_f32_e32 v12, v12, v13
	v_cvt_f32_i32_dpp v1, v1 row_shl:1 row_mask:0xf bank_mask:0xf bound_ctrl:1
	v_add_f32_e32 v12, v12, v14
	v_cvt_f32_i32_dpp v14, v10 row_shl:2 row_mask:0xf bank_mask:0xf bound_ctrl:1
	v_cvt_f32_i32_dpp v6, v6 row_shl:2 row_mask:0xf bank_mask:0xf bound_ctrl:1
	;; [unrolled: 1-line block ×5, first 2 shown]
	v_add_f32_e32 v4, v4, v5
	v_cvt_f32_i32_dpp v5, v7 row_shl:3 row_mask:0xf bank_mask:0xf bound_ctrl:1
	v_cvt_f32_i32_dpp v3, v3 row_shl:3 row_mask:0xf bank_mask:0xf bound_ctrl:1
	v_add_f32_e32 v8, v8, v9
	v_add_f32_e32 v0, v0, v1
	;; [unrolled: 1-line block ×9, first 2 shown]
	ds_bpermute_b32 v13, v49, v12
	ds_bpermute_b32 v11, v49, v8
	;; [unrolled: 1-line block ×4, first 2 shown]
	s_waitcnt lgkmcnt(0)
	v_add_f32_e32 v9, v12, v13
	v_add_f32_e32 v7, v8, v11
	;; [unrolled: 1-line block ×4, first 2 shown]
	ds_bpermute_b32 v10, v58, v9
	ds_bpermute_b32 v8, v58, v7
	;; [unrolled: 1-line block ×4, first 2 shown]
	s_and_saveexec_b64 s[22:23], s[0:1]
	s_cbranch_execz .LBB376_7
; %bb.16:                               ;   in Loop: Header=BB376_8 Depth=1
	s_andn2_b64 vcc, exec, s[20:21]
	v_mov_b32_e32 v6, 0
	v_mov_b32_e32 v11, 0
	;; [unrolled: 1-line block ×4, first 2 shown]
	s_cbranch_vccnz .LBB376_18
; %bb.17:                               ;   in Loop: Header=BB376_8 Depth=1
	v_mul_hi_u32 v0, v50, v59
	v_mul_lo_u32 v0, v0, s12
	v_sub_u32_e32 v0, v50, v0
	v_subrev_u32_e32 v1, s12, v0
	v_cmp_le_u32_e32 vcc, s12, v0
	s_nop 1
	v_cndmask_b32_e32 v0, v0, v1, vcc
	v_subrev_u32_e32 v1, s12, v0
	v_cmp_le_u32_e32 vcc, s12, v0
	s_nop 1
	v_cndmask_b32_e32 v52, v0, v1, vcc
	v_mul_hi_u32 v0, v61, v59
	v_mul_lo_u32 v0, v0, s12
	v_sub_u32_e32 v0, v61, v0
	v_subrev_u32_e32 v1, s12, v0
	v_cmp_le_u32_e32 vcc, s12, v0
	v_lshl_add_u64 v[14:15], v[52:53], 1, s[14:15]
	v_add_u32_e32 v52, s13, v52
	v_cndmask_b32_e32 v0, v0, v1, vcc
	v_subrev_u32_e32 v1, s12, v0
	v_cmp_le_u32_e32 vcc, s12, v0
	v_lshl_add_u64 v[18:19], v[52:53], 1, s[14:15]
	s_nop 0
	v_cndmask_b32_e32 v0, v0, v1, vcc
	v_mov_b32_e32 v1, v53
	v_add_u32_e32 v52, s13, v0
	v_lshl_add_u64 v[16:17], v[0:1], 1, s[14:15]
	v_lshl_add_u64 v[20:21], v[52:53], 1, s[14:15]
	global_load_ushort v0, v[14:15], off
	global_load_ushort v12, v[16:17], off
	;; [unrolled: 1-line block ×4, first 2 shown]
.LBB376_18:                             ;   in Loop: Header=BB376_8 Depth=1
	s_waitcnt lgkmcnt(3)
	v_add_f32_e32 v1, v9, v10
	v_mul_f32_e32 v1, s28, v1
	s_waitcnt vmcnt(3)
	v_lshlrev_b32_e32 v0, 16, v0
	v_fmac_f32_e32 v0, s29, v1
	v_and_b32_e32 v1, 0x7f800000, v0
	v_cmp_ne_u32_e32 vcc, s9, v1
                                        ; implicit-def: $vgpr9
	s_and_saveexec_b64 s[4:5], vcc
	s_xor_b64 s[4:5], exec, s[4:5]
; %bb.19:                               ;   in Loop: Header=BB376_8 Depth=1
	v_bfe_u32 v1, v0, 16, 1
	v_add3_u32 v9, v0, v1, s34
                                        ; implicit-def: $vgpr0
; %bb.20:                               ;   in Loop: Header=BB376_8 Depth=1
	s_andn2_saveexec_b64 s[4:5], s[4:5]
; %bb.21:                               ;   in Loop: Header=BB376_8 Depth=1
	v_or_b32_e32 v1, 0x10000, v0
	v_cmp_eq_u32_sdwa vcc, v0, v53 src0_sel:WORD_0 src1_sel:DWORD
	s_nop 1
	v_cndmask_b32_e32 v9, v1, v0, vcc
; %bb.22:                               ;   in Loop: Header=BB376_8 Depth=1
	s_or_b64 exec, exec, s[4:5]
	v_mov_b32_e32 v51, v53
	v_lshl_add_u64 v[0:1], v[50:51], 1, s[18:19]
	v_cmp_gt_u32_e32 vcc, s11, v61
	global_store_short_d16_hi v[0:1], v9, off
	s_and_saveexec_b64 s[24:25], vcc
	s_cbranch_execz .LBB376_28
; %bb.23:                               ;   in Loop: Header=BB376_8 Depth=1
	s_waitcnt lgkmcnt(2)
	v_add_f32_e32 v7, v7, v8
	v_mul_f32_e32 v8, s28, v7
	s_waitcnt vmcnt(3)
	v_lshlrev_b32_e32 v7, 16, v12
	v_fmac_f32_e32 v7, s29, v8
	v_and_b32_e32 v8, 0x7f800000, v7
	v_cmp_ne_u32_e64 s[4:5], s9, v8
                                        ; implicit-def: $vgpr8
	s_and_saveexec_b64 s[26:27], s[4:5]
	s_xor_b64 s[4:5], exec, s[26:27]
; %bb.24:                               ;   in Loop: Header=BB376_8 Depth=1
	v_bfe_u32 v8, v7, 16, 1
	v_add3_u32 v8, v7, v8, s34
                                        ; implicit-def: $vgpr7
; %bb.25:                               ;   in Loop: Header=BB376_8 Depth=1
	s_andn2_saveexec_b64 s[26:27], s[4:5]
; %bb.26:                               ;   in Loop: Header=BB376_8 Depth=1
	v_or_b32_e32 v8, 0x10000, v7
	v_cmp_eq_u32_sdwa s[4:5], v7, v53 src0_sel:WORD_0 src1_sel:DWORD
	s_nop 1
	v_cndmask_b32_e64 v8, v8, v7, s[4:5]
; %bb.27:                               ;   in Loop: Header=BB376_8 Depth=1
	s_or_b64 exec, exec, s[26:27]
	global_store_short_d16_hi v[0:1], v8, off offset:2
.LBB376_28:                             ;   in Loop: Header=BB376_8 Depth=1
	s_or_b64 exec, exec, s[24:25]
	s_waitcnt lgkmcnt(1)
	v_add_f32_e32 v0, v4, v5
	v_mul_f32_e32 v1, s28, v0
	s_waitcnt vmcnt(2)
	v_lshlrev_b32_e32 v0, 16, v11
	v_fmac_f32_e32 v0, s29, v1
	v_and_b32_e32 v1, 0x7f800000, v0
	v_cmp_ne_u32_e64 s[4:5], s9, v1
                                        ; implicit-def: $vgpr1
	s_and_saveexec_b64 s[24:25], s[4:5]
	s_xor_b64 s[4:5], exec, s[24:25]
; %bb.29:                               ;   in Loop: Header=BB376_8 Depth=1
	v_bfe_u32 v1, v0, 16, 1
	v_add3_u32 v1, v0, v1, s34
                                        ; implicit-def: $vgpr0
; %bb.30:                               ;   in Loop: Header=BB376_8 Depth=1
	s_andn2_saveexec_b64 s[24:25], s[4:5]
; %bb.31:                               ;   in Loop: Header=BB376_8 Depth=1
	v_or_b32_e32 v1, 0x10000, v0
	v_cmp_eq_u32_sdwa s[4:5], v0, v53 src0_sel:WORD_0 src1_sel:DWORD
	s_nop 1
	v_cndmask_b32_e64 v1, v1, v0, s[4:5]
; %bb.32:                               ;   in Loop: Header=BB376_8 Depth=1
	s_or_b64 exec, exec, s[24:25]
	v_add_u32_e32 v52, s11, v50
	v_lshl_add_u64 v[4:5], v[52:53], 1, s[18:19]
	global_store_short_d16_hi v[4:5], v1, off
	s_and_b64 exec, exec, vcc
	s_cbranch_execz .LBB376_7
; %bb.33:                               ;   in Loop: Header=BB376_8 Depth=1
	s_waitcnt lgkmcnt(0)
	v_add_f32_e32 v0, v2, v3
	v_mul_f32_e32 v0, s28, v0
	s_waitcnt vmcnt(2)
	v_lshlrev_b32_e32 v1, 16, v6
	v_fmac_f32_e32 v1, s29, v0
	v_and_b32_e32 v0, 0x7f800000, v1
	v_cmp_ne_u32_e32 vcc, s9, v0
                                        ; implicit-def: $vgpr0
	s_and_saveexec_b64 s[4:5], vcc
	s_xor_b64 s[4:5], exec, s[4:5]
; %bb.34:                               ;   in Loop: Header=BB376_8 Depth=1
	v_bfe_u32 v0, v1, 16, 1
	v_add3_u32 v0, v1, v0, s34
                                        ; implicit-def: $vgpr1
; %bb.35:                               ;   in Loop: Header=BB376_8 Depth=1
	s_andn2_saveexec_b64 s[4:5], s[4:5]
	s_cbranch_execz .LBB376_6
; %bb.36:                               ;   in Loop: Header=BB376_8 Depth=1
	v_or_b32_e32 v0, 0x10000, v1
	v_cmp_eq_u32_sdwa vcc, v1, v53 src0_sel:WORD_0 src1_sel:DWORD
	s_nop 1
	v_cndmask_b32_e32 v0, v0, v1, vcc
	s_branch .LBB376_6
.LBB376_37:
	s_endpgm
	.section	.rodata,"a",@progbits
	.p2align	6, 0x0
	.amdhsa_kernel _Z17wvSplitKQ_hf_sml_I14__hip_bfloat16N3c1013Float8_e4m3fnELi64ELi2ELi16ELi16ELi2ELi2EEviiiiiiPKT0_S5_PKT_PS6_PKfSB_ii
		.amdhsa_group_segment_fixed_size 65536
		.amdhsa_private_segment_fixed_size 0
		.amdhsa_kernarg_size 80
		.amdhsa_user_sgpr_count 2
		.amdhsa_user_sgpr_dispatch_ptr 0
		.amdhsa_user_sgpr_queue_ptr 0
		.amdhsa_user_sgpr_kernarg_segment_ptr 1
		.amdhsa_user_sgpr_dispatch_id 0
		.amdhsa_user_sgpr_kernarg_preload_length 0
		.amdhsa_user_sgpr_kernarg_preload_offset 0
		.amdhsa_user_sgpr_private_segment_size 0
		.amdhsa_uses_dynamic_stack 0
		.amdhsa_enable_private_segment 0
		.amdhsa_system_sgpr_workgroup_id_x 1
		.amdhsa_system_sgpr_workgroup_id_y 0
		.amdhsa_system_sgpr_workgroup_id_z 0
		.amdhsa_system_sgpr_workgroup_info 0
		.amdhsa_system_vgpr_workitem_id 1
		.amdhsa_next_free_vgpr 63
		.amdhsa_next_free_sgpr 35
		.amdhsa_accum_offset 64
		.amdhsa_reserve_vcc 1
		.amdhsa_float_round_mode_32 0
		.amdhsa_float_round_mode_16_64 0
		.amdhsa_float_denorm_mode_32 3
		.amdhsa_float_denorm_mode_16_64 3
		.amdhsa_dx10_clamp 1
		.amdhsa_ieee_mode 1
		.amdhsa_fp16_overflow 0
		.amdhsa_tg_split 0
		.amdhsa_exception_fp_ieee_invalid_op 0
		.amdhsa_exception_fp_denorm_src 0
		.amdhsa_exception_fp_ieee_div_zero 0
		.amdhsa_exception_fp_ieee_overflow 0
		.amdhsa_exception_fp_ieee_underflow 0
		.amdhsa_exception_fp_ieee_inexact 0
		.amdhsa_exception_int_div_zero 0
	.end_amdhsa_kernel
	.section	.text._Z17wvSplitKQ_hf_sml_I14__hip_bfloat16N3c1013Float8_e4m3fnELi64ELi2ELi16ELi16ELi2ELi2EEviiiiiiPKT0_S5_PKT_PS6_PKfSB_ii,"axG",@progbits,_Z17wvSplitKQ_hf_sml_I14__hip_bfloat16N3c1013Float8_e4m3fnELi64ELi2ELi16ELi16ELi2ELi2EEviiiiiiPKT0_S5_PKT_PS6_PKfSB_ii,comdat
.Lfunc_end376:
	.size	_Z17wvSplitKQ_hf_sml_I14__hip_bfloat16N3c1013Float8_e4m3fnELi64ELi2ELi16ELi16ELi2ELi2EEviiiiiiPKT0_S5_PKT_PS6_PKfSB_ii, .Lfunc_end376-_Z17wvSplitKQ_hf_sml_I14__hip_bfloat16N3c1013Float8_e4m3fnELi64ELi2ELi16ELi16ELi2ELi2EEviiiiiiPKT0_S5_PKT_PS6_PKfSB_ii
                                        ; -- End function
	.section	.AMDGPU.csdata,"",@progbits
; Kernel info:
; codeLenInByte = 2080
; NumSgprs: 41
; NumVgprs: 63
; NumAgprs: 0
; TotalNumVgprs: 63
; ScratchSize: 0
; MemoryBound: 0
; FloatMode: 240
; IeeeMode: 1
; LDSByteSize: 65536 bytes/workgroup (compile time only)
; SGPRBlocks: 5
; VGPRBlocks: 7
; NumSGPRsForWavesPerEU: 41
; NumVGPRsForWavesPerEU: 63
; AccumOffset: 64
; Occupancy: 4
; WaveLimiterHint : 0
; COMPUTE_PGM_RSRC2:SCRATCH_EN: 0
; COMPUTE_PGM_RSRC2:USER_SGPR: 2
; COMPUTE_PGM_RSRC2:TRAP_HANDLER: 0
; COMPUTE_PGM_RSRC2:TGID_X_EN: 1
; COMPUTE_PGM_RSRC2:TGID_Y_EN: 0
; COMPUTE_PGM_RSRC2:TGID_Z_EN: 0
; COMPUTE_PGM_RSRC2:TIDIG_COMP_CNT: 1
; COMPUTE_PGM_RSRC3_GFX90A:ACCUM_OFFSET: 15
; COMPUTE_PGM_RSRC3_GFX90A:TG_SPLIT: 0
	.section	.text._Z13wvSplitKQ_hf_I14__hip_bfloat16N3c1013Float8_e4m3fnELi64ELi2ELi16ELi16ELi2ELi2EEviiiiiiPKT0_S5_PKT_PS6_PKfSB_ii,"axG",@progbits,_Z13wvSplitKQ_hf_I14__hip_bfloat16N3c1013Float8_e4m3fnELi64ELi2ELi16ELi16ELi2ELi2EEviiiiiiPKT0_S5_PKT_PS6_PKfSB_ii,comdat
	.protected	_Z13wvSplitKQ_hf_I14__hip_bfloat16N3c1013Float8_e4m3fnELi64ELi2ELi16ELi16ELi2ELi2EEviiiiiiPKT0_S5_PKT_PS6_PKfSB_ii ; -- Begin function _Z13wvSplitKQ_hf_I14__hip_bfloat16N3c1013Float8_e4m3fnELi64ELi2ELi16ELi16ELi2ELi2EEviiiiiiPKT0_S5_PKT_PS6_PKfSB_ii
	.globl	_Z13wvSplitKQ_hf_I14__hip_bfloat16N3c1013Float8_e4m3fnELi64ELi2ELi16ELi16ELi2ELi2EEviiiiiiPKT0_S5_PKT_PS6_PKfSB_ii
	.p2align	8
	.type	_Z13wvSplitKQ_hf_I14__hip_bfloat16N3c1013Float8_e4m3fnELi64ELi2ELi16ELi16ELi2ELi2EEviiiiiiPKT0_S5_PKT_PS6_PKfSB_ii,@function
_Z13wvSplitKQ_hf_I14__hip_bfloat16N3c1013Float8_e4m3fnELi64ELi2ELi16ELi16ELi2ELi2EEviiiiiiPKT0_S5_PKT_PS6_PKfSB_ii: ; @_Z13wvSplitKQ_hf_I14__hip_bfloat16N3c1013Float8_e4m3fnELi64ELi2ELi16ELi16ELi2ELi2EEviiiiiiPKT0_S5_PKT_PS6_PKfSB_ii
; %bb.0:
	s_load_dwordx4 s[8:11], s[0:1], 0x0
	s_load_dwordx2 s[16:17], s[0:1], 0x10
	s_load_dwordx4 s[4:7], s[0:1], 0x38
	s_load_dwordx4 s[12:15], s[0:1], 0x20
	v_and_b32_e32 v2, 0x3ff, v0
	v_bfe_u32 v3, v0, 10, 10
	v_lshlrev_b32_e32 v48, 4, v2
	s_waitcnt lgkmcnt(0)
	s_lshl_b32 s3, s9, 1
	v_lshl_add_u32 v4, v3, 10, v48
	s_min_u32 s3, s3, 0x10000
	v_cmp_gt_u32_e32 vcc, s3, v4
	s_and_saveexec_b64 s[18:19], vcc
	s_cbranch_execz .LBB377_3
; %bb.1:
	v_mov_b32_e32 v1, 0
	v_lshlrev_b32_e32 v0, 10, v3
	v_mov_b32_e32 v49, v1
	v_lshl_add_u64 v[0:1], v[0:1], 0, v[48:49]
	v_lshl_add_u64 v[0:1], s[12:13], 0, v[0:1]
	s_mov_b64 s[20:21], 0
	s_mov_b64 s[22:23], 0x4000
.LBB377_2:                              ; =>This Inner Loop Header: Depth=1
	global_load_dwordx4 v[6:9], v[0:1], off
	v_lshl_add_u64 v[0:1], v[0:1], 0, s[22:23]
	s_waitcnt vmcnt(0)
	ds_write_b128 v4, v[6:9]
	v_add_u32_e32 v4, 0x4000, v4
	v_cmp_le_u32_e32 vcc, s3, v4
	s_or_b64 s[20:21], vcc, s[20:21]
	s_andn2_b64 exec, exec, s[20:21]
	s_cbranch_execnz .LBB377_2
.LBB377_3:
	s_or_b64 exec, exec, s[18:19]
	s_load_dwordx2 s[22:23], s[0:1], 0x48
	;;#ASMSTART
	s_waitcnt vmcnt(0)
	;;#ASMEND
	s_waitcnt lgkmcnt(0)
	s_barrier
	v_cmp_gt_u32_e32 vcc, s22, v3
	s_and_saveexec_b64 s[18:19], vcc
	s_cbranch_execz .LBB377_53
; %bb.4:
	s_mul_i32 s2, s2, s22
	v_add_lshl_u32 v50, s2, v3, 1
	v_cmp_gt_u32_e32 vcc, s11, v50
	s_and_b64 exec, exec, vcc
	s_cbranch_execz .LBB377_53
; %bb.5:
	v_mbcnt_lo_u32_b32 v0, -1, 0
	v_mbcnt_hi_u32_b32 v0, -1, v0
	v_and_b32_e32 v1, 63, v0
	v_cmp_lt_u32_e32 vcc, 43, v1
	s_cmp_lg_u32 s8, 0
	s_cselect_b64 s[2:3], -1, 0
	v_cndmask_b32_e64 v3, 20, 0, vcc
	v_add_lshl_u32 v49, v3, v0, 2
	v_cvt_f32_u32_e32 v3, s16
	v_cmp_lt_u32_e32 vcc, 23, v1
	s_add_i32 s33, s8, -16
	s_add_i32 s34, s11, -1
	v_cndmask_b32_e64 v1, 40, 0, vcc
	v_add_lshl_u32 v58, v1, v0, 2
	v_rcp_iflag_f32_e32 v0, v3
	s_load_dword s30, s[4:5], 0x0
	s_load_dword s31, s[6:7], 0x0
	s_load_dwordx2 s[18:19], s[0:1], 0x18
	s_load_dwordx2 s[20:21], s[0:1], 0x30
	s_mul_i32 s4, s22, s23
	s_cmp_lg_u64 s[14:15], 0
	v_mul_f32_e32 v0, 0x4f7ffffe, v0
	v_cvt_u32_f32_e32 v0, v0
	s_cselect_b64 s[22:23], -1, 0
	s_lshl_b32 s35, s4, 1
	s_sub_i32 s4, 0, s16
	v_mul_lo_u32 v1, s4, v0
	s_abs_i32 s4, s17
	s_sub_i32 s5, 1, s4
	s_cmp_lt_u32 s4, 2
	s_cselect_b32 s5, s5, 1
	s_sub_i32 s17, s5, s4
	v_mul_hi_u32 v1, v0, v1
	s_cmp_ge_u32 s5, s4
	v_add_u32_e32 v59, v0, v1
	s_cselect_b32 s17, s17, s5
	v_cndmask_b32_e64 v0, 0, 1, s[2:3]
	v_cmp_eq_u32_e64 s[0:1], 0, v2
	s_mov_b64 s[6:7], 0
	v_mov_b32_e32 v53, 0
	s_mul_i32 s17, s17, s16
	v_cmp_ne_u32_e64 s[2:3], 1, v0
	s_mov_b32 s36, 0xffff
	s_mov_b32 s37, 0x7f800000
	s_movk_i32 s38, 0x7fff
	s_branch .LBB377_8
.LBB377_6:                              ;   in Loop: Header=BB377_8 Depth=1
	s_or_b64 exec, exec, s[4:5]
	v_add_u32_e32 v52, s11, v60
	v_lshl_add_u64 v[2:3], v[52:53], 1, s[20:21]
	global_store_short_d16_hi v[2:3], v0, off
.LBB377_7:                              ;   in Loop: Header=BB377_8 Depth=1
	s_or_b64 exec, exec, s[24:25]
	v_add_u32_e32 v50, s35, v50
	v_cmp_le_u32_e32 vcc, s11, v50
	s_or_b64 s[6:7], vcc, s[6:7]
	s_andn2_b64 exec, exec, s[6:7]
	s_cbranch_execz .LBB377_53
.LBB377_8:                              ; =>This Loop Header: Depth=1
                                        ;     Child Loop BB377_13 Depth 2
	s_and_b64 vcc, exec, s[2:3]
	v_or_b32_e32 v60, 1, v50
	v_mov_b32_e32 v15, v53
	v_mov_b32_e32 v14, v53
	;; [unrolled: 1-line block ×5, first 2 shown]
	s_waitcnt lgkmcnt(0)
	v_mov_b32_e32 v10, v53
	v_mov_b32_e32 v9, v53
	;; [unrolled: 1-line block ×4, first 2 shown]
	s_waitcnt vmcnt(2)
	v_mov_b32_e32 v6, v53
	v_mov_b32_e32 v5, v53
	;; [unrolled: 1-line block ×7, first 2 shown]
	s_cbranch_vccnz .LBB377_31
; %bb.9:                                ;   in Loop: Header=BB377_8 Depth=1
	v_min_u32_e32 v0, s34, v50
	v_mul_lo_u32 v54, v0, s10
	v_min_u32_e32 v0, s34, v60
	v_mul_lo_u32 v56, v0, s10
	v_mov_b32_e32 v0, 0
	v_mov_b32_e32 v55, v53
	;; [unrolled: 1-line block ×3, first 2 shown]
	s_mov_b32 s28, 0
	v_mov_b32_e32 v1, v0
	v_mov_b32_e32 v2, v0
	;; [unrolled: 1-line block ×15, first 2 shown]
	s_branch .LBB377_13
.LBB377_10:                             ;   in Loop: Header=BB377_13 Depth=2
	s_or_b64 exec, exec, s[26:27]
.LBB377_11:                             ;   in Loop: Header=BB377_13 Depth=2
	s_or_b64 exec, exec, s[24:25]
.LBB377_12:                             ;   in Loop: Header=BB377_13 Depth=2
	s_or_b64 exec, exec, s[4:5]
	s_waitcnt vmcnt(0) lgkmcnt(0)
	v_mfma_f32_16x16x32_fp8_fp8 v[12:15], v[32:33], v[24:25], v[12:15]
	s_addk_i32 s28, 0x800
	s_cmp_ge_u32 s28, s8
	v_mfma_f32_16x16x32_fp8_fp8 v[8:11], v[32:33], v[28:29], v[8:11]
	v_mfma_f32_16x16x32_fp8_fp8 v[4:7], v[36:37], v[24:25], v[4:7]
	;; [unrolled: 1-line block ×15, first 2 shown]
	s_cbranch_scc1 .LBB377_31
.LBB377_13:                             ;   Parent Loop BB377_8 Depth=1
                                        ; =>  This Inner Loop Header: Depth=2
	v_add_u32_e32 v61, s28, v48
	v_min_u32_e32 v52, s33, v61
	s_waitcnt lgkmcnt(0)
	v_lshl_add_u64 v[16:17], s[18:19], 0, v[52:53]
	v_add_u32_e32 v51, 0x400, v61
	v_lshl_add_u64 v[18:19], v[16:17], 0, v[54:55]
	v_lshl_add_u64 v[16:17], v[16:17], 0, v[56:57]
	v_min_u32_e32 v52, s33, v51
	global_load_dwordx4 v[24:27], v[18:19], off nt
	global_load_dwordx4 v[28:31], v[16:17], off nt
	v_lshl_add_u64 v[16:17], s[18:19], 0, v[52:53]
	v_lshl_add_u64 v[32:33], v[16:17], 0, v[54:55]
	;; [unrolled: 1-line block ×3, first 2 shown]
	global_load_dwordx4 v[20:23], v[32:33], off nt
	global_load_dwordx4 v[16:19], v[34:35], off nt
	v_mov_b64_e32 v[46:47], 0
	v_cmp_gt_u32_e32 vcc, s8, v61
	v_mov_b64_e32 v[44:45], v[46:47]
	v_mov_b64_e32 v[38:39], v[46:47]
	;; [unrolled: 1-line block ×7, first 2 shown]
	s_and_saveexec_b64 s[4:5], vcc
	s_cbranch_execz .LBB377_12
; %bb.14:                               ;   in Loop: Header=BB377_13 Depth=2
	v_cmp_lt_u32_e32 vcc, s36, v61
                                        ; implicit-def: $vgpr34_vgpr35
	s_and_saveexec_b64 s[24:25], vcc
	s_xor_b64 s[24:25], exec, s[24:25]
	s_cbranch_execz .LBB377_16
; %bb.15:                               ;   in Loop: Header=BB377_13 Depth=2
	global_load_dwordx4 v[32:35], v61, s[12:13]
.LBB377_16:                             ;   in Loop: Header=BB377_13 Depth=2
	s_andn2_saveexec_b64 s[24:25], s[24:25]
	s_cbranch_execz .LBB377_18
; %bb.17:                               ;   in Loop: Header=BB377_13 Depth=2
	s_waitcnt vmcnt(0)
	ds_read_b128 v[32:35], v61
.LBB377_18:                             ;   in Loop: Header=BB377_13 Depth=2
	s_or_b64 exec, exec, s[24:25]
	v_add_u32_e32 v52, s9, v61
	v_cmp_lt_u32_e32 vcc, s36, v52
                                        ; implicit-def: $vgpr38_vgpr39
	s_and_saveexec_b64 s[24:25], vcc
	s_xor_b64 s[24:25], exec, s[24:25]
	s_cbranch_execz .LBB377_20
; %bb.19:                               ;   in Loop: Header=BB377_13 Depth=2
	global_load_dwordx4 v[36:39], v52, s[12:13]
.LBB377_20:                             ;   in Loop: Header=BB377_13 Depth=2
	s_andn2_saveexec_b64 s[24:25], s[24:25]
	s_cbranch_execz .LBB377_22
; %bb.21:                               ;   in Loop: Header=BB377_13 Depth=2
	s_waitcnt vmcnt(0)
	ds_read_b128 v[36:39], v52
.LBB377_22:                             ;   in Loop: Header=BB377_13 Depth=2
	s_or_b64 exec, exec, s[24:25]
	v_mov_b64_e32 v[46:47], 0
	v_cmp_gt_u32_e32 vcc, s8, v51
	v_mov_b64_e32 v[44:45], v[46:47]
	v_mov_b64_e32 v[42:43], v[46:47]
	;; [unrolled: 1-line block ×3, first 2 shown]
	s_and_saveexec_b64 s[24:25], vcc
	s_cbranch_execz .LBB377_11
; %bb.23:                               ;   in Loop: Header=BB377_13 Depth=2
	v_cmp_lt_u32_e32 vcc, s36, v51
                                        ; implicit-def: $vgpr42_vgpr43
	s_and_saveexec_b64 s[26:27], vcc
	s_xor_b64 s[26:27], exec, s[26:27]
	s_cbranch_execz .LBB377_25
; %bb.24:                               ;   in Loop: Header=BB377_13 Depth=2
	global_load_dwordx4 v[40:43], v51, s[12:13]
                                        ; implicit-def: $vgpr61
.LBB377_25:                             ;   in Loop: Header=BB377_13 Depth=2
	s_andn2_saveexec_b64 s[26:27], s[26:27]
	s_cbranch_execz .LBB377_27
; %bb.26:                               ;   in Loop: Header=BB377_13 Depth=2
	s_waitcnt vmcnt(0)
	ds_read_b128 v[40:43], v61 offset:1024
.LBB377_27:                             ;   in Loop: Header=BB377_13 Depth=2
	s_or_b64 exec, exec, s[26:27]
	v_add_u32_e32 v44, s9, v51
	v_cmp_lt_u32_e32 vcc, s36, v44
                                        ; implicit-def: $vgpr46_vgpr47
	s_and_saveexec_b64 s[26:27], vcc
	s_xor_b64 s[26:27], exec, s[26:27]
	s_cbranch_execz .LBB377_29
; %bb.28:                               ;   in Loop: Header=BB377_13 Depth=2
	global_load_dwordx4 v[44:47], v44, s[12:13]
                                        ; implicit-def: $vgpr52
.LBB377_29:                             ;   in Loop: Header=BB377_13 Depth=2
	s_andn2_saveexec_b64 s[26:27], s[26:27]
	s_cbranch_execz .LBB377_10
; %bb.30:                               ;   in Loop: Header=BB377_13 Depth=2
	s_waitcnt vmcnt(0)
	ds_read_b128 v[44:47], v52 offset:1024
	s_branch .LBB377_10
.LBB377_31:                             ;   in Loop: Header=BB377_8 Depth=1
	s_nop 2
	v_cvt_i32_f32_e32 v13, v13
	v_cvt_i32_f32_e32 v14, v14
	;; [unrolled: 1-line block ×4, first 2 shown]
	v_cvt_f32_i32_dpp v13, v13 row_shl:1 row_mask:0xf bank_mask:0xf bound_ctrl:1
	v_cvt_i32_f32_e32 v1, v1
	v_cvt_f32_i32_dpp v14, v14 row_shl:2 row_mask:0xf bank_mask:0xf bound_ctrl:1
	v_cvt_i32_f32_e32 v10, v10
	v_cvt_i32_f32_e32 v6, v6
	;; [unrolled: 1-line block ×5, first 2 shown]
	v_cvt_f32_i32_dpp v5, v5 row_shl:1 row_mask:0xf bank_mask:0xf bound_ctrl:1
	v_cvt_i32_f32_e32 v7, v7
	v_cvt_i32_f32_e32 v3, v3
	v_cvt_f32_i32_dpp v9, v9 row_shl:1 row_mask:0xf bank_mask:0xf bound_ctrl:1
	v_add_f32_e32 v12, v12, v13
	v_cvt_f32_i32_dpp v1, v1 row_shl:1 row_mask:0xf bank_mask:0xf bound_ctrl:1
	v_add_f32_e32 v12, v12, v14
	v_cvt_f32_i32_dpp v14, v10 row_shl:2 row_mask:0xf bank_mask:0xf bound_ctrl:1
	v_cvt_f32_i32_dpp v6, v6 row_shl:2 row_mask:0xf bank_mask:0xf bound_ctrl:1
	;; [unrolled: 1-line block ×5, first 2 shown]
	v_add_f32_e32 v4, v4, v5
	v_cvt_f32_i32_dpp v5, v7 row_shl:3 row_mask:0xf bank_mask:0xf bound_ctrl:1
	v_cvt_f32_i32_dpp v3, v3 row_shl:3 row_mask:0xf bank_mask:0xf bound_ctrl:1
	v_add_f32_e32 v8, v8, v9
	v_add_f32_e32 v0, v0, v1
	;; [unrolled: 1-line block ×9, first 2 shown]
	ds_bpermute_b32 v13, v49, v12
	ds_bpermute_b32 v11, v49, v8
	;; [unrolled: 1-line block ×4, first 2 shown]
	s_waitcnt lgkmcnt(0)
	v_add_f32_e32 v9, v12, v13
	v_add_f32_e32 v7, v8, v11
	;; [unrolled: 1-line block ×4, first 2 shown]
	ds_bpermute_b32 v10, v58, v9
	ds_bpermute_b32 v8, v58, v7
	;; [unrolled: 1-line block ×4, first 2 shown]
	s_and_saveexec_b64 s[24:25], s[0:1]
	s_cbranch_execz .LBB377_7
; %bb.32:                               ;   in Loop: Header=BB377_8 Depth=1
	s_andn2_b64 vcc, exec, s[22:23]
	v_mov_b32_e32 v6, 0
	v_mov_b32_e32 v11, 0
	;; [unrolled: 1-line block ×4, first 2 shown]
	s_cbranch_vccnz .LBB377_34
; %bb.33:                               ;   in Loop: Header=BB377_8 Depth=1
	v_mul_hi_u32 v0, v50, v59
	v_mul_lo_u32 v0, v0, s16
	v_sub_u32_e32 v0, v50, v0
	v_subrev_u32_e32 v1, s16, v0
	v_cmp_le_u32_e32 vcc, s16, v0
	s_nop 1
	v_cndmask_b32_e32 v0, v0, v1, vcc
	v_subrev_u32_e32 v1, s16, v0
	v_cmp_le_u32_e32 vcc, s16, v0
	s_nop 1
	v_cndmask_b32_e32 v52, v0, v1, vcc
	v_mul_hi_u32 v0, v60, v59
	v_mul_lo_u32 v0, v0, s16
	v_sub_u32_e32 v0, v60, v0
	v_subrev_u32_e32 v1, s16, v0
	v_cmp_le_u32_e32 vcc, s16, v0
	v_lshl_add_u64 v[14:15], v[52:53], 1, s[14:15]
	v_add_u32_e32 v52, s17, v52
	v_cndmask_b32_e32 v0, v0, v1, vcc
	v_subrev_u32_e32 v1, s16, v0
	v_cmp_le_u32_e32 vcc, s16, v0
	v_lshl_add_u64 v[18:19], v[52:53], 1, s[14:15]
	s_nop 0
	v_cndmask_b32_e32 v0, v0, v1, vcc
	v_mov_b32_e32 v1, v53
	v_add_u32_e32 v52, s17, v0
	v_lshl_add_u64 v[16:17], v[0:1], 1, s[14:15]
	v_lshl_add_u64 v[20:21], v[52:53], 1, s[14:15]
	global_load_ushort v0, v[14:15], off
	global_load_ushort v12, v[16:17], off
	;; [unrolled: 1-line block ×4, first 2 shown]
.LBB377_34:                             ;   in Loop: Header=BB377_8 Depth=1
	s_waitcnt lgkmcnt(3)
	v_add_f32_e32 v1, v9, v10
	v_mul_f32_e32 v1, s30, v1
	s_waitcnt vmcnt(3)
	v_lshlrev_b32_e32 v0, 16, v0
	v_fmac_f32_e32 v0, s31, v1
	v_and_b32_e32 v1, 0x7f800000, v0
	v_cmp_ne_u32_e32 vcc, s37, v1
                                        ; implicit-def: $vgpr9
	s_and_saveexec_b64 s[4:5], vcc
	s_xor_b64 s[4:5], exec, s[4:5]
; %bb.35:                               ;   in Loop: Header=BB377_8 Depth=1
	v_bfe_u32 v1, v0, 16, 1
	v_add3_u32 v9, v0, v1, s38
                                        ; implicit-def: $vgpr0
; %bb.36:                               ;   in Loop: Header=BB377_8 Depth=1
	s_andn2_saveexec_b64 s[4:5], s[4:5]
; %bb.37:                               ;   in Loop: Header=BB377_8 Depth=1
	v_or_b32_e32 v1, 0x10000, v0
	v_cmp_eq_u32_sdwa vcc, v0, v53 src0_sel:WORD_0 src1_sel:DWORD
	s_nop 1
	v_cndmask_b32_e32 v9, v1, v0, vcc
; %bb.38:                               ;   in Loop: Header=BB377_8 Depth=1
	s_or_b64 exec, exec, s[4:5]
	v_mov_b32_e32 v51, v53
	v_lshl_add_u64 v[0:1], v[50:51], 1, s[20:21]
	v_cmp_gt_u32_e32 vcc, s11, v60
	global_store_short_d16_hi v[0:1], v9, off
	s_and_saveexec_b64 s[26:27], vcc
	s_cbranch_execz .LBB377_44
; %bb.39:                               ;   in Loop: Header=BB377_8 Depth=1
	s_waitcnt lgkmcnt(2)
	v_add_f32_e32 v7, v7, v8
	v_mul_f32_e32 v8, s30, v7
	s_waitcnt vmcnt(3)
	v_lshlrev_b32_e32 v7, 16, v12
	v_fmac_f32_e32 v7, s31, v8
	v_and_b32_e32 v8, 0x7f800000, v7
	v_cmp_ne_u32_e64 s[4:5], s37, v8
                                        ; implicit-def: $vgpr8
	s_and_saveexec_b64 s[28:29], s[4:5]
	s_xor_b64 s[4:5], exec, s[28:29]
; %bb.40:                               ;   in Loop: Header=BB377_8 Depth=1
	v_bfe_u32 v8, v7, 16, 1
	v_add3_u32 v8, v7, v8, s38
                                        ; implicit-def: $vgpr7
; %bb.41:                               ;   in Loop: Header=BB377_8 Depth=1
	s_andn2_saveexec_b64 s[28:29], s[4:5]
; %bb.42:                               ;   in Loop: Header=BB377_8 Depth=1
	v_or_b32_e32 v8, 0x10000, v7
	v_cmp_eq_u32_sdwa s[4:5], v7, v53 src0_sel:WORD_0 src1_sel:DWORD
	s_nop 1
	v_cndmask_b32_e64 v8, v8, v7, s[4:5]
; %bb.43:                               ;   in Loop: Header=BB377_8 Depth=1
	s_or_b64 exec, exec, s[28:29]
	global_store_short_d16_hi v[0:1], v8, off offset:2
.LBB377_44:                             ;   in Loop: Header=BB377_8 Depth=1
	s_or_b64 exec, exec, s[26:27]
	s_waitcnt lgkmcnt(1)
	v_add_f32_e32 v0, v4, v5
	v_mul_f32_e32 v1, s30, v0
	s_waitcnt vmcnt(2)
	v_lshlrev_b32_e32 v0, 16, v11
	v_fmac_f32_e32 v0, s31, v1
	v_and_b32_e32 v1, 0x7f800000, v0
	v_cmp_ne_u32_e64 s[4:5], s37, v1
                                        ; implicit-def: $vgpr1
	s_and_saveexec_b64 s[26:27], s[4:5]
	s_xor_b64 s[4:5], exec, s[26:27]
; %bb.45:                               ;   in Loop: Header=BB377_8 Depth=1
	v_bfe_u32 v1, v0, 16, 1
	v_add3_u32 v1, v0, v1, s38
                                        ; implicit-def: $vgpr0
; %bb.46:                               ;   in Loop: Header=BB377_8 Depth=1
	s_andn2_saveexec_b64 s[26:27], s[4:5]
; %bb.47:                               ;   in Loop: Header=BB377_8 Depth=1
	v_or_b32_e32 v1, 0x10000, v0
	v_cmp_eq_u32_sdwa s[4:5], v0, v53 src0_sel:WORD_0 src1_sel:DWORD
	s_nop 1
	v_cndmask_b32_e64 v1, v1, v0, s[4:5]
; %bb.48:                               ;   in Loop: Header=BB377_8 Depth=1
	s_or_b64 exec, exec, s[26:27]
	v_add_u32_e32 v52, s11, v50
	v_lshl_add_u64 v[4:5], v[52:53], 1, s[20:21]
	global_store_short_d16_hi v[4:5], v1, off
	s_and_b64 exec, exec, vcc
	s_cbranch_execz .LBB377_7
; %bb.49:                               ;   in Loop: Header=BB377_8 Depth=1
	s_waitcnt lgkmcnt(0)
	v_add_f32_e32 v0, v2, v3
	v_mul_f32_e32 v0, s30, v0
	s_waitcnt vmcnt(2)
	v_lshlrev_b32_e32 v1, 16, v6
	v_fmac_f32_e32 v1, s31, v0
	v_and_b32_e32 v0, 0x7f800000, v1
	v_cmp_ne_u32_e32 vcc, s37, v0
                                        ; implicit-def: $vgpr0
	s_and_saveexec_b64 s[4:5], vcc
	s_xor_b64 s[4:5], exec, s[4:5]
; %bb.50:                               ;   in Loop: Header=BB377_8 Depth=1
	v_bfe_u32 v0, v1, 16, 1
	v_add3_u32 v0, v1, v0, s38
                                        ; implicit-def: $vgpr1
; %bb.51:                               ;   in Loop: Header=BB377_8 Depth=1
	s_andn2_saveexec_b64 s[4:5], s[4:5]
	s_cbranch_execz .LBB377_6
; %bb.52:                               ;   in Loop: Header=BB377_8 Depth=1
	v_or_b32_e32 v0, 0x10000, v1
	v_cmp_eq_u32_sdwa vcc, v1, v53 src0_sel:WORD_0 src1_sel:DWORD
	s_nop 1
	v_cndmask_b32_e32 v0, v0, v1, vcc
	s_branch .LBB377_6
.LBB377_53:
	s_endpgm
	.section	.rodata,"a",@progbits
	.p2align	6, 0x0
	.amdhsa_kernel _Z13wvSplitKQ_hf_I14__hip_bfloat16N3c1013Float8_e4m3fnELi64ELi2ELi16ELi16ELi2ELi2EEviiiiiiPKT0_S5_PKT_PS6_PKfSB_ii
		.amdhsa_group_segment_fixed_size 65536
		.amdhsa_private_segment_fixed_size 0
		.amdhsa_kernarg_size 80
		.amdhsa_user_sgpr_count 2
		.amdhsa_user_sgpr_dispatch_ptr 0
		.amdhsa_user_sgpr_queue_ptr 0
		.amdhsa_user_sgpr_kernarg_segment_ptr 1
		.amdhsa_user_sgpr_dispatch_id 0
		.amdhsa_user_sgpr_kernarg_preload_length 0
		.amdhsa_user_sgpr_kernarg_preload_offset 0
		.amdhsa_user_sgpr_private_segment_size 0
		.amdhsa_uses_dynamic_stack 0
		.amdhsa_enable_private_segment 0
		.amdhsa_system_sgpr_workgroup_id_x 1
		.amdhsa_system_sgpr_workgroup_id_y 0
		.amdhsa_system_sgpr_workgroup_id_z 0
		.amdhsa_system_sgpr_workgroup_info 0
		.amdhsa_system_vgpr_workitem_id 1
		.amdhsa_next_free_vgpr 62
		.amdhsa_next_free_sgpr 39
		.amdhsa_accum_offset 64
		.amdhsa_reserve_vcc 1
		.amdhsa_float_round_mode_32 0
		.amdhsa_float_round_mode_16_64 0
		.amdhsa_float_denorm_mode_32 3
		.amdhsa_float_denorm_mode_16_64 3
		.amdhsa_dx10_clamp 1
		.amdhsa_ieee_mode 1
		.amdhsa_fp16_overflow 0
		.amdhsa_tg_split 0
		.amdhsa_exception_fp_ieee_invalid_op 0
		.amdhsa_exception_fp_denorm_src 0
		.amdhsa_exception_fp_ieee_div_zero 0
		.amdhsa_exception_fp_ieee_overflow 0
		.amdhsa_exception_fp_ieee_underflow 0
		.amdhsa_exception_fp_ieee_inexact 0
		.amdhsa_exception_int_div_zero 0
	.end_amdhsa_kernel
	.section	.text._Z13wvSplitKQ_hf_I14__hip_bfloat16N3c1013Float8_e4m3fnELi64ELi2ELi16ELi16ELi2ELi2EEviiiiiiPKT0_S5_PKT_PS6_PKfSB_ii,"axG",@progbits,_Z13wvSplitKQ_hf_I14__hip_bfloat16N3c1013Float8_e4m3fnELi64ELi2ELi16ELi16ELi2ELi2EEviiiiiiPKT0_S5_PKT_PS6_PKfSB_ii,comdat
.Lfunc_end377:
	.size	_Z13wvSplitKQ_hf_I14__hip_bfloat16N3c1013Float8_e4m3fnELi64ELi2ELi16ELi16ELi2ELi2EEviiiiiiPKT0_S5_PKT_PS6_PKfSB_ii, .Lfunc_end377-_Z13wvSplitKQ_hf_I14__hip_bfloat16N3c1013Float8_e4m3fnELi64ELi2ELi16ELi16ELi2ELi2EEviiiiiiPKT0_S5_PKT_PS6_PKfSB_ii
                                        ; -- End function
	.section	.AMDGPU.csdata,"",@progbits
; Kernel info:
; codeLenInByte = 2220
; NumSgprs: 45
; NumVgprs: 62
; NumAgprs: 0
; TotalNumVgprs: 62
; ScratchSize: 0
; MemoryBound: 1
; FloatMode: 240
; IeeeMode: 1
; LDSByteSize: 65536 bytes/workgroup (compile time only)
; SGPRBlocks: 5
; VGPRBlocks: 7
; NumSGPRsForWavesPerEU: 45
; NumVGPRsForWavesPerEU: 62
; AccumOffset: 64
; Occupancy: 4
; WaveLimiterHint : 0
; COMPUTE_PGM_RSRC2:SCRATCH_EN: 0
; COMPUTE_PGM_RSRC2:USER_SGPR: 2
; COMPUTE_PGM_RSRC2:TRAP_HANDLER: 0
; COMPUTE_PGM_RSRC2:TGID_X_EN: 1
; COMPUTE_PGM_RSRC2:TGID_Y_EN: 0
; COMPUTE_PGM_RSRC2:TGID_Z_EN: 0
; COMPUTE_PGM_RSRC2:TIDIG_COMP_CNT: 1
; COMPUTE_PGM_RSRC3_GFX90A:ACCUM_OFFSET: 15
; COMPUTE_PGM_RSRC3_GFX90A:TG_SPLIT: 0
	.section	.text._Z17wvSplitKQ_hf_sml_I14__hip_bfloat16N3c1013Float8_e4m3fnELi32ELi2ELi16ELi16ELi1ELi3EEviiiiiiPKT0_S5_PKT_PS6_PKfSB_ii,"axG",@progbits,_Z17wvSplitKQ_hf_sml_I14__hip_bfloat16N3c1013Float8_e4m3fnELi32ELi2ELi16ELi16ELi1ELi3EEviiiiiiPKT0_S5_PKT_PS6_PKfSB_ii,comdat
	.protected	_Z17wvSplitKQ_hf_sml_I14__hip_bfloat16N3c1013Float8_e4m3fnELi32ELi2ELi16ELi16ELi1ELi3EEviiiiiiPKT0_S5_PKT_PS6_PKfSB_ii ; -- Begin function _Z17wvSplitKQ_hf_sml_I14__hip_bfloat16N3c1013Float8_e4m3fnELi32ELi2ELi16ELi16ELi1ELi3EEviiiiiiPKT0_S5_PKT_PS6_PKfSB_ii
	.globl	_Z17wvSplitKQ_hf_sml_I14__hip_bfloat16N3c1013Float8_e4m3fnELi32ELi2ELi16ELi16ELi1ELi3EEviiiiiiPKT0_S5_PKT_PS6_PKfSB_ii
	.p2align	8
	.type	_Z17wvSplitKQ_hf_sml_I14__hip_bfloat16N3c1013Float8_e4m3fnELi32ELi2ELi16ELi16ELi1ELi3EEviiiiiiPKT0_S5_PKT_PS6_PKfSB_ii,@function
_Z17wvSplitKQ_hf_sml_I14__hip_bfloat16N3c1013Float8_e4m3fnELi32ELi2ELi16ELi16ELi1ELi3EEviiiiiiPKT0_S5_PKT_PS6_PKfSB_ii: ; @_Z17wvSplitKQ_hf_sml_I14__hip_bfloat16N3c1013Float8_e4m3fnELi32ELi2ELi16ELi16ELi1ELi3EEviiiiiiPKT0_S5_PKT_PS6_PKfSB_ii
; %bb.0:
	s_load_dwordx4 s[16:19], s[0:1], 0x0
	v_and_b32_e32 v4, 0x3ff, v0
	v_bfe_u32 v5, v0, 10, 10
	v_lshlrev_b32_e32 v52, 4, v4
	v_lshl_add_u32 v0, v5, 9, v52
	s_waitcnt lgkmcnt(0)
	s_mul_i32 s3, s17, 3
	s_min_u32 s3, s3, 0x10000
	v_cmp_gt_u32_e32 vcc, s3, v0
	s_and_saveexec_b64 s[4:5], vcc
	s_cbranch_execz .LBB378_9
; %bb.1:
	s_load_dwordx2 s[6:7], s[0:1], 0x20
	v_add_u32_e32 v1, 0x2000, v0
	v_cmp_gt_u32_e32 vcc, s3, v1
	s_waitcnt lgkmcnt(0)
	global_load_dwordx4 v[6:9], v0, s[6:7]
	s_waitcnt vmcnt(0)
	ds_write_b128 v0, v[6:9]
	s_and_saveexec_b64 s[8:9], vcc
	s_xor_b64 s[8:9], exec, s[8:9]
	s_cbranch_execz .LBB378_9
; %bb.2:
	v_mov_b32_e32 v1, 0
	v_lshl_add_u64 v[2:3], s[6:7], 0, v[0:1]
	v_add_co_u32_e32 v6, vcc, 0x2000, v2
	v_add_u32_e32 v1, 0x4000, v0
	s_nop 0
	v_addc_co_u32_e32 v7, vcc, 0, v3, vcc
	global_load_dwordx4 v[6:9], v[6:7], off
	v_cmp_gt_u32_e32 vcc, s3, v1
	s_waitcnt vmcnt(0)
	ds_write_b128 v0, v[6:9] offset:8192
	s_and_saveexec_b64 s[6:7], vcc
	s_xor_b64 s[6:7], exec, s[6:7]
	s_cbranch_execz .LBB378_9
; %bb.3:
	v_add_co_u32_e32 v6, vcc, 0x4000, v2
	v_add_u32_e32 v1, 0x6000, v0
	s_nop 0
	v_addc_co_u32_e32 v7, vcc, 0, v3, vcc
	global_load_dwordx4 v[6:9], v[6:7], off
	v_cmp_gt_u32_e32 vcc, s3, v1
	s_waitcnt vmcnt(0)
	ds_write_b128 v0, v[6:9] offset:16384
	s_and_saveexec_b64 s[6:7], vcc
	s_xor_b64 s[6:7], exec, s[6:7]
	s_cbranch_execz .LBB378_9
; %bb.4:
	;; [unrolled: 12-line block ×6, first 2 shown]
	v_add_co_u32_e32 v2, vcc, 0xe000, v2
	s_nop 1
	v_addc_co_u32_e32 v3, vcc, 0, v3, vcc
	global_load_dwordx4 v[6:9], v[2:3], off
	s_waitcnt vmcnt(0)
	ds_write_b128 v0, v[6:9] offset:57344
.LBB378_9:
	s_or_b64 exec, exec, s[4:5]
	s_load_dwordx2 s[4:5], s[0:1], 0x48
	;;#ASMSTART
	s_waitcnt vmcnt(0)
	;;#ASMEND
	s_waitcnt lgkmcnt(0)
	s_barrier
	v_cmp_gt_u32_e32 vcc, s4, v5
	s_and_saveexec_b64 s[6:7], vcc
	s_cbranch_execz .LBB378_51
; %bb.10:
	s_load_dwordx2 s[20:21], s[0:1], 0x10
	s_mul_i32 s2, s2, s4
	v_add_lshl_u32 v44, s2, v5, 1
	v_cmp_gt_u32_e32 vcc, s19, v44
	s_and_b64 exec, exec, vcc
	s_cbranch_execz .LBB378_51
; %bb.11:
	s_load_dwordx8 s[8:15], s[0:1], 0x28
	s_load_dwordx2 s[22:23], s[0:1], 0x18
	v_mbcnt_lo_u32_b32 v0, -1, 0
	v_mbcnt_hi_u32_b32 v0, -1, v0
	s_cmp_lg_u32 s16, 0
	v_and_b32_e32 v1, 63, v0
	s_cselect_b64 s[2:3], -1, 0
	s_add_i32 s30, s16, -16
	s_add_i32 s31, s19, -1
	v_cmp_lt_u32_e32 vcc, 43, v1
	s_mul_i32 s6, s4, s5
	s_waitcnt lgkmcnt(0)
	s_cmp_lg_u64 s[8:9], 0
	v_cndmask_b32_e64 v2, 20, 0, vcc
	v_cmp_lt_u32_e32 vcc, 23, v1
	s_cselect_b64 s[4:5], -1, 0
	s_lshl_b32 s33, s6, 1
	v_cndmask_b32_e64 v1, 40, 0, vcc
	s_abs_i32 s6, s21
	v_add_lshl_u32 v53, v2, v0, 2
	v_add_lshl_u32 v54, v1, v0, 2
	v_cvt_f32_u32_e32 v0, s20
	v_cvt_f32_u32_e32 v1, s6
	s_sub_i32 s7, 0, s20
	s_load_dword s28, s[12:13], 0x0
	s_load_dword s29, s[14:15], 0x0
	v_rcp_iflag_f32_e32 v0, v0
	v_rcp_iflag_f32_e32 v1, v1
	s_lshl_b32 s21, s19, 1
	v_cmp_eq_u32_e64 s[0:1], 0, v4
	v_mul_f32_e32 v0, 0x4f7ffffe, v0
	v_mul_f32_e32 v1, 0x4f7ffffe, v1
	v_cvt_u32_f32_e32 v0, v0
	v_cvt_u32_f32_e32 v1, v1
	s_mov_b64 s[12:13], 0
	v_mov_b32_e32 v47, 0
	v_mul_lo_u32 v2, s7, v0
	s_sub_i32 s7, 0, s6
	v_readfirstlane_b32 s14, v1
	s_mul_i32 s7, s7, s14
	s_mul_hi_u32 s7, s14, s7
	s_add_i32 s14, s14, s7
	s_sub_i32 s7, 1, s6
	s_cmp_lt_u32 s6, 2
	s_cselect_b32 s7, s7, 1
	s_sub_i32 s15, s7, s6
	s_cmp_ge_u32 s7, s6
	s_cselect_b32 s34, s15, s7
	s_lshr_b32 s7, s14, 31
	s_mul_i32 s7, s7, s6
	s_sub_i32 s7, 2, s7
	s_sub_i32 s14, s7, s6
	s_cmp_ge_u32 s7, s6
	s_cselect_b32 s7, s14, s7
	v_mul_hi_u32 v2, v0, v2
	s_sub_i32 s14, s7, s6
	v_add_u32_e32 v55, v0, v2
	s_cmp_ge_u32 s7, s6
	v_cndmask_b32_e64 v0, 0, 1, s[2:3]
	s_cselect_b32 s35, s14, s7
	v_cmp_ne_u32_e64 s[2:3], 1, v0
	v_cndmask_b32_e64 v0, 0, 1, s[4:5]
	s_mul_i32 s34, s34, s20
	s_mul_i32 s35, s35, s20
	v_lshl_add_u32 v56, s17, 1, v52
	v_add_u32_e32 v57, s17, v52
	v_cmp_ne_u32_e64 s[4:5], 1, v0
	s_mov_b32 s17, 0x7f800000
	s_movk_i32 s36, 0x7fff
	s_branch .LBB378_14
.LBB378_12:                             ;   in Loop: Header=BB378_14 Depth=1
	s_or_b64 exec, exec, s[6:7]
	v_add_u32_e32 v46, s21, v58
	v_lshl_add_u64 v[2:3], v[46:47], 1, s[10:11]
	global_store_short_d16_hi v[2:3], v0, off
.LBB378_13:                             ;   in Loop: Header=BB378_14 Depth=1
	s_or_b64 exec, exec, s[14:15]
	v_add_u32_e32 v44, s33, v44
	v_cmp_le_u32_e32 vcc, s19, v44
	s_or_b64 s[12:13], vcc, s[12:13]
	s_andn2_b64 exec, exec, s[12:13]
	s_cbranch_execz .LBB378_51
.LBB378_14:                             ; =>This Loop Header: Depth=1
                                        ;     Child Loop BB378_17 Depth 2
	s_and_b64 vcc, exec, s[2:3]
	v_or_b32_e32 v58, 1, v44
	v_mov_b32_e32 v23, v47
	v_mov_b32_e32 v22, v47
	;; [unrolled: 1-line block ×8, first 2 shown]
	s_waitcnt lgkmcnt(0)
	v_mov_b32_e32 v15, v47
	v_mov_b32_e32 v14, v47
	;; [unrolled: 1-line block ×13, first 2 shown]
	s_waitcnt vmcnt(3)
	v_mov_b32_e32 v6, v47
	v_mov_b32_e32 v5, v47
	;; [unrolled: 1-line block ×3, first 2 shown]
	s_cbranch_vccnz .LBB378_19
; %bb.15:                               ;   in Loop: Header=BB378_14 Depth=1
	v_min_u32_e32 v0, s31, v44
	v_mul_lo_u32 v48, v0, s18
	v_min_u32_e32 v0, s31, v58
	v_mov_b32_e32 v4, 0
	v_mov_b32_e32 v49, v47
	v_mul_lo_u32 v50, v0, s18
	v_mov_b32_e32 v51, v47
	s_mov_b32 s14, 0
	v_mov_b32_e32 v5, v4
	v_mov_b32_e32 v6, v4
	;; [unrolled: 1-line block ×23, first 2 shown]
	s_branch .LBB378_17
.LBB378_16:                             ;   in Loop: Header=BB378_17 Depth=2
	s_or_b64 exec, exec, s[6:7]
	s_waitcnt vmcnt(1) lgkmcnt(0)
	v_mfma_f32_16x16x32_fp8_fp8 v[20:23], v[36:37], v[28:29], v[20:23]
	s_addk_i32 s14, 0x200
	s_cmp_ge_u32 s14, s16
	s_waitcnt vmcnt(0)
	v_mfma_f32_16x16x32_fp8_fp8 v[16:19], v[36:37], v[24:25], v[16:19]
	v_mfma_f32_16x16x32_fp8_fp8 v[12:15], v[40:41], v[28:29], v[12:15]
	;; [unrolled: 1-line block ×11, first 2 shown]
	s_cbranch_scc1 .LBB378_19
.LBB378_17:                             ;   Parent Loop BB378_14 Depth=1
                                        ; =>  This Inner Loop Header: Depth=2
	v_add_u32_e32 v45, s14, v52
	v_min_u32_e32 v46, s30, v45
	v_lshl_add_u64 v[24:25], s[22:23], 0, v[46:47]
	v_lshl_add_u64 v[32:33], v[24:25], 0, v[48:49]
	;; [unrolled: 1-line block ×3, first 2 shown]
	global_load_dwordx4 v[28:31], v[32:33], off nt
	global_load_dwordx4 v[24:27], v[34:35], off nt
	v_mov_b64_e32 v[36:37], 0
	v_cmp_gt_u32_e32 vcc, s16, v45
	v_mov_b64_e32 v[38:39], v[36:37]
	v_mov_b64_e32 v[40:41], v[36:37]
	;; [unrolled: 1-line block ×5, first 2 shown]
	s_and_saveexec_b64 s[6:7], vcc
	s_cbranch_execz .LBB378_16
; %bb.18:                               ;   in Loop: Header=BB378_17 Depth=2
	v_add_u32_e32 v32, s14, v57
	ds_read_b128 v[36:39], v45
	ds_read_b128 v[40:43], v32
	v_add_u32_e32 v32, s14, v56
	ds_read_b128 v[32:35], v32
	s_branch .LBB378_16
.LBB378_19:                             ;   in Loop: Header=BB378_14 Depth=1
	s_nop 0
	v_cvt_i32_f32_e32 v21, v21
	v_cvt_i32_f32_e32 v22, v22
	;; [unrolled: 1-line block ×5, first 2 shown]
	v_cvt_f32_i32_dpp v21, v21 row_shl:1 row_mask:0xf bank_mask:0xf bound_ctrl:1
	v_cvt_i32_f32_e32 v13, v13
	v_cvt_f32_i32_dpp v22, v22 row_shl:2 row_mask:0xf bank_mask:0xf bound_ctrl:1
	v_cvt_f32_i32_dpp v17, v17 row_shl:1 row_mask:0xf bank_mask:0xf bound_ctrl:1
	v_cvt_i32_f32_e32 v14, v14
	v_cvt_f32_i32_dpp v23, v23 row_shl:3 row_mask:0xf bank_mask:0xf bound_ctrl:1
	v_cvt_f32_i32_dpp v18, v18 row_shl:2 row_mask:0xf bank_mask:0xf bound_ctrl:1
	v_cvt_i32_f32_e32 v19, v19
	v_cvt_i32_f32_e32 v15, v15
	v_add_f32_e32 v20, v20, v21
	v_cvt_f32_i32_dpp v13, v13 row_shl:1 row_mask:0xf bank_mask:0xf bound_ctrl:1
	v_add_f32_e32 v20, v20, v22
	v_add_f32_e32 v17, v16, v17
	v_cvt_f32_i32_dpp v14, v14 row_shl:2 row_mask:0xf bank_mask:0xf bound_ctrl:1
	v_add_f32_e32 v20, v20, v23
	v_add_f32_e32 v17, v17, v18
	v_cvt_f32_i32_dpp v18, v19 row_shl:3 row_mask:0xf bank_mask:0xf bound_ctrl:1
	v_cvt_f32_i32_dpp v15, v15 row_shl:3 row_mask:0xf bank_mask:0xf bound_ctrl:1
	v_cvt_i32_f32_e32 v1, v1
	ds_bpermute_b32 v21, v53, v20
	v_cvt_i32_f32_e32 v2, v2
	v_add_f32_e32 v12, v12, v13
	v_add_f32_e32 v12, v12, v14
	;; [unrolled: 1-line block ×4, first 2 shown]
	v_cvt_f32_i32_dpp v1, v1 row_shl:1 row_mask:0xf bank_mask:0xf bound_ctrl:1
	ds_bpermute_b32 v18, v53, v17
	ds_bpermute_b32 v19, v53, v14
	v_cvt_f32_i32_dpp v2, v2 row_shl:2 row_mask:0xf bank_mask:0xf bound_ctrl:1
	v_cvt_i32_f32_e32 v3, v3
	s_waitcnt lgkmcnt(0)
	v_add_f32_e32 v16, v20, v21
	v_cvt_i32_f32_e32 v20, v9
	v_add_f32_e32 v0, v0, v1
	v_add_f32_e32 v0, v0, v2
	v_cvt_f32_i32_dpp v1, v3 row_shl:3 row_mask:0xf bank_mask:0xf bound_ctrl:1
	v_cvt_i32_f32_e32 v2, v5
	v_add_f32_e32 v12, v17, v18
	v_add_f32_e32 v9, v14, v19
	v_cvt_f32_i32_dpp v14, v20 row_shl:1 row_mask:0xf bank_mask:0xf bound_ctrl:1
	v_cvt_i32_f32_e32 v17, v10
	v_cvt_i32_f32_e32 v3, v6
	;; [unrolled: 1-line block ×4, first 2 shown]
	v_add_f32_e32 v0, v0, v1
	v_cvt_f32_i32_dpp v1, v2 row_shl:1 row_mask:0xf bank_mask:0xf bound_ctrl:1
	v_add_f32_e32 v8, v8, v14
	v_cvt_f32_i32_dpp v14, v17 row_shl:2 row_mask:0xf bank_mask:0xf bound_ctrl:1
	v_cvt_f32_i32_dpp v2, v3 row_shl:2 row_mask:0xf bank_mask:0xf bound_ctrl:1
	;; [unrolled: 1-line block ×4, first 2 shown]
	v_add_f32_e32 v1, v4, v1
	v_add_f32_e32 v8, v8, v14
	v_add_f32_e32 v1, v1, v2
	v_add_f32_e32 v8, v8, v11
	v_add_f32_e32 v1, v1, v3
	ds_bpermute_b32 v11, v53, v8
	ds_bpermute_b32 v5, v53, v0
	;; [unrolled: 1-line block ×5, first 2 shown]
	s_waitcnt lgkmcnt(4)
	v_add_f32_e32 v7, v8, v11
	s_waitcnt lgkmcnt(3)
	v_add_f32_e32 v4, v0, v5
	;; [unrolled: 2-line block ×3, first 2 shown]
	ds_bpermute_b32 v10, v54, v9
	ds_bpermute_b32 v8, v54, v7
	;; [unrolled: 1-line block ×4, first 2 shown]
	s_and_saveexec_b64 s[14:15], s[0:1]
	s_cbranch_execz .LBB378_13
; %bb.20:                               ;   in Loop: Header=BB378_14 Depth=1
	s_and_b64 vcc, exec, s[4:5]
	v_mov_b32_e32 v0, 0
	v_mov_b32_e32 v18, 0
	;; [unrolled: 1-line block ×6, first 2 shown]
	s_cbranch_vccnz .LBB378_22
; %bb.21:                               ;   in Loop: Header=BB378_14 Depth=1
	v_mul_hi_u32 v0, v44, v55
	v_mul_lo_u32 v0, v0, s20
	v_sub_u32_e32 v0, v44, v0
	v_subrev_u32_e32 v1, s20, v0
	v_cmp_le_u32_e32 vcc, s20, v0
	v_mov_b32_e32 v19, v47
	s_nop 0
	v_cndmask_b32_e32 v0, v0, v1, vcc
	v_subrev_u32_e32 v1, s20, v0
	v_cmp_le_u32_e32 vcc, s20, v0
	s_nop 1
	v_cndmask_b32_e32 v46, v0, v1, vcc
	v_mul_hi_u32 v0, v58, v55
	v_mul_lo_u32 v0, v0, s20
	v_sub_u32_e32 v0, v58, v0
	v_subrev_u32_e32 v1, s20, v0
	v_cmp_le_u32_e32 vcc, s20, v0
	v_lshl_add_u64 v[20:21], v[46:47], 1, s[8:9]
	v_add_u32_e32 v18, s34, v46
	v_cndmask_b32_e32 v0, v0, v1, vcc
	v_subrev_u32_e32 v1, s20, v0
	v_cmp_le_u32_e32 vcc, s20, v0
	v_add_u32_e32 v46, s35, v46
	v_lshl_add_u64 v[24:25], v[18:19], 1, s[8:9]
	v_cndmask_b32_e32 v0, v0, v1, vcc
	v_mov_b32_e32 v1, v47
	v_add_u32_e32 v18, s34, v0
	v_lshl_add_u64 v[28:29], v[46:47], 1, s[8:9]
	v_add_u32_e32 v46, s35, v0
	v_lshl_add_u64 v[22:23], v[0:1], 1, s[8:9]
	v_lshl_add_u64 v[26:27], v[18:19], 1, s[8:9]
	;; [unrolled: 1-line block ×3, first 2 shown]
	global_load_ushort v0, v[20:21], off
	global_load_ushort v18, v[22:23], off
	;; [unrolled: 1-line block ×6, first 2 shown]
.LBB378_22:                             ;   in Loop: Header=BB378_14 Depth=1
	s_waitcnt lgkmcnt(5)
	v_add_f32_e32 v1, v16, v15
	v_mul_f32_e32 v1, s28, v1
	s_waitcnt vmcnt(5)
	v_lshlrev_b32_e32 v0, 16, v0
	v_fmac_f32_e32 v0, s29, v1
	v_and_b32_e32 v1, 0x7f800000, v0
	v_cmp_ne_u32_e32 vcc, s17, v1
                                        ; implicit-def: $vgpr15
	s_and_saveexec_b64 s[6:7], vcc
	s_xor_b64 s[6:7], exec, s[6:7]
; %bb.23:                               ;   in Loop: Header=BB378_14 Depth=1
	v_bfe_u32 v1, v0, 16, 1
	v_add3_u32 v15, v0, v1, s36
                                        ; implicit-def: $vgpr0
; %bb.24:                               ;   in Loop: Header=BB378_14 Depth=1
	s_andn2_saveexec_b64 s[6:7], s[6:7]
; %bb.25:                               ;   in Loop: Header=BB378_14 Depth=1
	v_or_b32_e32 v1, 0x10000, v0
	v_cmp_eq_u32_sdwa vcc, v0, v47 src0_sel:WORD_0 src1_sel:DWORD
	s_nop 1
	v_cndmask_b32_e32 v15, v1, v0, vcc
; %bb.26:                               ;   in Loop: Header=BB378_14 Depth=1
	s_or_b64 exec, exec, s[6:7]
	v_mov_b32_e32 v45, v47
	v_lshl_add_u64 v[0:1], v[44:45], 1, s[10:11]
	v_cmp_gt_u32_e32 vcc, s19, v58
	global_store_short_d16_hi v[0:1], v15, off
	s_and_saveexec_b64 s[24:25], vcc
	s_cbranch_execz .LBB378_32
; %bb.27:                               ;   in Loop: Header=BB378_14 Depth=1
	s_waitcnt lgkmcnt(4)
	v_add_f32_e32 v12, v12, v13
	v_mul_f32_e32 v13, s28, v12
	s_waitcnt vmcnt(5)
	v_lshlrev_b32_e32 v12, 16, v18
	v_fmac_f32_e32 v12, s29, v13
	v_and_b32_e32 v13, 0x7f800000, v12
	v_cmp_ne_u32_e64 s[6:7], s17, v13
                                        ; implicit-def: $vgpr13
	s_and_saveexec_b64 s[26:27], s[6:7]
	s_xor_b64 s[6:7], exec, s[26:27]
; %bb.28:                               ;   in Loop: Header=BB378_14 Depth=1
	v_bfe_u32 v13, v12, 16, 1
	v_add3_u32 v13, v12, v13, s36
                                        ; implicit-def: $vgpr12
; %bb.29:                               ;   in Loop: Header=BB378_14 Depth=1
	s_andn2_saveexec_b64 s[26:27], s[6:7]
; %bb.30:                               ;   in Loop: Header=BB378_14 Depth=1
	v_or_b32_e32 v13, 0x10000, v12
	v_cmp_eq_u32_sdwa s[6:7], v12, v47 src0_sel:WORD_0 src1_sel:DWORD
	s_nop 1
	v_cndmask_b32_e64 v13, v13, v12, s[6:7]
; %bb.31:                               ;   in Loop: Header=BB378_14 Depth=1
	s_or_b64 exec, exec, s[26:27]
	global_store_short_d16_hi v[0:1], v13, off offset:2
.LBB378_32:                             ;   in Loop: Header=BB378_14 Depth=1
	s_or_b64 exec, exec, s[24:25]
	s_waitcnt lgkmcnt(3)
	v_add_f32_e32 v0, v9, v10
	v_mul_f32_e32 v1, s28, v0
	s_waitcnt vmcnt(4)
	v_lshlrev_b32_e32 v0, 16, v17
	v_fmac_f32_e32 v0, s29, v1
	v_and_b32_e32 v1, 0x7f800000, v0
	v_cmp_ne_u32_e64 s[6:7], s17, v1
                                        ; implicit-def: $vgpr1
	s_and_saveexec_b64 s[24:25], s[6:7]
	s_xor_b64 s[6:7], exec, s[24:25]
; %bb.33:                               ;   in Loop: Header=BB378_14 Depth=1
	v_bfe_u32 v1, v0, 16, 1
	v_add3_u32 v1, v0, v1, s36
                                        ; implicit-def: $vgpr0
; %bb.34:                               ;   in Loop: Header=BB378_14 Depth=1
	s_andn2_saveexec_b64 s[24:25], s[6:7]
; %bb.35:                               ;   in Loop: Header=BB378_14 Depth=1
	v_or_b32_e32 v1, 0x10000, v0
	v_cmp_eq_u32_sdwa s[6:7], v0, v47 src0_sel:WORD_0 src1_sel:DWORD
	s_nop 1
	v_cndmask_b32_e64 v1, v1, v0, s[6:7]
; %bb.36:                               ;   in Loop: Header=BB378_14 Depth=1
	s_or_b64 exec, exec, s[24:25]
	v_add_u32_e32 v46, s19, v44
	v_lshl_add_u64 v[12:13], v[46:47], 1, s[10:11]
	global_store_short_d16_hi v[12:13], v1, off
	s_and_saveexec_b64 s[24:25], vcc
	s_cbranch_execz .LBB378_42
; %bb.37:                               ;   in Loop: Header=BB378_14 Depth=1
	s_waitcnt lgkmcnt(2)
	v_add_f32_e32 v0, v7, v8
	v_mul_f32_e32 v0, s28, v0
	s_waitcnt vmcnt(4)
	v_lshlrev_b32_e32 v1, 16, v14
	v_fmac_f32_e32 v1, s29, v0
	v_and_b32_e32 v0, 0x7f800000, v1
	v_cmp_ne_u32_e64 s[6:7], s17, v0
                                        ; implicit-def: $vgpr0
	s_and_saveexec_b64 s[26:27], s[6:7]
	s_xor_b64 s[6:7], exec, s[26:27]
; %bb.38:                               ;   in Loop: Header=BB378_14 Depth=1
	v_bfe_u32 v0, v1, 16, 1
	v_add3_u32 v0, v1, v0, s36
                                        ; implicit-def: $vgpr1
; %bb.39:                               ;   in Loop: Header=BB378_14 Depth=1
	s_andn2_saveexec_b64 s[26:27], s[6:7]
; %bb.40:                               ;   in Loop: Header=BB378_14 Depth=1
	v_or_b32_e32 v0, 0x10000, v1
	v_cmp_eq_u32_sdwa s[6:7], v1, v47 src0_sel:WORD_0 src1_sel:DWORD
	s_nop 1
	v_cndmask_b32_e64 v0, v0, v1, s[6:7]
; %bb.41:                               ;   in Loop: Header=BB378_14 Depth=1
	s_or_b64 exec, exec, s[26:27]
	v_add_u32_e32 v8, s19, v58
	v_mov_b32_e32 v9, v47
	v_lshl_add_u64 v[8:9], v[8:9], 1, s[10:11]
	global_store_short_d16_hi v[8:9], v0, off
.LBB378_42:                             ;   in Loop: Header=BB378_14 Depth=1
	s_or_b64 exec, exec, s[24:25]
	s_waitcnt lgkmcnt(1)
	v_add_f32_e32 v0, v4, v5
	v_mul_f32_e32 v1, s28, v0
	s_waitcnt vmcnt(3)
	v_lshlrev_b32_e32 v0, 16, v11
	v_fmac_f32_e32 v0, s29, v1
	v_and_b32_e32 v1, 0x7f800000, v0
	v_cmp_ne_u32_e64 s[6:7], s17, v1
                                        ; implicit-def: $vgpr1
	s_and_saveexec_b64 s[24:25], s[6:7]
	s_xor_b64 s[6:7], exec, s[24:25]
; %bb.43:                               ;   in Loop: Header=BB378_14 Depth=1
	v_bfe_u32 v1, v0, 16, 1
	v_add3_u32 v1, v0, v1, s36
                                        ; implicit-def: $vgpr0
; %bb.44:                               ;   in Loop: Header=BB378_14 Depth=1
	s_andn2_saveexec_b64 s[24:25], s[6:7]
; %bb.45:                               ;   in Loop: Header=BB378_14 Depth=1
	v_or_b32_e32 v1, 0x10000, v0
	v_cmp_eq_u32_sdwa s[6:7], v0, v47 src0_sel:WORD_0 src1_sel:DWORD
	s_nop 1
	v_cndmask_b32_e64 v1, v1, v0, s[6:7]
; %bb.46:                               ;   in Loop: Header=BB378_14 Depth=1
	s_or_b64 exec, exec, s[24:25]
	v_add_u32_e32 v46, s19, v46
	v_lshl_add_u64 v[4:5], v[46:47], 1, s[10:11]
	global_store_short_d16_hi v[4:5], v1, off
	s_and_b64 exec, exec, vcc
	s_cbranch_execz .LBB378_13
; %bb.47:                               ;   in Loop: Header=BB378_14 Depth=1
	s_waitcnt lgkmcnt(0)
	v_add_f32_e32 v0, v2, v3
	v_mul_f32_e32 v0, s28, v0
	s_waitcnt vmcnt(3)
	v_lshlrev_b32_e32 v1, 16, v6
	v_fmac_f32_e32 v1, s29, v0
	v_and_b32_e32 v0, 0x7f800000, v1
	v_cmp_ne_u32_e32 vcc, s17, v0
                                        ; implicit-def: $vgpr0
	s_and_saveexec_b64 s[6:7], vcc
	s_xor_b64 s[6:7], exec, s[6:7]
; %bb.48:                               ;   in Loop: Header=BB378_14 Depth=1
	v_bfe_u32 v0, v1, 16, 1
	v_add3_u32 v0, v1, v0, s36
                                        ; implicit-def: $vgpr1
; %bb.49:                               ;   in Loop: Header=BB378_14 Depth=1
	s_andn2_saveexec_b64 s[6:7], s[6:7]
	s_cbranch_execz .LBB378_12
; %bb.50:                               ;   in Loop: Header=BB378_14 Depth=1
	v_or_b32_e32 v0, 0x10000, v1
	v_cmp_eq_u32_sdwa vcc, v1, v47 src0_sel:WORD_0 src1_sel:DWORD
	s_nop 1
	v_cndmask_b32_e32 v0, v0, v1, vcc
	s_branch .LBB378_12
.LBB378_51:
	s_endpgm
	.section	.rodata,"a",@progbits
	.p2align	6, 0x0
	.amdhsa_kernel _Z17wvSplitKQ_hf_sml_I14__hip_bfloat16N3c1013Float8_e4m3fnELi32ELi2ELi16ELi16ELi1ELi3EEviiiiiiPKT0_S5_PKT_PS6_PKfSB_ii
		.amdhsa_group_segment_fixed_size 65536
		.amdhsa_private_segment_fixed_size 0
		.amdhsa_kernarg_size 80
		.amdhsa_user_sgpr_count 2
		.amdhsa_user_sgpr_dispatch_ptr 0
		.amdhsa_user_sgpr_queue_ptr 0
		.amdhsa_user_sgpr_kernarg_segment_ptr 1
		.amdhsa_user_sgpr_dispatch_id 0
		.amdhsa_user_sgpr_kernarg_preload_length 0
		.amdhsa_user_sgpr_kernarg_preload_offset 0
		.amdhsa_user_sgpr_private_segment_size 0
		.amdhsa_uses_dynamic_stack 0
		.amdhsa_enable_private_segment 0
		.amdhsa_system_sgpr_workgroup_id_x 1
		.amdhsa_system_sgpr_workgroup_id_y 0
		.amdhsa_system_sgpr_workgroup_id_z 0
		.amdhsa_system_sgpr_workgroup_info 0
		.amdhsa_system_vgpr_workitem_id 1
		.amdhsa_next_free_vgpr 59
		.amdhsa_next_free_sgpr 37
		.amdhsa_accum_offset 60
		.amdhsa_reserve_vcc 1
		.amdhsa_float_round_mode_32 0
		.amdhsa_float_round_mode_16_64 0
		.amdhsa_float_denorm_mode_32 3
		.amdhsa_float_denorm_mode_16_64 3
		.amdhsa_dx10_clamp 1
		.amdhsa_ieee_mode 1
		.amdhsa_fp16_overflow 0
		.amdhsa_tg_split 0
		.amdhsa_exception_fp_ieee_invalid_op 0
		.amdhsa_exception_fp_denorm_src 0
		.amdhsa_exception_fp_ieee_div_zero 0
		.amdhsa_exception_fp_ieee_overflow 0
		.amdhsa_exception_fp_ieee_underflow 0
		.amdhsa_exception_fp_ieee_inexact 0
		.amdhsa_exception_int_div_zero 0
	.end_amdhsa_kernel
	.section	.text._Z17wvSplitKQ_hf_sml_I14__hip_bfloat16N3c1013Float8_e4m3fnELi32ELi2ELi16ELi16ELi1ELi3EEviiiiiiPKT0_S5_PKT_PS6_PKfSB_ii,"axG",@progbits,_Z17wvSplitKQ_hf_sml_I14__hip_bfloat16N3c1013Float8_e4m3fnELi32ELi2ELi16ELi16ELi1ELi3EEviiiiiiPKT0_S5_PKT_PS6_PKfSB_ii,comdat
.Lfunc_end378:
	.size	_Z17wvSplitKQ_hf_sml_I14__hip_bfloat16N3c1013Float8_e4m3fnELi32ELi2ELi16ELi16ELi1ELi3EEviiiiiiPKT0_S5_PKT_PS6_PKfSB_ii, .Lfunc_end378-_Z17wvSplitKQ_hf_sml_I14__hip_bfloat16N3c1013Float8_e4m3fnELi32ELi2ELi16ELi16ELi1ELi3EEviiiiiiPKT0_S5_PKT_PS6_PKfSB_ii
                                        ; -- End function
	.section	.AMDGPU.csdata,"",@progbits
; Kernel info:
; codeLenInByte = 2908
; NumSgprs: 43
; NumVgprs: 59
; NumAgprs: 0
; TotalNumVgprs: 59
; ScratchSize: 0
; MemoryBound: 0
; FloatMode: 240
; IeeeMode: 1
; LDSByteSize: 65536 bytes/workgroup (compile time only)
; SGPRBlocks: 5
; VGPRBlocks: 7
; NumSGPRsForWavesPerEU: 43
; NumVGPRsForWavesPerEU: 59
; AccumOffset: 60
; Occupancy: 2
; WaveLimiterHint : 0
; COMPUTE_PGM_RSRC2:SCRATCH_EN: 0
; COMPUTE_PGM_RSRC2:USER_SGPR: 2
; COMPUTE_PGM_RSRC2:TRAP_HANDLER: 0
; COMPUTE_PGM_RSRC2:TGID_X_EN: 1
; COMPUTE_PGM_RSRC2:TGID_Y_EN: 0
; COMPUTE_PGM_RSRC2:TGID_Z_EN: 0
; COMPUTE_PGM_RSRC2:TIDIG_COMP_CNT: 1
; COMPUTE_PGM_RSRC3_GFX90A:ACCUM_OFFSET: 14
; COMPUTE_PGM_RSRC3_GFX90A:TG_SPLIT: 0
	.section	.text._Z13wvSplitKQ_hf_I14__hip_bfloat16N3c1013Float8_e4m3fnELi32ELi2ELi16ELi16ELi1ELi3EEviiiiiiPKT0_S5_PKT_PS6_PKfSB_ii,"axG",@progbits,_Z13wvSplitKQ_hf_I14__hip_bfloat16N3c1013Float8_e4m3fnELi32ELi2ELi16ELi16ELi1ELi3EEviiiiiiPKT0_S5_PKT_PS6_PKfSB_ii,comdat
	.protected	_Z13wvSplitKQ_hf_I14__hip_bfloat16N3c1013Float8_e4m3fnELi32ELi2ELi16ELi16ELi1ELi3EEviiiiiiPKT0_S5_PKT_PS6_PKfSB_ii ; -- Begin function _Z13wvSplitKQ_hf_I14__hip_bfloat16N3c1013Float8_e4m3fnELi32ELi2ELi16ELi16ELi1ELi3EEviiiiiiPKT0_S5_PKT_PS6_PKfSB_ii
	.globl	_Z13wvSplitKQ_hf_I14__hip_bfloat16N3c1013Float8_e4m3fnELi32ELi2ELi16ELi16ELi1ELi3EEviiiiiiPKT0_S5_PKT_PS6_PKfSB_ii
	.p2align	8
	.type	_Z13wvSplitKQ_hf_I14__hip_bfloat16N3c1013Float8_e4m3fnELi32ELi2ELi16ELi16ELi1ELi3EEviiiiiiPKT0_S5_PKT_PS6_PKfSB_ii,@function
_Z13wvSplitKQ_hf_I14__hip_bfloat16N3c1013Float8_e4m3fnELi32ELi2ELi16ELi16ELi1ELi3EEviiiiiiPKT0_S5_PKT_PS6_PKfSB_ii: ; @_Z13wvSplitKQ_hf_I14__hip_bfloat16N3c1013Float8_e4m3fnELi32ELi2ELi16ELi16ELi1ELi3EEviiiiiiPKT0_S5_PKT_PS6_PKfSB_ii
; %bb.0:
	s_load_dwordx4 s[16:19], s[0:1], 0x0
	s_load_dwordx2 s[6:7], s[0:1], 0x20
	v_and_b32_e32 v4, 0x3ff, v0
	v_bfe_u32 v5, v0, 10, 10
	v_lshlrev_b32_e32 v52, 4, v4
	s_waitcnt lgkmcnt(0)
	s_mul_i32 s3, s17, 3
	v_lshl_add_u32 v0, v5, 9, v52
	s_min_u32 s3, s3, 0x10000
	v_cmp_gt_u32_e32 vcc, s3, v0
	s_and_saveexec_b64 s[4:5], vcc
	s_cbranch_execz .LBB379_9
; %bb.1:
	global_load_dwordx4 v[6:9], v0, s[6:7]
	v_add_u32_e32 v1, 0x2000, v0
	v_cmp_gt_u32_e32 vcc, s3, v1
	s_waitcnt vmcnt(0)
	ds_write_b128 v0, v[6:9]
	s_and_saveexec_b64 s[8:9], vcc
	s_xor_b64 s[8:9], exec, s[8:9]
	s_cbranch_execz .LBB379_9
; %bb.2:
	v_mov_b32_e32 v1, 0
	v_lshl_add_u64 v[2:3], s[6:7], 0, v[0:1]
	v_add_co_u32_e32 v6, vcc, 0x2000, v2
	v_add_u32_e32 v1, 0x4000, v0
	s_nop 0
	v_addc_co_u32_e32 v7, vcc, 0, v3, vcc
	global_load_dwordx4 v[6:9], v[6:7], off
	v_cmp_gt_u32_e32 vcc, s3, v1
	s_waitcnt vmcnt(0)
	ds_write_b128 v0, v[6:9] offset:8192
	s_and_saveexec_b64 s[8:9], vcc
	s_xor_b64 s[8:9], exec, s[8:9]
	s_cbranch_execz .LBB379_9
; %bb.3:
	v_add_co_u32_e32 v6, vcc, 0x4000, v2
	v_add_u32_e32 v1, 0x6000, v0
	s_nop 0
	v_addc_co_u32_e32 v7, vcc, 0, v3, vcc
	global_load_dwordx4 v[6:9], v[6:7], off
	v_cmp_gt_u32_e32 vcc, s3, v1
	s_waitcnt vmcnt(0)
	ds_write_b128 v0, v[6:9] offset:16384
	s_and_saveexec_b64 s[8:9], vcc
	s_xor_b64 s[8:9], exec, s[8:9]
	s_cbranch_execz .LBB379_9
; %bb.4:
	;; [unrolled: 12-line block ×6, first 2 shown]
	v_add_co_u32_e32 v2, vcc, 0xe000, v2
	s_nop 1
	v_addc_co_u32_e32 v3, vcc, 0, v3, vcc
	global_load_dwordx4 v[6:9], v[2:3], off
	s_waitcnt vmcnt(0)
	ds_write_b128 v0, v[6:9] offset:57344
.LBB379_9:
	s_or_b64 exec, exec, s[4:5]
	s_load_dwordx2 s[4:5], s[0:1], 0x48
	;;#ASMSTART
	s_waitcnt vmcnt(0)
	;;#ASMEND
	s_waitcnt lgkmcnt(0)
	s_barrier
	v_cmp_gt_u32_e32 vcc, s4, v5
	s_and_saveexec_b64 s[8:9], vcc
	s_cbranch_execz .LBB379_63
; %bb.10:
	s_load_dwordx2 s[20:21], s[0:1], 0x10
	s_mul_i32 s2, s2, s4
	v_add_lshl_u32 v44, s2, v5, 1
	v_cmp_gt_u32_e32 vcc, s19, v44
	s_and_b64 exec, exec, vcc
	s_cbranch_execz .LBB379_63
; %bb.11:
	s_load_dwordx8 s[8:15], s[0:1], 0x28
	s_load_dwordx2 s[22:23], s[0:1], 0x18
	v_mbcnt_lo_u32_b32 v0, -1, 0
	v_mbcnt_hi_u32_b32 v0, -1, v0
	s_cmp_lg_u32 s16, 0
	v_and_b32_e32 v1, 63, v0
	s_cselect_b64 s[2:3], -1, 0
	s_add_i32 s33, s16, -16
	s_add_i32 s34, s19, -1
	v_cmp_lt_u32_e32 vcc, 43, v1
	s_mul_i32 s4, s4, s5
	s_waitcnt lgkmcnt(0)
	s_cmp_lg_u64 s[8:9], 0
	v_cndmask_b32_e64 v2, 20, 0, vcc
	v_cmp_lt_u32_e32 vcc, 23, v1
	s_load_dword s30, s[12:13], 0x0
	s_load_dword s31, s[14:15], 0x0
	v_cndmask_b32_e64 v1, 40, 0, vcc
	s_cselect_b64 s[14:15], -1, 0
	s_lshl_b32 s35, s4, 1
	s_abs_i32 s4, s21
	v_add_lshl_u32 v53, v2, v0, 2
	v_add_lshl_u32 v54, v1, v0, 2
	v_cvt_f32_u32_e32 v0, s20
	v_cvt_f32_u32_e32 v1, s4
	s_sub_i32 s5, 0, s20
	s_lshl_b32 s21, s19, 1
	v_rcp_iflag_f32_e32 v0, v0
	v_rcp_iflag_f32_e32 v1, v1
	v_cmp_eq_u32_e64 s[0:1], 0, v4
	s_mov_b64 s[12:13], 0
	v_mul_f32_e32 v0, 0x4f7ffffe, v0
	v_mul_f32_e32 v1, 0x4f7ffffe, v1
	v_cvt_u32_f32_e32 v0, v0
	v_cvt_u32_f32_e32 v1, v1
	v_mov_b32_e32 v47, 0
	v_lshl_add_u32 v56, s17, 1, v52
	v_mul_lo_u32 v2, s5, v0
	s_sub_i32 s5, 0, s4
	v_readfirstlane_b32 s24, v1
	s_mul_i32 s5, s5, s24
	s_mul_hi_u32 s5, s24, s5
	s_add_i32 s24, s24, s5
	s_sub_i32 s5, 1, s4
	s_cmp_lt_u32 s4, 2
	s_cselect_b32 s5, s5, 1
	s_sub_i32 s25, s5, s4
	s_cmp_ge_u32 s5, s4
	s_cselect_b32 s36, s25, s5
	s_lshr_b32 s5, s24, 31
	s_mul_i32 s5, s5, s4
	s_sub_i32 s5, 2, s5
	s_sub_i32 s24, s5, s4
	s_cmp_ge_u32 s5, s4
	s_cselect_b32 s5, s24, s5
	s_sub_i32 s24, s5, s4
	v_mul_hi_u32 v2, v0, v2
	s_cmp_ge_u32 s5, s4
	v_add_u32_e32 v55, v0, v2
	s_cselect_b32 s37, s24, s5
	v_cndmask_b32_e64 v0, 0, 1, s[2:3]
	s_mul_i32 s36, s36, s20
	s_mul_i32 s37, s37, s20
	v_add_u32_e32 v57, s17, v52
	v_cmp_ne_u32_e64 s[2:3], 1, v0
	s_mov_b32 s17, 0xffff
	s_mov_b32 s38, 0x7f800000
	s_movk_i32 s39, 0x7fff
	s_branch .LBB379_14
.LBB379_12:                             ;   in Loop: Header=BB379_14 Depth=1
	s_or_b64 exec, exec, s[4:5]
	v_add_u32_e32 v46, s21, v58
	v_lshl_add_u64 v[2:3], v[46:47], 1, s[10:11]
	global_store_short_d16_hi v[2:3], v0, off
.LBB379_13:                             ;   in Loop: Header=BB379_14 Depth=1
	s_or_b64 exec, exec, s[24:25]
	v_add_u32_e32 v44, s35, v44
	v_cmp_le_u32_e32 vcc, s19, v44
	s_or_b64 s[12:13], vcc, s[12:13]
	s_andn2_b64 exec, exec, s[12:13]
	s_cbranch_execz .LBB379_63
.LBB379_14:                             ; =>This Loop Header: Depth=1
                                        ;     Child Loop BB379_18 Depth 2
	s_and_b64 vcc, exec, s[2:3]
	v_or_b32_e32 v58, 1, v44
	v_mov_b32_e32 v23, v47
	v_mov_b32_e32 v22, v47
	;; [unrolled: 1-line block ×8, first 2 shown]
	s_waitcnt lgkmcnt(0)
	v_mov_b32_e32 v15, v47
	v_mov_b32_e32 v14, v47
	;; [unrolled: 1-line block ×13, first 2 shown]
	s_waitcnt vmcnt(3)
	v_mov_b32_e32 v6, v47
	v_mov_b32_e32 v5, v47
	;; [unrolled: 1-line block ×3, first 2 shown]
	s_cbranch_vccnz .LBB379_31
; %bb.15:                               ;   in Loop: Header=BB379_14 Depth=1
	v_min_u32_e32 v0, s34, v44
	v_mul_lo_u32 v48, v0, s18
	v_min_u32_e32 v0, s34, v58
	v_mov_b32_e32 v4, 0
	v_mov_b32_e32 v49, v47
	v_mul_lo_u32 v50, v0, s18
	v_mov_b32_e32 v51, v47
	s_mov_b32 s26, 0
	v_mov_b32_e32 v5, v4
	v_mov_b32_e32 v6, v4
	;; [unrolled: 1-line block ×23, first 2 shown]
	s_branch .LBB379_18
.LBB379_16:                             ;   in Loop: Header=BB379_18 Depth=2
	s_or_b64 exec, exec, s[24:25]
.LBB379_17:                             ;   in Loop: Header=BB379_18 Depth=2
	s_or_b64 exec, exec, s[4:5]
	s_waitcnt vmcnt(0) lgkmcnt(0)
	v_mfma_f32_16x16x32_fp8_fp8 v[20:23], v[32:33], v[28:29], v[20:23]
	s_addk_i32 s26, 0x200
	s_cmp_ge_u32 s26, s16
	v_mfma_f32_16x16x32_fp8_fp8 v[16:19], v[32:33], v[24:25], v[16:19]
	v_mfma_f32_16x16x32_fp8_fp8 v[12:15], v[36:37], v[28:29], v[12:15]
	;; [unrolled: 1-line block ×11, first 2 shown]
	s_cbranch_scc1 .LBB379_31
.LBB379_18:                             ;   Parent Loop BB379_14 Depth=1
                                        ; =>  This Inner Loop Header: Depth=2
	v_add_u32_e32 v45, s26, v52
	v_min_u32_e32 v46, s33, v45
	v_lshl_add_u64 v[24:25], s[22:23], 0, v[46:47]
	v_lshl_add_u64 v[32:33], v[24:25], 0, v[48:49]
	;; [unrolled: 1-line block ×3, first 2 shown]
	global_load_dwordx4 v[28:31], v[32:33], off nt
	global_load_dwordx4 v[24:27], v[34:35], off nt
	v_mov_b64_e32 v[42:43], 0
	v_cmp_gt_u32_e32 vcc, s16, v45
	v_mov_b64_e32 v[40:41], v[42:43]
	v_mov_b64_e32 v[38:39], v[42:43]
	;; [unrolled: 1-line block ×5, first 2 shown]
	s_and_saveexec_b64 s[4:5], vcc
	s_cbranch_execz .LBB379_17
; %bb.19:                               ;   in Loop: Header=BB379_18 Depth=2
	v_cmp_lt_u32_e32 vcc, s17, v45
                                        ; implicit-def: $vgpr34_vgpr35
	s_and_saveexec_b64 s[24:25], vcc
	s_xor_b64 s[24:25], exec, s[24:25]
	s_cbranch_execz .LBB379_21
; %bb.20:                               ;   in Loop: Header=BB379_18 Depth=2
	global_load_dwordx4 v[32:35], v45, s[6:7]
                                        ; implicit-def: $vgpr45
.LBB379_21:                             ;   in Loop: Header=BB379_18 Depth=2
	s_andn2_saveexec_b64 s[24:25], s[24:25]
	s_cbranch_execz .LBB379_23
; %bb.22:                               ;   in Loop: Header=BB379_18 Depth=2
	s_waitcnt vmcnt(0)
	ds_read_b128 v[32:35], v45
.LBB379_23:                             ;   in Loop: Header=BB379_18 Depth=2
	s_or_b64 exec, exec, s[24:25]
	v_add_u32_e32 v40, s26, v57
	v_cmp_lt_u32_e32 vcc, s17, v40
                                        ; implicit-def: $vgpr38_vgpr39
	s_and_saveexec_b64 s[24:25], vcc
	s_xor_b64 s[24:25], exec, s[24:25]
	s_cbranch_execz .LBB379_25
; %bb.24:                               ;   in Loop: Header=BB379_18 Depth=2
	global_load_dwordx4 v[36:39], v40, s[6:7]
                                        ; implicit-def: $vgpr40
.LBB379_25:                             ;   in Loop: Header=BB379_18 Depth=2
	s_andn2_saveexec_b64 s[24:25], s[24:25]
	s_cbranch_execz .LBB379_27
; %bb.26:                               ;   in Loop: Header=BB379_18 Depth=2
	s_waitcnt vmcnt(0)
	ds_read_b128 v[36:39], v40
.LBB379_27:                             ;   in Loop: Header=BB379_18 Depth=2
	s_or_b64 exec, exec, s[24:25]
	v_add_u32_e32 v45, s26, v56
	v_cmp_lt_u32_e32 vcc, s17, v45
                                        ; implicit-def: $vgpr42_vgpr43
	s_and_saveexec_b64 s[24:25], vcc
	s_xor_b64 s[24:25], exec, s[24:25]
	s_cbranch_execz .LBB379_29
; %bb.28:                               ;   in Loop: Header=BB379_18 Depth=2
	global_load_dwordx4 v[40:43], v45, s[6:7]
                                        ; implicit-def: $vgpr45
.LBB379_29:                             ;   in Loop: Header=BB379_18 Depth=2
	s_andn2_saveexec_b64 s[24:25], s[24:25]
	s_cbranch_execz .LBB379_16
; %bb.30:                               ;   in Loop: Header=BB379_18 Depth=2
	s_waitcnt vmcnt(0)
	ds_read_b128 v[40:43], v45
	s_branch .LBB379_16
.LBB379_31:                             ;   in Loop: Header=BB379_14 Depth=1
	s_nop 0
	v_cvt_i32_f32_e32 v21, v21
	v_cvt_i32_f32_e32 v22, v22
	;; [unrolled: 1-line block ×5, first 2 shown]
	v_cvt_f32_i32_dpp v21, v21 row_shl:1 row_mask:0xf bank_mask:0xf bound_ctrl:1
	v_cvt_i32_f32_e32 v13, v13
	v_cvt_f32_i32_dpp v22, v22 row_shl:2 row_mask:0xf bank_mask:0xf bound_ctrl:1
	v_cvt_f32_i32_dpp v17, v17 row_shl:1 row_mask:0xf bank_mask:0xf bound_ctrl:1
	v_cvt_i32_f32_e32 v14, v14
	v_cvt_f32_i32_dpp v23, v23 row_shl:3 row_mask:0xf bank_mask:0xf bound_ctrl:1
	v_cvt_f32_i32_dpp v18, v18 row_shl:2 row_mask:0xf bank_mask:0xf bound_ctrl:1
	v_cvt_i32_f32_e32 v19, v19
	v_cvt_i32_f32_e32 v15, v15
	v_add_f32_e32 v20, v20, v21
	v_cvt_f32_i32_dpp v13, v13 row_shl:1 row_mask:0xf bank_mask:0xf bound_ctrl:1
	v_add_f32_e32 v20, v20, v22
	v_add_f32_e32 v17, v16, v17
	v_cvt_f32_i32_dpp v14, v14 row_shl:2 row_mask:0xf bank_mask:0xf bound_ctrl:1
	v_add_f32_e32 v20, v20, v23
	v_add_f32_e32 v17, v17, v18
	v_cvt_f32_i32_dpp v18, v19 row_shl:3 row_mask:0xf bank_mask:0xf bound_ctrl:1
	v_cvt_f32_i32_dpp v15, v15 row_shl:3 row_mask:0xf bank_mask:0xf bound_ctrl:1
	v_cvt_i32_f32_e32 v1, v1
	ds_bpermute_b32 v21, v53, v20
	v_cvt_i32_f32_e32 v2, v2
	v_add_f32_e32 v12, v12, v13
	v_add_f32_e32 v12, v12, v14
	;; [unrolled: 1-line block ×4, first 2 shown]
	v_cvt_f32_i32_dpp v1, v1 row_shl:1 row_mask:0xf bank_mask:0xf bound_ctrl:1
	ds_bpermute_b32 v18, v53, v17
	ds_bpermute_b32 v19, v53, v14
	v_cvt_f32_i32_dpp v2, v2 row_shl:2 row_mask:0xf bank_mask:0xf bound_ctrl:1
	v_cvt_i32_f32_e32 v3, v3
	s_waitcnt lgkmcnt(0)
	v_add_f32_e32 v16, v20, v21
	v_cvt_i32_f32_e32 v20, v9
	v_add_f32_e32 v0, v0, v1
	v_add_f32_e32 v0, v0, v2
	v_cvt_f32_i32_dpp v1, v3 row_shl:3 row_mask:0xf bank_mask:0xf bound_ctrl:1
	v_cvt_i32_f32_e32 v2, v5
	v_add_f32_e32 v12, v17, v18
	v_add_f32_e32 v9, v14, v19
	v_cvt_f32_i32_dpp v14, v20 row_shl:1 row_mask:0xf bank_mask:0xf bound_ctrl:1
	v_cvt_i32_f32_e32 v17, v10
	v_cvt_i32_f32_e32 v3, v6
	;; [unrolled: 1-line block ×4, first 2 shown]
	v_add_f32_e32 v0, v0, v1
	v_cvt_f32_i32_dpp v1, v2 row_shl:1 row_mask:0xf bank_mask:0xf bound_ctrl:1
	v_add_f32_e32 v8, v8, v14
	v_cvt_f32_i32_dpp v14, v17 row_shl:2 row_mask:0xf bank_mask:0xf bound_ctrl:1
	v_cvt_f32_i32_dpp v2, v3 row_shl:2 row_mask:0xf bank_mask:0xf bound_ctrl:1
	;; [unrolled: 1-line block ×4, first 2 shown]
	v_add_f32_e32 v1, v4, v1
	v_add_f32_e32 v8, v8, v14
	;; [unrolled: 1-line block ×5, first 2 shown]
	ds_bpermute_b32 v11, v53, v8
	ds_bpermute_b32 v5, v53, v0
	;; [unrolled: 1-line block ×5, first 2 shown]
	s_waitcnt lgkmcnt(4)
	v_add_f32_e32 v7, v8, v11
	s_waitcnt lgkmcnt(3)
	v_add_f32_e32 v4, v0, v5
	;; [unrolled: 2-line block ×3, first 2 shown]
	ds_bpermute_b32 v10, v54, v9
	ds_bpermute_b32 v8, v54, v7
	;; [unrolled: 1-line block ×4, first 2 shown]
	s_and_saveexec_b64 s[24:25], s[0:1]
	s_cbranch_execz .LBB379_13
; %bb.32:                               ;   in Loop: Header=BB379_14 Depth=1
	s_andn2_b64 vcc, exec, s[14:15]
	v_mov_b32_e32 v0, 0
	v_mov_b32_e32 v18, 0
	;; [unrolled: 1-line block ×6, first 2 shown]
	s_cbranch_vccnz .LBB379_34
; %bb.33:                               ;   in Loop: Header=BB379_14 Depth=1
	v_mul_hi_u32 v0, v44, v55
	v_mul_lo_u32 v0, v0, s20
	v_sub_u32_e32 v0, v44, v0
	v_subrev_u32_e32 v1, s20, v0
	v_cmp_le_u32_e32 vcc, s20, v0
	v_mov_b32_e32 v19, v47
	s_nop 0
	v_cndmask_b32_e32 v0, v0, v1, vcc
	v_subrev_u32_e32 v1, s20, v0
	v_cmp_le_u32_e32 vcc, s20, v0
	s_nop 1
	v_cndmask_b32_e32 v46, v0, v1, vcc
	v_mul_hi_u32 v0, v58, v55
	v_mul_lo_u32 v0, v0, s20
	v_sub_u32_e32 v0, v58, v0
	v_subrev_u32_e32 v1, s20, v0
	v_cmp_le_u32_e32 vcc, s20, v0
	v_lshl_add_u64 v[20:21], v[46:47], 1, s[8:9]
	v_add_u32_e32 v18, s36, v46
	v_cndmask_b32_e32 v0, v0, v1, vcc
	v_subrev_u32_e32 v1, s20, v0
	v_cmp_le_u32_e32 vcc, s20, v0
	v_add_u32_e32 v46, s37, v46
	v_lshl_add_u64 v[24:25], v[18:19], 1, s[8:9]
	v_cndmask_b32_e32 v0, v0, v1, vcc
	v_mov_b32_e32 v1, v47
	v_add_u32_e32 v18, s36, v0
	v_lshl_add_u64 v[28:29], v[46:47], 1, s[8:9]
	v_add_u32_e32 v46, s37, v0
	v_lshl_add_u64 v[22:23], v[0:1], 1, s[8:9]
	v_lshl_add_u64 v[26:27], v[18:19], 1, s[8:9]
	;; [unrolled: 1-line block ×3, first 2 shown]
	global_load_ushort v0, v[20:21], off
	global_load_ushort v18, v[22:23], off
	;; [unrolled: 1-line block ×6, first 2 shown]
.LBB379_34:                             ;   in Loop: Header=BB379_14 Depth=1
	s_waitcnt lgkmcnt(5)
	v_add_f32_e32 v1, v16, v15
	v_mul_f32_e32 v1, s30, v1
	s_waitcnt vmcnt(5)
	v_lshlrev_b32_e32 v0, 16, v0
	v_fmac_f32_e32 v0, s31, v1
	v_and_b32_e32 v1, 0x7f800000, v0
	v_cmp_ne_u32_e32 vcc, s38, v1
                                        ; implicit-def: $vgpr15
	s_and_saveexec_b64 s[4:5], vcc
	s_xor_b64 s[4:5], exec, s[4:5]
; %bb.35:                               ;   in Loop: Header=BB379_14 Depth=1
	v_bfe_u32 v1, v0, 16, 1
	v_add3_u32 v15, v0, v1, s39
                                        ; implicit-def: $vgpr0
; %bb.36:                               ;   in Loop: Header=BB379_14 Depth=1
	s_andn2_saveexec_b64 s[4:5], s[4:5]
; %bb.37:                               ;   in Loop: Header=BB379_14 Depth=1
	v_or_b32_e32 v1, 0x10000, v0
	v_cmp_eq_u32_sdwa vcc, v0, v47 src0_sel:WORD_0 src1_sel:DWORD
	s_nop 1
	v_cndmask_b32_e32 v15, v1, v0, vcc
; %bb.38:                               ;   in Loop: Header=BB379_14 Depth=1
	s_or_b64 exec, exec, s[4:5]
	v_mov_b32_e32 v45, v47
	v_lshl_add_u64 v[0:1], v[44:45], 1, s[10:11]
	v_cmp_gt_u32_e32 vcc, s19, v58
	global_store_short_d16_hi v[0:1], v15, off
	s_and_saveexec_b64 s[26:27], vcc
	s_cbranch_execz .LBB379_44
; %bb.39:                               ;   in Loop: Header=BB379_14 Depth=1
	s_waitcnt lgkmcnt(4)
	v_add_f32_e32 v12, v12, v13
	v_mul_f32_e32 v13, s30, v12
	s_waitcnt vmcnt(5)
	v_lshlrev_b32_e32 v12, 16, v18
	v_fmac_f32_e32 v12, s31, v13
	v_and_b32_e32 v13, 0x7f800000, v12
	v_cmp_ne_u32_e64 s[4:5], s38, v13
                                        ; implicit-def: $vgpr13
	s_and_saveexec_b64 s[28:29], s[4:5]
	s_xor_b64 s[4:5], exec, s[28:29]
; %bb.40:                               ;   in Loop: Header=BB379_14 Depth=1
	v_bfe_u32 v13, v12, 16, 1
	v_add3_u32 v13, v12, v13, s39
                                        ; implicit-def: $vgpr12
; %bb.41:                               ;   in Loop: Header=BB379_14 Depth=1
	s_andn2_saveexec_b64 s[28:29], s[4:5]
; %bb.42:                               ;   in Loop: Header=BB379_14 Depth=1
	v_or_b32_e32 v13, 0x10000, v12
	v_cmp_eq_u32_sdwa s[4:5], v12, v47 src0_sel:WORD_0 src1_sel:DWORD
	s_nop 1
	v_cndmask_b32_e64 v13, v13, v12, s[4:5]
; %bb.43:                               ;   in Loop: Header=BB379_14 Depth=1
	s_or_b64 exec, exec, s[28:29]
	global_store_short_d16_hi v[0:1], v13, off offset:2
.LBB379_44:                             ;   in Loop: Header=BB379_14 Depth=1
	s_or_b64 exec, exec, s[26:27]
	s_waitcnt lgkmcnt(3)
	v_add_f32_e32 v0, v9, v10
	v_mul_f32_e32 v1, s30, v0
	s_waitcnt vmcnt(4)
	v_lshlrev_b32_e32 v0, 16, v17
	v_fmac_f32_e32 v0, s31, v1
	v_and_b32_e32 v1, 0x7f800000, v0
	v_cmp_ne_u32_e64 s[4:5], s38, v1
                                        ; implicit-def: $vgpr1
	s_and_saveexec_b64 s[26:27], s[4:5]
	s_xor_b64 s[4:5], exec, s[26:27]
; %bb.45:                               ;   in Loop: Header=BB379_14 Depth=1
	v_bfe_u32 v1, v0, 16, 1
	v_add3_u32 v1, v0, v1, s39
                                        ; implicit-def: $vgpr0
; %bb.46:                               ;   in Loop: Header=BB379_14 Depth=1
	s_andn2_saveexec_b64 s[26:27], s[4:5]
; %bb.47:                               ;   in Loop: Header=BB379_14 Depth=1
	v_or_b32_e32 v1, 0x10000, v0
	v_cmp_eq_u32_sdwa s[4:5], v0, v47 src0_sel:WORD_0 src1_sel:DWORD
	s_nop 1
	v_cndmask_b32_e64 v1, v1, v0, s[4:5]
; %bb.48:                               ;   in Loop: Header=BB379_14 Depth=1
	s_or_b64 exec, exec, s[26:27]
	v_add_u32_e32 v46, s19, v44
	v_lshl_add_u64 v[12:13], v[46:47], 1, s[10:11]
	global_store_short_d16_hi v[12:13], v1, off
	s_and_saveexec_b64 s[26:27], vcc
	s_cbranch_execz .LBB379_54
; %bb.49:                               ;   in Loop: Header=BB379_14 Depth=1
	s_waitcnt lgkmcnt(2)
	v_add_f32_e32 v0, v7, v8
	v_mul_f32_e32 v0, s30, v0
	s_waitcnt vmcnt(4)
	v_lshlrev_b32_e32 v1, 16, v14
	v_fmac_f32_e32 v1, s31, v0
	v_and_b32_e32 v0, 0x7f800000, v1
	v_cmp_ne_u32_e64 s[4:5], s38, v0
                                        ; implicit-def: $vgpr0
	s_and_saveexec_b64 s[28:29], s[4:5]
	s_xor_b64 s[4:5], exec, s[28:29]
; %bb.50:                               ;   in Loop: Header=BB379_14 Depth=1
	v_bfe_u32 v0, v1, 16, 1
	v_add3_u32 v0, v1, v0, s39
                                        ; implicit-def: $vgpr1
; %bb.51:                               ;   in Loop: Header=BB379_14 Depth=1
	s_andn2_saveexec_b64 s[28:29], s[4:5]
; %bb.52:                               ;   in Loop: Header=BB379_14 Depth=1
	v_or_b32_e32 v0, 0x10000, v1
	v_cmp_eq_u32_sdwa s[4:5], v1, v47 src0_sel:WORD_0 src1_sel:DWORD
	s_nop 1
	v_cndmask_b32_e64 v0, v0, v1, s[4:5]
; %bb.53:                               ;   in Loop: Header=BB379_14 Depth=1
	s_or_b64 exec, exec, s[28:29]
	v_add_u32_e32 v8, s19, v58
	v_mov_b32_e32 v9, v47
	v_lshl_add_u64 v[8:9], v[8:9], 1, s[10:11]
	global_store_short_d16_hi v[8:9], v0, off
.LBB379_54:                             ;   in Loop: Header=BB379_14 Depth=1
	s_or_b64 exec, exec, s[26:27]
	s_waitcnt lgkmcnt(1)
	v_add_f32_e32 v0, v4, v5
	v_mul_f32_e32 v1, s30, v0
	s_waitcnt vmcnt(3)
	v_lshlrev_b32_e32 v0, 16, v11
	v_fmac_f32_e32 v0, s31, v1
	v_and_b32_e32 v1, 0x7f800000, v0
	v_cmp_ne_u32_e64 s[4:5], s38, v1
                                        ; implicit-def: $vgpr1
	s_and_saveexec_b64 s[26:27], s[4:5]
	s_xor_b64 s[4:5], exec, s[26:27]
; %bb.55:                               ;   in Loop: Header=BB379_14 Depth=1
	v_bfe_u32 v1, v0, 16, 1
	v_add3_u32 v1, v0, v1, s39
                                        ; implicit-def: $vgpr0
; %bb.56:                               ;   in Loop: Header=BB379_14 Depth=1
	s_andn2_saveexec_b64 s[26:27], s[4:5]
; %bb.57:                               ;   in Loop: Header=BB379_14 Depth=1
	v_or_b32_e32 v1, 0x10000, v0
	v_cmp_eq_u32_sdwa s[4:5], v0, v47 src0_sel:WORD_0 src1_sel:DWORD
	s_nop 1
	v_cndmask_b32_e64 v1, v1, v0, s[4:5]
; %bb.58:                               ;   in Loop: Header=BB379_14 Depth=1
	s_or_b64 exec, exec, s[26:27]
	v_add_u32_e32 v46, s19, v46
	v_lshl_add_u64 v[4:5], v[46:47], 1, s[10:11]
	global_store_short_d16_hi v[4:5], v1, off
	s_and_b64 exec, exec, vcc
	s_cbranch_execz .LBB379_13
; %bb.59:                               ;   in Loop: Header=BB379_14 Depth=1
	s_waitcnt lgkmcnt(0)
	v_add_f32_e32 v0, v2, v3
	v_mul_f32_e32 v0, s30, v0
	s_waitcnt vmcnt(3)
	v_lshlrev_b32_e32 v1, 16, v6
	v_fmac_f32_e32 v1, s31, v0
	v_and_b32_e32 v0, 0x7f800000, v1
	v_cmp_ne_u32_e32 vcc, s38, v0
                                        ; implicit-def: $vgpr0
	s_and_saveexec_b64 s[4:5], vcc
	s_xor_b64 s[4:5], exec, s[4:5]
; %bb.60:                               ;   in Loop: Header=BB379_14 Depth=1
	v_bfe_u32 v0, v1, 16, 1
	v_add3_u32 v0, v1, v0, s39
                                        ; implicit-def: $vgpr1
; %bb.61:                               ;   in Loop: Header=BB379_14 Depth=1
	s_andn2_saveexec_b64 s[4:5], s[4:5]
	s_cbranch_execz .LBB379_12
; %bb.62:                               ;   in Loop: Header=BB379_14 Depth=1
	v_or_b32_e32 v0, 0x10000, v1
	v_cmp_eq_u32_sdwa vcc, v1, v47 src0_sel:WORD_0 src1_sel:DWORD
	s_nop 1
	v_cndmask_b32_e32 v0, v0, v1, vcc
	s_branch .LBB379_12
.LBB379_63:
	s_endpgm
	.section	.rodata,"a",@progbits
	.p2align	6, 0x0
	.amdhsa_kernel _Z13wvSplitKQ_hf_I14__hip_bfloat16N3c1013Float8_e4m3fnELi32ELi2ELi16ELi16ELi1ELi3EEviiiiiiPKT0_S5_PKT_PS6_PKfSB_ii
		.amdhsa_group_segment_fixed_size 65536
		.amdhsa_private_segment_fixed_size 0
		.amdhsa_kernarg_size 80
		.amdhsa_user_sgpr_count 2
		.amdhsa_user_sgpr_dispatch_ptr 0
		.amdhsa_user_sgpr_queue_ptr 0
		.amdhsa_user_sgpr_kernarg_segment_ptr 1
		.amdhsa_user_sgpr_dispatch_id 0
		.amdhsa_user_sgpr_kernarg_preload_length 0
		.amdhsa_user_sgpr_kernarg_preload_offset 0
		.amdhsa_user_sgpr_private_segment_size 0
		.amdhsa_uses_dynamic_stack 0
		.amdhsa_enable_private_segment 0
		.amdhsa_system_sgpr_workgroup_id_x 1
		.amdhsa_system_sgpr_workgroup_id_y 0
		.amdhsa_system_sgpr_workgroup_id_z 0
		.amdhsa_system_sgpr_workgroup_info 0
		.amdhsa_system_vgpr_workitem_id 1
		.amdhsa_next_free_vgpr 59
		.amdhsa_next_free_sgpr 40
		.amdhsa_accum_offset 60
		.amdhsa_reserve_vcc 1
		.amdhsa_float_round_mode_32 0
		.amdhsa_float_round_mode_16_64 0
		.amdhsa_float_denorm_mode_32 3
		.amdhsa_float_denorm_mode_16_64 3
		.amdhsa_dx10_clamp 1
		.amdhsa_ieee_mode 1
		.amdhsa_fp16_overflow 0
		.amdhsa_tg_split 0
		.amdhsa_exception_fp_ieee_invalid_op 0
		.amdhsa_exception_fp_denorm_src 0
		.amdhsa_exception_fp_ieee_div_zero 0
		.amdhsa_exception_fp_ieee_overflow 0
		.amdhsa_exception_fp_ieee_underflow 0
		.amdhsa_exception_fp_ieee_inexact 0
		.amdhsa_exception_int_div_zero 0
	.end_amdhsa_kernel
	.section	.text._Z13wvSplitKQ_hf_I14__hip_bfloat16N3c1013Float8_e4m3fnELi32ELi2ELi16ELi16ELi1ELi3EEviiiiiiPKT0_S5_PKT_PS6_PKfSB_ii,"axG",@progbits,_Z13wvSplitKQ_hf_I14__hip_bfloat16N3c1013Float8_e4m3fnELi32ELi2ELi16ELi16ELi1ELi3EEviiiiiiPKT0_S5_PKT_PS6_PKfSB_ii,comdat
.Lfunc_end379:
	.size	_Z13wvSplitKQ_hf_I14__hip_bfloat16N3c1013Float8_e4m3fnELi32ELi2ELi16ELi16ELi1ELi3EEviiiiiiPKT0_S5_PKT_PS6_PKfSB_ii, .Lfunc_end379-_Z13wvSplitKQ_hf_I14__hip_bfloat16N3c1013Float8_e4m3fnELi32ELi2ELi16ELi16ELi1ELi3EEviiiiiiPKT0_S5_PKT_PS6_PKfSB_ii
                                        ; -- End function
	.section	.AMDGPU.csdata,"",@progbits
; Kernel info:
; codeLenInByte = 3012
; NumSgprs: 46
; NumVgprs: 59
; NumAgprs: 0
; TotalNumVgprs: 59
; ScratchSize: 0
; MemoryBound: 1
; FloatMode: 240
; IeeeMode: 1
; LDSByteSize: 65536 bytes/workgroup (compile time only)
; SGPRBlocks: 5
; VGPRBlocks: 7
; NumSGPRsForWavesPerEU: 46
; NumVGPRsForWavesPerEU: 59
; AccumOffset: 60
; Occupancy: 2
; WaveLimiterHint : 0
; COMPUTE_PGM_RSRC2:SCRATCH_EN: 0
; COMPUTE_PGM_RSRC2:USER_SGPR: 2
; COMPUTE_PGM_RSRC2:TRAP_HANDLER: 0
; COMPUTE_PGM_RSRC2:TGID_X_EN: 1
; COMPUTE_PGM_RSRC2:TGID_Y_EN: 0
; COMPUTE_PGM_RSRC2:TGID_Z_EN: 0
; COMPUTE_PGM_RSRC2:TIDIG_COMP_CNT: 1
; COMPUTE_PGM_RSRC3_GFX90A:ACCUM_OFFSET: 14
; COMPUTE_PGM_RSRC3_GFX90A:TG_SPLIT: 0
	.section	.text._Z17wvSplitKQ_hf_sml_I14__hip_bfloat16N3c1013Float8_e4m3fnELi64ELi2ELi16ELi16ELi1ELi3EEviiiiiiPKT0_S5_PKT_PS6_PKfSB_ii,"axG",@progbits,_Z17wvSplitKQ_hf_sml_I14__hip_bfloat16N3c1013Float8_e4m3fnELi64ELi2ELi16ELi16ELi1ELi3EEviiiiiiPKT0_S5_PKT_PS6_PKfSB_ii,comdat
	.protected	_Z17wvSplitKQ_hf_sml_I14__hip_bfloat16N3c1013Float8_e4m3fnELi64ELi2ELi16ELi16ELi1ELi3EEviiiiiiPKT0_S5_PKT_PS6_PKfSB_ii ; -- Begin function _Z17wvSplitKQ_hf_sml_I14__hip_bfloat16N3c1013Float8_e4m3fnELi64ELi2ELi16ELi16ELi1ELi3EEviiiiiiPKT0_S5_PKT_PS6_PKfSB_ii
	.globl	_Z17wvSplitKQ_hf_sml_I14__hip_bfloat16N3c1013Float8_e4m3fnELi64ELi2ELi16ELi16ELi1ELi3EEviiiiiiPKT0_S5_PKT_PS6_PKfSB_ii
	.p2align	8
	.type	_Z17wvSplitKQ_hf_sml_I14__hip_bfloat16N3c1013Float8_e4m3fnELi64ELi2ELi16ELi16ELi1ELi3EEviiiiiiPKT0_S5_PKT_PS6_PKfSB_ii,@function
_Z17wvSplitKQ_hf_sml_I14__hip_bfloat16N3c1013Float8_e4m3fnELi64ELi2ELi16ELi16ELi1ELi3EEviiiiiiPKT0_S5_PKT_PS6_PKfSB_ii: ; @_Z17wvSplitKQ_hf_sml_I14__hip_bfloat16N3c1013Float8_e4m3fnELi64ELi2ELi16ELi16ELi1ELi3EEviiiiiiPKT0_S5_PKT_PS6_PKfSB_ii
; %bb.0:
	s_load_dwordx4 s[8:11], s[0:1], 0x0
	s_load_dwordx2 s[12:13], s[0:1], 0x10
	s_load_dwordx4 s[4:7], s[0:1], 0x38
	s_load_dwordx2 s[14:15], s[0:1], 0x28
	v_and_b32_e32 v2, 0x3ff, v0
	v_bfe_u32 v3, v0, 10, 10
	v_lshlrev_b32_e32 v44, 4, v2
	s_waitcnt lgkmcnt(0)
	s_mul_i32 s3, s9, 3
	v_lshl_add_u32 v4, v3, 10, v44
	s_min_u32 s3, s3, 0x10000
	v_cmp_gt_u32_e32 vcc, s3, v4
	s_and_saveexec_b64 s[16:17], vcc
	s_cbranch_execz .LBB380_3
; %bb.1:
	s_load_dwordx2 s[18:19], s[0:1], 0x20
	v_mov_b32_e32 v1, 0
	v_lshlrev_b32_e32 v0, 10, v3
	v_mov_b32_e32 v45, v1
	v_lshl_add_u64 v[0:1], v[0:1], 0, v[44:45]
	s_waitcnt lgkmcnt(0)
	v_lshl_add_u64 v[0:1], s[18:19], 0, v[0:1]
	s_mov_b64 s[18:19], 0
	s_mov_b64 s[20:21], 0x4000
.LBB380_2:                              ; =>This Inner Loop Header: Depth=1
	global_load_dwordx4 v[6:9], v[0:1], off
	v_lshl_add_u64 v[0:1], v[0:1], 0, s[20:21]
	s_waitcnt vmcnt(0)
	ds_write_b128 v4, v[6:9]
	v_add_u32_e32 v4, 0x4000, v4
	v_cmp_le_u32_e32 vcc, s3, v4
	s_or_b64 s[18:19], vcc, s[18:19]
	s_andn2_b64 exec, exec, s[18:19]
	s_cbranch_execnz .LBB380_2
.LBB380_3:
	s_or_b64 exec, exec, s[16:17]
	s_load_dwordx2 s[20:21], s[0:1], 0x48
	;;#ASMSTART
	s_waitcnt vmcnt(0)
	;;#ASMEND
	s_waitcnt lgkmcnt(0)
	s_barrier
	v_cmp_gt_u32_e32 vcc, s20, v3
	s_and_saveexec_b64 s[16:17], vcc
	s_cbranch_execz .LBB380_45
; %bb.4:
	s_mul_i32 s2, s2, s20
	v_add_lshl_u32 v46, s2, v3, 1
	v_cmp_gt_u32_e32 vcc, s11, v46
	s_and_b64 exec, exec, vcc
	s_cbranch_execz .LBB380_45
; %bb.5:
	v_mbcnt_lo_u32_b32 v0, -1, 0
	v_mbcnt_hi_u32_b32 v0, -1, v0
	s_cmp_lg_u32 s8, 0
	v_and_b32_e32 v1, 63, v0
	s_cselect_b64 s[2:3], -1, 0
	s_add_i32 s30, s8, -16
	s_add_i32 s31, s11, -1
	v_cmp_lt_u32_e32 vcc, 43, v1
	s_load_dword s28, s[4:5], 0x0
	s_load_dword s29, s[6:7], 0x0
	s_load_dwordx2 s[16:17], s[0:1], 0x18
	s_load_dwordx2 s[18:19], s[0:1], 0x30
	s_mul_i32 s4, s20, s21
	v_cndmask_b32_e64 v3, 20, 0, vcc
	v_cmp_lt_u32_e32 vcc, 23, v1
	s_cmp_lg_u64 s[14:15], 0
	s_cselect_b64 s[20:21], -1, 0
	v_cndmask_b32_e64 v1, 40, 0, vcc
	s_lshl_b32 s33, s4, 1
	s_abs_i32 s4, s13
	v_add_lshl_u32 v45, v3, v0, 2
	v_add_lshl_u32 v54, v1, v0, 2
	v_cvt_f32_u32_e32 v0, s12
	v_cvt_f32_u32_e32 v1, s4
	s_sub_i32 s5, 0, s12
	v_cmp_eq_u32_e64 s[0:1], 0, v2
	v_rcp_iflag_f32_e32 v0, v0
	v_rcp_iflag_f32_e32 v1, v1
	s_lshl_b32 s13, s11, 1
	s_mov_b64 s[6:7], 0
	v_mul_f32_e32 v0, 0x4f7ffffe, v0
	v_mul_f32_e32 v1, 0x4f7ffffe, v1
	v_cvt_u32_f32_e32 v0, v0
	v_cvt_u32_f32_e32 v1, v1
	v_mov_b32_e32 v49, 0
	v_lshl_add_u32 v56, s9, 1, v44
	v_mul_lo_u32 v2, s5, v0
	s_sub_i32 s5, 0, s4
	v_readfirstlane_b32 s22, v1
	s_mul_i32 s5, s5, s22
	s_mul_hi_u32 s5, s22, s5
	s_add_i32 s22, s22, s5
	s_sub_i32 s5, 1, s4
	s_cmp_lt_u32 s4, 2
	s_cselect_b32 s5, s5, 1
	s_sub_i32 s23, s5, s4
	s_cmp_ge_u32 s5, s4
	s_cselect_b32 s34, s23, s5
	s_lshr_b32 s5, s22, 31
	s_mul_i32 s5, s5, s4
	s_sub_i32 s5, 2, s5
	s_sub_i32 s22, s5, s4
	s_cmp_ge_u32 s5, s4
	s_cselect_b32 s5, s22, s5
	s_sub_i32 s22, s5, s4
	v_mul_hi_u32 v2, v0, v2
	s_cmp_ge_u32 s5, s4
	v_add_u32_e32 v55, v0, v2
	s_cselect_b32 s35, s22, s5
	v_cndmask_b32_e64 v0, 0, 1, s[2:3]
	s_mul_i32 s34, s34, s12
	s_mul_i32 s35, s35, s12
	v_add_u32_e32 v57, s9, v44
	v_cmp_ne_u32_e64 s[2:3], 1, v0
	s_mov_b32 s9, 0x7f800000
	s_movk_i32 s36, 0x7fff
	s_branch .LBB380_8
.LBB380_6:                              ;   in Loop: Header=BB380_8 Depth=1
	s_or_b64 exec, exec, s[4:5]
	v_add_u32_e32 v48, s13, v58
	v_lshl_add_u64 v[2:3], v[48:49], 1, s[18:19]
	global_store_short_d16_hi v[2:3], v0, off
.LBB380_7:                              ;   in Loop: Header=BB380_8 Depth=1
	s_or_b64 exec, exec, s[22:23]
	v_add_u32_e32 v46, s33, v46
	v_cmp_le_u32_e32 vcc, s11, v46
	s_or_b64 s[6:7], vcc, s[6:7]
	s_andn2_b64 exec, exec, s[6:7]
	s_cbranch_execz .LBB380_45
.LBB380_8:                              ; =>This Loop Header: Depth=1
                                        ;     Child Loop BB380_11 Depth 2
	s_and_b64 vcc, exec, s[2:3]
	v_or_b32_e32 v58, 1, v46
	v_mov_b32_e32 v23, v49
	v_mov_b32_e32 v22, v49
	;; [unrolled: 1-line block ×8, first 2 shown]
	s_waitcnt lgkmcnt(0)
	v_mov_b32_e32 v15, v49
	v_mov_b32_e32 v14, v49
	;; [unrolled: 1-line block ×13, first 2 shown]
	s_waitcnt vmcnt(3)
	v_mov_b32_e32 v6, v49
	v_mov_b32_e32 v5, v49
	;; [unrolled: 1-line block ×3, first 2 shown]
	s_cbranch_vccnz .LBB380_13
; %bb.9:                                ;   in Loop: Header=BB380_8 Depth=1
	v_min_u32_e32 v0, s31, v46
	v_mul_lo_u32 v50, v0, s10
	v_min_u32_e32 v0, s31, v58
	v_mov_b32_e32 v4, 0
	v_mov_b32_e32 v51, v49
	v_mul_lo_u32 v52, v0, s10
	v_mov_b32_e32 v53, v49
	s_mov_b32 s22, 0
	v_mov_b32_e32 v5, v4
	v_mov_b32_e32 v6, v4
	;; [unrolled: 1-line block ×23, first 2 shown]
	s_branch .LBB380_11
.LBB380_10:                             ;   in Loop: Header=BB380_11 Depth=2
	s_or_b64 exec, exec, s[4:5]
	s_waitcnt vmcnt(1) lgkmcnt(2)
	v_mfma_f32_16x16x32_fp8_fp8 v[20:23], v[36:37], v[28:29], v[20:23]
	s_addk_i32 s22, 0x400
	s_cmp_ge_u32 s22, s8
	s_waitcnt vmcnt(0)
	v_mfma_f32_16x16x32_fp8_fp8 v[16:19], v[36:37], v[24:25], v[16:19]
	s_waitcnt lgkmcnt(1)
	v_mfma_f32_16x16x32_fp8_fp8 v[12:15], v[40:41], v[28:29], v[12:15]
	v_mfma_f32_16x16x32_fp8_fp8 v[8:11], v[40:41], v[24:25], v[8:11]
	s_waitcnt lgkmcnt(0)
	v_mfma_f32_16x16x32_fp8_fp8 v[0:3], v[32:33], v[28:29], v[0:3]
	v_mfma_f32_16x16x32_fp8_fp8 v[4:7], v[32:33], v[24:25], v[4:7]
	;; [unrolled: 1-line block ×8, first 2 shown]
	s_cbranch_scc1 .LBB380_13
.LBB380_11:                             ;   Parent Loop BB380_8 Depth=1
                                        ; =>  This Inner Loop Header: Depth=2
	v_add_u32_e32 v47, s22, v44
	v_min_u32_e32 v48, s30, v47
	s_waitcnt lgkmcnt(0)
	v_lshl_add_u64 v[24:25], s[16:17], 0, v[48:49]
	v_lshl_add_u64 v[32:33], v[24:25], 0, v[50:51]
	;; [unrolled: 1-line block ×3, first 2 shown]
	global_load_dwordx4 v[28:31], v[32:33], off nt
	global_load_dwordx4 v[24:27], v[34:35], off nt
	v_mov_b64_e32 v[36:37], 0
	v_cmp_gt_u32_e32 vcc, s8, v47
	v_mov_b64_e32 v[38:39], v[36:37]
	v_mov_b64_e32 v[40:41], v[36:37]
	;; [unrolled: 1-line block ×5, first 2 shown]
	s_and_saveexec_b64 s[4:5], vcc
	s_cbranch_execz .LBB380_10
; %bb.12:                               ;   in Loop: Header=BB380_11 Depth=2
	v_add_u32_e32 v32, s22, v57
	ds_read_b128 v[36:39], v47
	ds_read_b128 v[40:43], v32
	v_add_u32_e32 v32, s22, v56
	ds_read_b128 v[32:35], v32
	s_branch .LBB380_10
.LBB380_13:                             ;   in Loop: Header=BB380_8 Depth=1
	s_nop 0
	v_cvt_i32_f32_e32 v21, v21
	v_cvt_i32_f32_e32 v22, v22
	;; [unrolled: 1-line block ×5, first 2 shown]
	v_cvt_f32_i32_dpp v21, v21 row_shl:1 row_mask:0xf bank_mask:0xf bound_ctrl:1
	v_cvt_i32_f32_e32 v13, v13
	v_cvt_f32_i32_dpp v22, v22 row_shl:2 row_mask:0xf bank_mask:0xf bound_ctrl:1
	v_cvt_f32_i32_dpp v17, v17 row_shl:1 row_mask:0xf bank_mask:0xf bound_ctrl:1
	v_cvt_i32_f32_e32 v14, v14
	v_cvt_f32_i32_dpp v23, v23 row_shl:3 row_mask:0xf bank_mask:0xf bound_ctrl:1
	v_cvt_f32_i32_dpp v18, v18 row_shl:2 row_mask:0xf bank_mask:0xf bound_ctrl:1
	v_cvt_i32_f32_e32 v19, v19
	v_cvt_i32_f32_e32 v15, v15
	v_add_f32_e32 v20, v20, v21
	v_cvt_f32_i32_dpp v13, v13 row_shl:1 row_mask:0xf bank_mask:0xf bound_ctrl:1
	v_add_f32_e32 v20, v20, v22
	v_add_f32_e32 v17, v16, v17
	v_cvt_f32_i32_dpp v14, v14 row_shl:2 row_mask:0xf bank_mask:0xf bound_ctrl:1
	v_add_f32_e32 v20, v20, v23
	v_add_f32_e32 v17, v17, v18
	v_cvt_f32_i32_dpp v18, v19 row_shl:3 row_mask:0xf bank_mask:0xf bound_ctrl:1
	v_cvt_f32_i32_dpp v15, v15 row_shl:3 row_mask:0xf bank_mask:0xf bound_ctrl:1
	v_cvt_i32_f32_e32 v1, v1
	ds_bpermute_b32 v21, v45, v20
	v_cvt_i32_f32_e32 v2, v2
	v_add_f32_e32 v12, v12, v13
	v_add_f32_e32 v12, v12, v14
	;; [unrolled: 1-line block ×4, first 2 shown]
	v_cvt_f32_i32_dpp v1, v1 row_shl:1 row_mask:0xf bank_mask:0xf bound_ctrl:1
	ds_bpermute_b32 v18, v45, v17
	ds_bpermute_b32 v19, v45, v14
	v_cvt_f32_i32_dpp v2, v2 row_shl:2 row_mask:0xf bank_mask:0xf bound_ctrl:1
	v_cvt_i32_f32_e32 v3, v3
	s_waitcnt lgkmcnt(0)
	v_add_f32_e32 v16, v20, v21
	v_cvt_i32_f32_e32 v20, v9
	v_add_f32_e32 v0, v0, v1
	v_add_f32_e32 v0, v0, v2
	v_cvt_f32_i32_dpp v1, v3 row_shl:3 row_mask:0xf bank_mask:0xf bound_ctrl:1
	v_cvt_i32_f32_e32 v2, v5
	v_add_f32_e32 v12, v17, v18
	v_add_f32_e32 v9, v14, v19
	v_cvt_f32_i32_dpp v14, v20 row_shl:1 row_mask:0xf bank_mask:0xf bound_ctrl:1
	v_cvt_i32_f32_e32 v17, v10
	v_cvt_i32_f32_e32 v3, v6
	;; [unrolled: 1-line block ×4, first 2 shown]
	v_add_f32_e32 v0, v0, v1
	v_cvt_f32_i32_dpp v1, v2 row_shl:1 row_mask:0xf bank_mask:0xf bound_ctrl:1
	v_add_f32_e32 v8, v8, v14
	v_cvt_f32_i32_dpp v14, v17 row_shl:2 row_mask:0xf bank_mask:0xf bound_ctrl:1
	v_cvt_f32_i32_dpp v2, v3 row_shl:2 row_mask:0xf bank_mask:0xf bound_ctrl:1
	;; [unrolled: 1-line block ×4, first 2 shown]
	v_add_f32_e32 v1, v4, v1
	v_add_f32_e32 v8, v8, v14
	;; [unrolled: 1-line block ×5, first 2 shown]
	ds_bpermute_b32 v11, v45, v8
	ds_bpermute_b32 v5, v45, v0
	;; [unrolled: 1-line block ×5, first 2 shown]
	s_waitcnt lgkmcnt(4)
	v_add_f32_e32 v7, v8, v11
	s_waitcnt lgkmcnt(3)
	v_add_f32_e32 v4, v0, v5
	;; [unrolled: 2-line block ×3, first 2 shown]
	ds_bpermute_b32 v10, v54, v9
	ds_bpermute_b32 v8, v54, v7
	;; [unrolled: 1-line block ×4, first 2 shown]
	s_and_saveexec_b64 s[22:23], s[0:1]
	s_cbranch_execz .LBB380_7
; %bb.14:                               ;   in Loop: Header=BB380_8 Depth=1
	s_andn2_b64 vcc, exec, s[20:21]
	v_mov_b32_e32 v0, 0
	v_mov_b32_e32 v18, 0
	;; [unrolled: 1-line block ×6, first 2 shown]
	s_cbranch_vccnz .LBB380_16
; %bb.15:                               ;   in Loop: Header=BB380_8 Depth=1
	v_mul_hi_u32 v0, v46, v55
	v_mul_lo_u32 v0, v0, s12
	v_sub_u32_e32 v0, v46, v0
	v_subrev_u32_e32 v1, s12, v0
	v_cmp_le_u32_e32 vcc, s12, v0
	v_mov_b32_e32 v19, v49
	s_nop 0
	v_cndmask_b32_e32 v0, v0, v1, vcc
	v_subrev_u32_e32 v1, s12, v0
	v_cmp_le_u32_e32 vcc, s12, v0
	s_nop 1
	v_cndmask_b32_e32 v48, v0, v1, vcc
	v_mul_hi_u32 v0, v58, v55
	v_mul_lo_u32 v0, v0, s12
	v_sub_u32_e32 v0, v58, v0
	v_subrev_u32_e32 v1, s12, v0
	v_cmp_le_u32_e32 vcc, s12, v0
	v_lshl_add_u64 v[20:21], v[48:49], 1, s[14:15]
	v_add_u32_e32 v18, s34, v48
	v_cndmask_b32_e32 v0, v0, v1, vcc
	v_subrev_u32_e32 v1, s12, v0
	v_cmp_le_u32_e32 vcc, s12, v0
	v_add_u32_e32 v48, s35, v48
	v_lshl_add_u64 v[24:25], v[18:19], 1, s[14:15]
	v_cndmask_b32_e32 v0, v0, v1, vcc
	v_mov_b32_e32 v1, v49
	v_add_u32_e32 v18, s34, v0
	v_lshl_add_u64 v[28:29], v[48:49], 1, s[14:15]
	v_add_u32_e32 v48, s35, v0
	v_lshl_add_u64 v[22:23], v[0:1], 1, s[14:15]
	v_lshl_add_u64 v[26:27], v[18:19], 1, s[14:15]
	;; [unrolled: 1-line block ×3, first 2 shown]
	global_load_ushort v0, v[20:21], off
	global_load_ushort v18, v[22:23], off
	;; [unrolled: 1-line block ×6, first 2 shown]
.LBB380_16:                             ;   in Loop: Header=BB380_8 Depth=1
	s_waitcnt lgkmcnt(5)
	v_add_f32_e32 v1, v16, v15
	v_mul_f32_e32 v1, s28, v1
	s_waitcnt vmcnt(5)
	v_lshlrev_b32_e32 v0, 16, v0
	v_fmac_f32_e32 v0, s29, v1
	v_and_b32_e32 v1, 0x7f800000, v0
	v_cmp_ne_u32_e32 vcc, s9, v1
                                        ; implicit-def: $vgpr15
	s_and_saveexec_b64 s[4:5], vcc
	s_xor_b64 s[4:5], exec, s[4:5]
; %bb.17:                               ;   in Loop: Header=BB380_8 Depth=1
	v_bfe_u32 v1, v0, 16, 1
	v_add3_u32 v15, v0, v1, s36
                                        ; implicit-def: $vgpr0
; %bb.18:                               ;   in Loop: Header=BB380_8 Depth=1
	s_andn2_saveexec_b64 s[4:5], s[4:5]
; %bb.19:                               ;   in Loop: Header=BB380_8 Depth=1
	v_or_b32_e32 v1, 0x10000, v0
	v_cmp_eq_u32_sdwa vcc, v0, v49 src0_sel:WORD_0 src1_sel:DWORD
	s_nop 1
	v_cndmask_b32_e32 v15, v1, v0, vcc
; %bb.20:                               ;   in Loop: Header=BB380_8 Depth=1
	s_or_b64 exec, exec, s[4:5]
	v_mov_b32_e32 v47, v49
	v_lshl_add_u64 v[0:1], v[46:47], 1, s[18:19]
	v_cmp_gt_u32_e32 vcc, s11, v58
	global_store_short_d16_hi v[0:1], v15, off
	s_and_saveexec_b64 s[24:25], vcc
	s_cbranch_execz .LBB380_26
; %bb.21:                               ;   in Loop: Header=BB380_8 Depth=1
	s_waitcnt lgkmcnt(4)
	v_add_f32_e32 v12, v12, v13
	v_mul_f32_e32 v13, s28, v12
	s_waitcnt vmcnt(5)
	v_lshlrev_b32_e32 v12, 16, v18
	v_fmac_f32_e32 v12, s29, v13
	v_and_b32_e32 v13, 0x7f800000, v12
	v_cmp_ne_u32_e64 s[4:5], s9, v13
                                        ; implicit-def: $vgpr13
	s_and_saveexec_b64 s[26:27], s[4:5]
	s_xor_b64 s[4:5], exec, s[26:27]
; %bb.22:                               ;   in Loop: Header=BB380_8 Depth=1
	v_bfe_u32 v13, v12, 16, 1
	v_add3_u32 v13, v12, v13, s36
                                        ; implicit-def: $vgpr12
; %bb.23:                               ;   in Loop: Header=BB380_8 Depth=1
	s_andn2_saveexec_b64 s[26:27], s[4:5]
; %bb.24:                               ;   in Loop: Header=BB380_8 Depth=1
	v_or_b32_e32 v13, 0x10000, v12
	v_cmp_eq_u32_sdwa s[4:5], v12, v49 src0_sel:WORD_0 src1_sel:DWORD
	s_nop 1
	v_cndmask_b32_e64 v13, v13, v12, s[4:5]
; %bb.25:                               ;   in Loop: Header=BB380_8 Depth=1
	s_or_b64 exec, exec, s[26:27]
	global_store_short_d16_hi v[0:1], v13, off offset:2
.LBB380_26:                             ;   in Loop: Header=BB380_8 Depth=1
	s_or_b64 exec, exec, s[24:25]
	s_waitcnt lgkmcnt(3)
	v_add_f32_e32 v0, v9, v10
	v_mul_f32_e32 v1, s28, v0
	s_waitcnt vmcnt(4)
	v_lshlrev_b32_e32 v0, 16, v17
	v_fmac_f32_e32 v0, s29, v1
	v_and_b32_e32 v1, 0x7f800000, v0
	v_cmp_ne_u32_e64 s[4:5], s9, v1
                                        ; implicit-def: $vgpr1
	s_and_saveexec_b64 s[24:25], s[4:5]
	s_xor_b64 s[4:5], exec, s[24:25]
; %bb.27:                               ;   in Loop: Header=BB380_8 Depth=1
	v_bfe_u32 v1, v0, 16, 1
	v_add3_u32 v1, v0, v1, s36
                                        ; implicit-def: $vgpr0
; %bb.28:                               ;   in Loop: Header=BB380_8 Depth=1
	s_andn2_saveexec_b64 s[24:25], s[4:5]
; %bb.29:                               ;   in Loop: Header=BB380_8 Depth=1
	v_or_b32_e32 v1, 0x10000, v0
	v_cmp_eq_u32_sdwa s[4:5], v0, v49 src0_sel:WORD_0 src1_sel:DWORD
	s_nop 1
	v_cndmask_b32_e64 v1, v1, v0, s[4:5]
; %bb.30:                               ;   in Loop: Header=BB380_8 Depth=1
	s_or_b64 exec, exec, s[24:25]
	v_add_u32_e32 v48, s11, v46
	v_lshl_add_u64 v[12:13], v[48:49], 1, s[18:19]
	global_store_short_d16_hi v[12:13], v1, off
	s_and_saveexec_b64 s[24:25], vcc
	s_cbranch_execz .LBB380_36
; %bb.31:                               ;   in Loop: Header=BB380_8 Depth=1
	s_waitcnt lgkmcnt(2)
	v_add_f32_e32 v0, v7, v8
	v_mul_f32_e32 v0, s28, v0
	s_waitcnt vmcnt(4)
	v_lshlrev_b32_e32 v1, 16, v14
	v_fmac_f32_e32 v1, s29, v0
	v_and_b32_e32 v0, 0x7f800000, v1
	v_cmp_ne_u32_e64 s[4:5], s9, v0
                                        ; implicit-def: $vgpr0
	s_and_saveexec_b64 s[26:27], s[4:5]
	s_xor_b64 s[4:5], exec, s[26:27]
; %bb.32:                               ;   in Loop: Header=BB380_8 Depth=1
	v_bfe_u32 v0, v1, 16, 1
	v_add3_u32 v0, v1, v0, s36
                                        ; implicit-def: $vgpr1
; %bb.33:                               ;   in Loop: Header=BB380_8 Depth=1
	s_andn2_saveexec_b64 s[26:27], s[4:5]
; %bb.34:                               ;   in Loop: Header=BB380_8 Depth=1
	v_or_b32_e32 v0, 0x10000, v1
	v_cmp_eq_u32_sdwa s[4:5], v1, v49 src0_sel:WORD_0 src1_sel:DWORD
	s_nop 1
	v_cndmask_b32_e64 v0, v0, v1, s[4:5]
; %bb.35:                               ;   in Loop: Header=BB380_8 Depth=1
	s_or_b64 exec, exec, s[26:27]
	v_add_u32_e32 v8, s11, v58
	v_mov_b32_e32 v9, v49
	v_lshl_add_u64 v[8:9], v[8:9], 1, s[18:19]
	global_store_short_d16_hi v[8:9], v0, off
.LBB380_36:                             ;   in Loop: Header=BB380_8 Depth=1
	s_or_b64 exec, exec, s[24:25]
	s_waitcnt lgkmcnt(1)
	v_add_f32_e32 v0, v4, v5
	v_mul_f32_e32 v1, s28, v0
	s_waitcnt vmcnt(3)
	v_lshlrev_b32_e32 v0, 16, v11
	v_fmac_f32_e32 v0, s29, v1
	v_and_b32_e32 v1, 0x7f800000, v0
	v_cmp_ne_u32_e64 s[4:5], s9, v1
                                        ; implicit-def: $vgpr1
	s_and_saveexec_b64 s[24:25], s[4:5]
	s_xor_b64 s[4:5], exec, s[24:25]
; %bb.37:                               ;   in Loop: Header=BB380_8 Depth=1
	v_bfe_u32 v1, v0, 16, 1
	v_add3_u32 v1, v0, v1, s36
                                        ; implicit-def: $vgpr0
; %bb.38:                               ;   in Loop: Header=BB380_8 Depth=1
	s_andn2_saveexec_b64 s[24:25], s[4:5]
; %bb.39:                               ;   in Loop: Header=BB380_8 Depth=1
	v_or_b32_e32 v1, 0x10000, v0
	v_cmp_eq_u32_sdwa s[4:5], v0, v49 src0_sel:WORD_0 src1_sel:DWORD
	s_nop 1
	v_cndmask_b32_e64 v1, v1, v0, s[4:5]
; %bb.40:                               ;   in Loop: Header=BB380_8 Depth=1
	s_or_b64 exec, exec, s[24:25]
	v_add_u32_e32 v48, s11, v48
	v_lshl_add_u64 v[4:5], v[48:49], 1, s[18:19]
	global_store_short_d16_hi v[4:5], v1, off
	s_and_b64 exec, exec, vcc
	s_cbranch_execz .LBB380_7
; %bb.41:                               ;   in Loop: Header=BB380_8 Depth=1
	s_waitcnt lgkmcnt(0)
	v_add_f32_e32 v0, v2, v3
	v_mul_f32_e32 v0, s28, v0
	s_waitcnt vmcnt(3)
	v_lshlrev_b32_e32 v1, 16, v6
	v_fmac_f32_e32 v1, s29, v0
	v_and_b32_e32 v0, 0x7f800000, v1
	v_cmp_ne_u32_e32 vcc, s9, v0
                                        ; implicit-def: $vgpr0
	s_and_saveexec_b64 s[4:5], vcc
	s_xor_b64 s[4:5], exec, s[4:5]
; %bb.42:                               ;   in Loop: Header=BB380_8 Depth=1
	v_bfe_u32 v0, v1, 16, 1
	v_add3_u32 v0, v1, v0, s36
                                        ; implicit-def: $vgpr1
; %bb.43:                               ;   in Loop: Header=BB380_8 Depth=1
	s_andn2_saveexec_b64 s[4:5], s[4:5]
	s_cbranch_execz .LBB380_6
; %bb.44:                               ;   in Loop: Header=BB380_8 Depth=1
	v_or_b32_e32 v0, 0x10000, v1
	v_cmp_eq_u32_sdwa vcc, v1, v49 src0_sel:WORD_0 src1_sel:DWORD
	s_nop 1
	v_cndmask_b32_e32 v0, v0, v1, vcc
	s_branch .LBB380_6
.LBB380_45:
	s_endpgm
	.section	.rodata,"a",@progbits
	.p2align	6, 0x0
	.amdhsa_kernel _Z17wvSplitKQ_hf_sml_I14__hip_bfloat16N3c1013Float8_e4m3fnELi64ELi2ELi16ELi16ELi1ELi3EEviiiiiiPKT0_S5_PKT_PS6_PKfSB_ii
		.amdhsa_group_segment_fixed_size 65536
		.amdhsa_private_segment_fixed_size 0
		.amdhsa_kernarg_size 80
		.amdhsa_user_sgpr_count 2
		.amdhsa_user_sgpr_dispatch_ptr 0
		.amdhsa_user_sgpr_queue_ptr 0
		.amdhsa_user_sgpr_kernarg_segment_ptr 1
		.amdhsa_user_sgpr_dispatch_id 0
		.amdhsa_user_sgpr_kernarg_preload_length 0
		.amdhsa_user_sgpr_kernarg_preload_offset 0
		.amdhsa_user_sgpr_private_segment_size 0
		.amdhsa_uses_dynamic_stack 0
		.amdhsa_enable_private_segment 0
		.amdhsa_system_sgpr_workgroup_id_x 1
		.amdhsa_system_sgpr_workgroup_id_y 0
		.amdhsa_system_sgpr_workgroup_id_z 0
		.amdhsa_system_sgpr_workgroup_info 0
		.amdhsa_system_vgpr_workitem_id 1
		.amdhsa_next_free_vgpr 59
		.amdhsa_next_free_sgpr 37
		.amdhsa_accum_offset 60
		.amdhsa_reserve_vcc 1
		.amdhsa_float_round_mode_32 0
		.amdhsa_float_round_mode_16_64 0
		.amdhsa_float_denorm_mode_32 3
		.amdhsa_float_denorm_mode_16_64 3
		.amdhsa_dx10_clamp 1
		.amdhsa_ieee_mode 1
		.amdhsa_fp16_overflow 0
		.amdhsa_tg_split 0
		.amdhsa_exception_fp_ieee_invalid_op 0
		.amdhsa_exception_fp_denorm_src 0
		.amdhsa_exception_fp_ieee_div_zero 0
		.amdhsa_exception_fp_ieee_overflow 0
		.amdhsa_exception_fp_ieee_underflow 0
		.amdhsa_exception_fp_ieee_inexact 0
		.amdhsa_exception_int_div_zero 0
	.end_amdhsa_kernel
	.section	.text._Z17wvSplitKQ_hf_sml_I14__hip_bfloat16N3c1013Float8_e4m3fnELi64ELi2ELi16ELi16ELi1ELi3EEviiiiiiPKT0_S5_PKT_PS6_PKfSB_ii,"axG",@progbits,_Z17wvSplitKQ_hf_sml_I14__hip_bfloat16N3c1013Float8_e4m3fnELi64ELi2ELi16ELi16ELi1ELi3EEviiiiiiPKT0_S5_PKT_PS6_PKfSB_ii,comdat
.Lfunc_end380:
	.size	_Z17wvSplitKQ_hf_sml_I14__hip_bfloat16N3c1013Float8_e4m3fnELi64ELi2ELi16ELi16ELi1ELi3EEviiiiiiPKT0_S5_PKT_PS6_PKfSB_ii, .Lfunc_end380-_Z17wvSplitKQ_hf_sml_I14__hip_bfloat16N3c1013Float8_e4m3fnELi64ELi2ELi16ELi16ELi1ELi3EEviiiiiiPKT0_S5_PKT_PS6_PKfSB_ii
                                        ; -- End function
	.section	.AMDGPU.csdata,"",@progbits
; Kernel info:
; codeLenInByte = 2556
; NumSgprs: 43
; NumVgprs: 59
; NumAgprs: 0
; TotalNumVgprs: 59
; ScratchSize: 0
; MemoryBound: 0
; FloatMode: 240
; IeeeMode: 1
; LDSByteSize: 65536 bytes/workgroup (compile time only)
; SGPRBlocks: 5
; VGPRBlocks: 7
; NumSGPRsForWavesPerEU: 43
; NumVGPRsForWavesPerEU: 59
; AccumOffset: 60
; Occupancy: 4
; WaveLimiterHint : 0
; COMPUTE_PGM_RSRC2:SCRATCH_EN: 0
; COMPUTE_PGM_RSRC2:USER_SGPR: 2
; COMPUTE_PGM_RSRC2:TRAP_HANDLER: 0
; COMPUTE_PGM_RSRC2:TGID_X_EN: 1
; COMPUTE_PGM_RSRC2:TGID_Y_EN: 0
; COMPUTE_PGM_RSRC2:TGID_Z_EN: 0
; COMPUTE_PGM_RSRC2:TIDIG_COMP_CNT: 1
; COMPUTE_PGM_RSRC3_GFX90A:ACCUM_OFFSET: 14
; COMPUTE_PGM_RSRC3_GFX90A:TG_SPLIT: 0
	.section	.text._Z13wvSplitKQ_hf_I14__hip_bfloat16N3c1013Float8_e4m3fnELi64ELi2ELi16ELi16ELi1ELi3EEviiiiiiPKT0_S5_PKT_PS6_PKfSB_ii,"axG",@progbits,_Z13wvSplitKQ_hf_I14__hip_bfloat16N3c1013Float8_e4m3fnELi64ELi2ELi16ELi16ELi1ELi3EEviiiiiiPKT0_S5_PKT_PS6_PKfSB_ii,comdat
	.protected	_Z13wvSplitKQ_hf_I14__hip_bfloat16N3c1013Float8_e4m3fnELi64ELi2ELi16ELi16ELi1ELi3EEviiiiiiPKT0_S5_PKT_PS6_PKfSB_ii ; -- Begin function _Z13wvSplitKQ_hf_I14__hip_bfloat16N3c1013Float8_e4m3fnELi64ELi2ELi16ELi16ELi1ELi3EEviiiiiiPKT0_S5_PKT_PS6_PKfSB_ii
	.globl	_Z13wvSplitKQ_hf_I14__hip_bfloat16N3c1013Float8_e4m3fnELi64ELi2ELi16ELi16ELi1ELi3EEviiiiiiPKT0_S5_PKT_PS6_PKfSB_ii
	.p2align	8
	.type	_Z13wvSplitKQ_hf_I14__hip_bfloat16N3c1013Float8_e4m3fnELi64ELi2ELi16ELi16ELi1ELi3EEviiiiiiPKT0_S5_PKT_PS6_PKfSB_ii,@function
_Z13wvSplitKQ_hf_I14__hip_bfloat16N3c1013Float8_e4m3fnELi64ELi2ELi16ELi16ELi1ELi3EEviiiiiiPKT0_S5_PKT_PS6_PKfSB_ii: ; @_Z13wvSplitKQ_hf_I14__hip_bfloat16N3c1013Float8_e4m3fnELi64ELi2ELi16ELi16ELi1ELi3EEviiiiiiPKT0_S5_PKT_PS6_PKfSB_ii
; %bb.0:
	s_load_dwordx4 s[8:11], s[0:1], 0x0
	s_load_dwordx2 s[16:17], s[0:1], 0x10
	s_load_dwordx4 s[4:7], s[0:1], 0x38
	s_load_dwordx4 s[12:15], s[0:1], 0x20
	v_and_b32_e32 v2, 0x3ff, v0
	v_bfe_u32 v3, v0, 10, 10
	v_lshlrev_b32_e32 v44, 4, v2
	s_waitcnt lgkmcnt(0)
	s_mul_i32 s3, s9, 3
	v_lshl_add_u32 v4, v3, 10, v44
	s_min_u32 s3, s3, 0x10000
	v_cmp_gt_u32_e32 vcc, s3, v4
	s_and_saveexec_b64 s[18:19], vcc
	s_cbranch_execz .LBB381_3
; %bb.1:
	v_mov_b32_e32 v1, 0
	v_lshlrev_b32_e32 v0, 10, v3
	v_mov_b32_e32 v45, v1
	v_lshl_add_u64 v[0:1], v[0:1], 0, v[44:45]
	v_lshl_add_u64 v[0:1], s[12:13], 0, v[0:1]
	s_mov_b64 s[20:21], 0
	s_mov_b64 s[22:23], 0x4000
.LBB381_2:                              ; =>This Inner Loop Header: Depth=1
	global_load_dwordx4 v[6:9], v[0:1], off
	v_lshl_add_u64 v[0:1], v[0:1], 0, s[22:23]
	s_waitcnt vmcnt(0)
	ds_write_b128 v4, v[6:9]
	v_add_u32_e32 v4, 0x4000, v4
	v_cmp_le_u32_e32 vcc, s3, v4
	s_or_b64 s[20:21], vcc, s[20:21]
	s_andn2_b64 exec, exec, s[20:21]
	s_cbranch_execnz .LBB381_2
.LBB381_3:
	s_or_b64 exec, exec, s[18:19]
	s_load_dwordx2 s[22:23], s[0:1], 0x48
	;;#ASMSTART
	s_waitcnt vmcnt(0)
	;;#ASMEND
	s_waitcnt lgkmcnt(0)
	s_barrier
	v_cmp_gt_u32_e32 vcc, s22, v3
	s_and_saveexec_b64 s[18:19], vcc
	s_cbranch_execz .LBB381_57
; %bb.4:
	s_mul_i32 s2, s2, s22
	v_add_lshl_u32 v46, s2, v3, 1
	v_cmp_gt_u32_e32 vcc, s11, v46
	s_and_b64 exec, exec, vcc
	s_cbranch_execz .LBB381_57
; %bb.5:
	v_mbcnt_lo_u32_b32 v0, -1, 0
	v_mbcnt_hi_u32_b32 v0, -1, v0
	s_cmp_lg_u32 s8, 0
	v_and_b32_e32 v1, 63, v0
	s_cselect_b64 s[2:3], -1, 0
	s_add_i32 s33, s8, -16
	s_add_i32 s34, s11, -1
	v_cmp_lt_u32_e32 vcc, 43, v1
	s_load_dword s30, s[4:5], 0x0
	s_load_dword s31, s[6:7], 0x0
	s_load_dwordx2 s[18:19], s[0:1], 0x18
	s_load_dwordx2 s[20:21], s[0:1], 0x30
	s_mul_i32 s4, s22, s23
	v_cndmask_b32_e64 v3, 20, 0, vcc
	v_cmp_lt_u32_e32 vcc, 23, v1
	s_cmp_lg_u64 s[14:15], 0
	s_cselect_b64 s[22:23], -1, 0
	v_cndmask_b32_e64 v1, 40, 0, vcc
	s_lshl_b32 s35, s4, 1
	s_abs_i32 s4, s17
	v_add_lshl_u32 v45, v3, v0, 2
	v_add_lshl_u32 v54, v1, v0, 2
	v_cvt_f32_u32_e32 v0, s16
	v_cvt_f32_u32_e32 v1, s4
	s_sub_i32 s5, 0, s16
	v_cmp_eq_u32_e64 s[0:1], 0, v2
	v_rcp_iflag_f32_e32 v0, v0
	v_rcp_iflag_f32_e32 v1, v1
	s_lshl_b32 s17, s11, 1
	s_mov_b64 s[6:7], 0
	v_mul_f32_e32 v0, 0x4f7ffffe, v0
	v_mul_f32_e32 v1, 0x4f7ffffe, v1
	v_cvt_u32_f32_e32 v0, v0
	v_cvt_u32_f32_e32 v1, v1
	v_mov_b32_e32 v49, 0
	v_lshl_add_u32 v56, s9, 1, v44
	v_mul_lo_u32 v2, s5, v0
	s_sub_i32 s5, 0, s4
	v_readfirstlane_b32 s24, v1
	s_mul_i32 s5, s5, s24
	s_mul_hi_u32 s5, s24, s5
	s_add_i32 s24, s24, s5
	s_sub_i32 s5, 1, s4
	s_cmp_lt_u32 s4, 2
	s_cselect_b32 s5, s5, 1
	s_sub_i32 s25, s5, s4
	s_cmp_ge_u32 s5, s4
	s_cselect_b32 s36, s25, s5
	s_lshr_b32 s5, s24, 31
	s_mul_i32 s5, s5, s4
	s_sub_i32 s5, 2, s5
	s_sub_i32 s24, s5, s4
	s_cmp_ge_u32 s5, s4
	s_cselect_b32 s5, s24, s5
	s_sub_i32 s24, s5, s4
	v_mul_hi_u32 v2, v0, v2
	s_cmp_ge_u32 s5, s4
	v_add_u32_e32 v55, v0, v2
	s_cselect_b32 s37, s24, s5
	v_cndmask_b32_e64 v0, 0, 1, s[2:3]
	s_mul_i32 s36, s36, s16
	s_mul_i32 s37, s37, s16
	v_add_u32_e32 v57, s9, v44
	v_cmp_ne_u32_e64 s[2:3], 1, v0
	s_mov_b32 s9, 0xffff
	s_mov_b32 s38, 0x7f800000
	s_movk_i32 s39, 0x7fff
	s_branch .LBB381_8
.LBB381_6:                              ;   in Loop: Header=BB381_8 Depth=1
	s_or_b64 exec, exec, s[4:5]
	v_add_u32_e32 v48, s17, v58
	v_lshl_add_u64 v[2:3], v[48:49], 1, s[20:21]
	global_store_short_d16_hi v[2:3], v0, off
.LBB381_7:                              ;   in Loop: Header=BB381_8 Depth=1
	s_or_b64 exec, exec, s[24:25]
	v_add_u32_e32 v46, s35, v46
	v_cmp_le_u32_e32 vcc, s11, v46
	s_or_b64 s[6:7], vcc, s[6:7]
	s_andn2_b64 exec, exec, s[6:7]
	s_cbranch_execz .LBB381_57
.LBB381_8:                              ; =>This Loop Header: Depth=1
                                        ;     Child Loop BB381_12 Depth 2
	s_and_b64 vcc, exec, s[2:3]
	v_or_b32_e32 v58, 1, v46
	v_mov_b32_e32 v23, v49
	v_mov_b32_e32 v22, v49
	;; [unrolled: 1-line block ×8, first 2 shown]
	s_waitcnt lgkmcnt(0)
	v_mov_b32_e32 v15, v49
	v_mov_b32_e32 v14, v49
	;; [unrolled: 1-line block ×13, first 2 shown]
	s_waitcnt vmcnt(3)
	v_mov_b32_e32 v6, v49
	v_mov_b32_e32 v5, v49
	v_mov_b32_e32 v4, v49
	s_cbranch_vccnz .LBB381_25
; %bb.9:                                ;   in Loop: Header=BB381_8 Depth=1
	v_min_u32_e32 v0, s34, v46
	v_mul_lo_u32 v50, v0, s10
	v_min_u32_e32 v0, s34, v58
	v_mov_b32_e32 v4, 0
	v_mov_b32_e32 v51, v49
	v_mul_lo_u32 v52, v0, s10
	v_mov_b32_e32 v53, v49
	s_mov_b32 s26, 0
	v_mov_b32_e32 v5, v4
	v_mov_b32_e32 v6, v4
	;; [unrolled: 1-line block ×23, first 2 shown]
	s_branch .LBB381_12
.LBB381_10:                             ;   in Loop: Header=BB381_12 Depth=2
	s_or_b64 exec, exec, s[24:25]
.LBB381_11:                             ;   in Loop: Header=BB381_12 Depth=2
	s_or_b64 exec, exec, s[4:5]
	s_waitcnt vmcnt(0) lgkmcnt(0)
	v_mfma_f32_16x16x32_fp8_fp8 v[20:23], v[32:33], v[28:29], v[20:23]
	s_addk_i32 s26, 0x400
	s_cmp_ge_u32 s26, s8
	v_mfma_f32_16x16x32_fp8_fp8 v[16:19], v[32:33], v[24:25], v[16:19]
	v_mfma_f32_16x16x32_fp8_fp8 v[12:15], v[36:37], v[28:29], v[12:15]
	;; [unrolled: 1-line block ×11, first 2 shown]
	s_cbranch_scc1 .LBB381_25
.LBB381_12:                             ;   Parent Loop BB381_8 Depth=1
                                        ; =>  This Inner Loop Header: Depth=2
	v_add_u32_e32 v47, s26, v44
	v_min_u32_e32 v48, s33, v47
	s_waitcnt lgkmcnt(0)
	v_lshl_add_u64 v[24:25], s[18:19], 0, v[48:49]
	v_lshl_add_u64 v[32:33], v[24:25], 0, v[50:51]
	;; [unrolled: 1-line block ×3, first 2 shown]
	global_load_dwordx4 v[28:31], v[32:33], off nt
	global_load_dwordx4 v[24:27], v[34:35], off nt
	v_mov_b64_e32 v[42:43], 0
	v_cmp_gt_u32_e32 vcc, s8, v47
	v_mov_b64_e32 v[40:41], v[42:43]
	v_mov_b64_e32 v[38:39], v[42:43]
	;; [unrolled: 1-line block ×5, first 2 shown]
	s_and_saveexec_b64 s[4:5], vcc
	s_cbranch_execz .LBB381_11
; %bb.13:                               ;   in Loop: Header=BB381_12 Depth=2
	v_cmp_lt_u32_e32 vcc, s9, v47
                                        ; implicit-def: $vgpr34_vgpr35
	s_and_saveexec_b64 s[24:25], vcc
	s_xor_b64 s[24:25], exec, s[24:25]
	s_cbranch_execz .LBB381_15
; %bb.14:                               ;   in Loop: Header=BB381_12 Depth=2
	global_load_dwordx4 v[32:35], v47, s[12:13]
                                        ; implicit-def: $vgpr47
.LBB381_15:                             ;   in Loop: Header=BB381_12 Depth=2
	s_andn2_saveexec_b64 s[24:25], s[24:25]
	s_cbranch_execz .LBB381_17
; %bb.16:                               ;   in Loop: Header=BB381_12 Depth=2
	s_waitcnt vmcnt(0)
	ds_read_b128 v[32:35], v47
.LBB381_17:                             ;   in Loop: Header=BB381_12 Depth=2
	s_or_b64 exec, exec, s[24:25]
	v_add_u32_e32 v40, s26, v57
	v_cmp_lt_u32_e32 vcc, s9, v40
                                        ; implicit-def: $vgpr38_vgpr39
	s_and_saveexec_b64 s[24:25], vcc
	s_xor_b64 s[24:25], exec, s[24:25]
	s_cbranch_execz .LBB381_19
; %bb.18:                               ;   in Loop: Header=BB381_12 Depth=2
	global_load_dwordx4 v[36:39], v40, s[12:13]
                                        ; implicit-def: $vgpr40
.LBB381_19:                             ;   in Loop: Header=BB381_12 Depth=2
	s_andn2_saveexec_b64 s[24:25], s[24:25]
	s_cbranch_execz .LBB381_21
; %bb.20:                               ;   in Loop: Header=BB381_12 Depth=2
	s_waitcnt vmcnt(0)
	ds_read_b128 v[36:39], v40
.LBB381_21:                             ;   in Loop: Header=BB381_12 Depth=2
	s_or_b64 exec, exec, s[24:25]
	v_add_u32_e32 v47, s26, v56
	v_cmp_lt_u32_e32 vcc, s9, v47
                                        ; implicit-def: $vgpr42_vgpr43
	s_and_saveexec_b64 s[24:25], vcc
	s_xor_b64 s[24:25], exec, s[24:25]
	s_cbranch_execz .LBB381_23
; %bb.22:                               ;   in Loop: Header=BB381_12 Depth=2
	global_load_dwordx4 v[40:43], v47, s[12:13]
                                        ; implicit-def: $vgpr47
.LBB381_23:                             ;   in Loop: Header=BB381_12 Depth=2
	s_andn2_saveexec_b64 s[24:25], s[24:25]
	s_cbranch_execz .LBB381_10
; %bb.24:                               ;   in Loop: Header=BB381_12 Depth=2
	s_waitcnt vmcnt(0)
	ds_read_b128 v[40:43], v47
	s_branch .LBB381_10
.LBB381_25:                             ;   in Loop: Header=BB381_8 Depth=1
	s_nop 0
	v_cvt_i32_f32_e32 v21, v21
	v_cvt_i32_f32_e32 v22, v22
	;; [unrolled: 1-line block ×5, first 2 shown]
	v_cvt_f32_i32_dpp v21, v21 row_shl:1 row_mask:0xf bank_mask:0xf bound_ctrl:1
	v_cvt_i32_f32_e32 v13, v13
	v_cvt_f32_i32_dpp v22, v22 row_shl:2 row_mask:0xf bank_mask:0xf bound_ctrl:1
	v_cvt_f32_i32_dpp v17, v17 row_shl:1 row_mask:0xf bank_mask:0xf bound_ctrl:1
	v_cvt_i32_f32_e32 v14, v14
	v_cvt_f32_i32_dpp v23, v23 row_shl:3 row_mask:0xf bank_mask:0xf bound_ctrl:1
	v_cvt_f32_i32_dpp v18, v18 row_shl:2 row_mask:0xf bank_mask:0xf bound_ctrl:1
	v_cvt_i32_f32_e32 v19, v19
	v_cvt_i32_f32_e32 v15, v15
	v_add_f32_e32 v20, v20, v21
	v_cvt_f32_i32_dpp v13, v13 row_shl:1 row_mask:0xf bank_mask:0xf bound_ctrl:1
	v_add_f32_e32 v20, v20, v22
	v_add_f32_e32 v17, v16, v17
	v_cvt_f32_i32_dpp v14, v14 row_shl:2 row_mask:0xf bank_mask:0xf bound_ctrl:1
	v_add_f32_e32 v20, v20, v23
	v_add_f32_e32 v17, v17, v18
	v_cvt_f32_i32_dpp v18, v19 row_shl:3 row_mask:0xf bank_mask:0xf bound_ctrl:1
	v_cvt_f32_i32_dpp v15, v15 row_shl:3 row_mask:0xf bank_mask:0xf bound_ctrl:1
	v_cvt_i32_f32_e32 v1, v1
	ds_bpermute_b32 v21, v45, v20
	v_cvt_i32_f32_e32 v2, v2
	v_add_f32_e32 v12, v12, v13
	v_add_f32_e32 v12, v12, v14
	;; [unrolled: 1-line block ×4, first 2 shown]
	v_cvt_f32_i32_dpp v1, v1 row_shl:1 row_mask:0xf bank_mask:0xf bound_ctrl:1
	ds_bpermute_b32 v18, v45, v17
	ds_bpermute_b32 v19, v45, v14
	v_cvt_f32_i32_dpp v2, v2 row_shl:2 row_mask:0xf bank_mask:0xf bound_ctrl:1
	v_cvt_i32_f32_e32 v3, v3
	s_waitcnt lgkmcnt(0)
	v_add_f32_e32 v16, v20, v21
	v_cvt_i32_f32_e32 v20, v9
	v_add_f32_e32 v0, v0, v1
	v_add_f32_e32 v0, v0, v2
	v_cvt_f32_i32_dpp v1, v3 row_shl:3 row_mask:0xf bank_mask:0xf bound_ctrl:1
	v_cvt_i32_f32_e32 v2, v5
	v_add_f32_e32 v12, v17, v18
	v_add_f32_e32 v9, v14, v19
	v_cvt_f32_i32_dpp v14, v20 row_shl:1 row_mask:0xf bank_mask:0xf bound_ctrl:1
	v_cvt_i32_f32_e32 v17, v10
	v_cvt_i32_f32_e32 v3, v6
	;; [unrolled: 1-line block ×4, first 2 shown]
	v_add_f32_e32 v0, v0, v1
	v_cvt_f32_i32_dpp v1, v2 row_shl:1 row_mask:0xf bank_mask:0xf bound_ctrl:1
	v_add_f32_e32 v8, v8, v14
	v_cvt_f32_i32_dpp v14, v17 row_shl:2 row_mask:0xf bank_mask:0xf bound_ctrl:1
	v_cvt_f32_i32_dpp v2, v3 row_shl:2 row_mask:0xf bank_mask:0xf bound_ctrl:1
	;; [unrolled: 1-line block ×4, first 2 shown]
	v_add_f32_e32 v1, v4, v1
	v_add_f32_e32 v8, v8, v14
	;; [unrolled: 1-line block ×5, first 2 shown]
	ds_bpermute_b32 v11, v45, v8
	ds_bpermute_b32 v5, v45, v0
	;; [unrolled: 1-line block ×5, first 2 shown]
	s_waitcnt lgkmcnt(4)
	v_add_f32_e32 v7, v8, v11
	s_waitcnt lgkmcnt(3)
	v_add_f32_e32 v4, v0, v5
	;; [unrolled: 2-line block ×3, first 2 shown]
	ds_bpermute_b32 v10, v54, v9
	ds_bpermute_b32 v8, v54, v7
	;; [unrolled: 1-line block ×4, first 2 shown]
	s_and_saveexec_b64 s[24:25], s[0:1]
	s_cbranch_execz .LBB381_7
; %bb.26:                               ;   in Loop: Header=BB381_8 Depth=1
	s_andn2_b64 vcc, exec, s[22:23]
	v_mov_b32_e32 v0, 0
	v_mov_b32_e32 v18, 0
	;; [unrolled: 1-line block ×6, first 2 shown]
	s_cbranch_vccnz .LBB381_28
; %bb.27:                               ;   in Loop: Header=BB381_8 Depth=1
	v_mul_hi_u32 v0, v46, v55
	v_mul_lo_u32 v0, v0, s16
	v_sub_u32_e32 v0, v46, v0
	v_subrev_u32_e32 v1, s16, v0
	v_cmp_le_u32_e32 vcc, s16, v0
	v_mov_b32_e32 v19, v49
	s_nop 0
	v_cndmask_b32_e32 v0, v0, v1, vcc
	v_subrev_u32_e32 v1, s16, v0
	v_cmp_le_u32_e32 vcc, s16, v0
	s_nop 1
	v_cndmask_b32_e32 v48, v0, v1, vcc
	v_mul_hi_u32 v0, v58, v55
	v_mul_lo_u32 v0, v0, s16
	v_sub_u32_e32 v0, v58, v0
	v_subrev_u32_e32 v1, s16, v0
	v_cmp_le_u32_e32 vcc, s16, v0
	v_lshl_add_u64 v[20:21], v[48:49], 1, s[14:15]
	v_add_u32_e32 v18, s36, v48
	v_cndmask_b32_e32 v0, v0, v1, vcc
	v_subrev_u32_e32 v1, s16, v0
	v_cmp_le_u32_e32 vcc, s16, v0
	v_add_u32_e32 v48, s37, v48
	v_lshl_add_u64 v[24:25], v[18:19], 1, s[14:15]
	v_cndmask_b32_e32 v0, v0, v1, vcc
	v_mov_b32_e32 v1, v49
	v_add_u32_e32 v18, s36, v0
	v_lshl_add_u64 v[28:29], v[48:49], 1, s[14:15]
	v_add_u32_e32 v48, s37, v0
	v_lshl_add_u64 v[22:23], v[0:1], 1, s[14:15]
	v_lshl_add_u64 v[26:27], v[18:19], 1, s[14:15]
	;; [unrolled: 1-line block ×3, first 2 shown]
	global_load_ushort v0, v[20:21], off
	global_load_ushort v18, v[22:23], off
	global_load_ushort v17, v[24:25], off
	global_load_ushort v14, v[26:27], off
	global_load_ushort v11, v[28:29], off
	global_load_ushort v6, v[30:31], off
.LBB381_28:                             ;   in Loop: Header=BB381_8 Depth=1
	s_waitcnt lgkmcnt(5)
	v_add_f32_e32 v1, v16, v15
	v_mul_f32_e32 v1, s30, v1
	s_waitcnt vmcnt(5)
	v_lshlrev_b32_e32 v0, 16, v0
	v_fmac_f32_e32 v0, s31, v1
	v_and_b32_e32 v1, 0x7f800000, v0
	v_cmp_ne_u32_e32 vcc, s38, v1
                                        ; implicit-def: $vgpr15
	s_and_saveexec_b64 s[4:5], vcc
	s_xor_b64 s[4:5], exec, s[4:5]
; %bb.29:                               ;   in Loop: Header=BB381_8 Depth=1
	v_bfe_u32 v1, v0, 16, 1
	v_add3_u32 v15, v0, v1, s39
                                        ; implicit-def: $vgpr0
; %bb.30:                               ;   in Loop: Header=BB381_8 Depth=1
	s_andn2_saveexec_b64 s[4:5], s[4:5]
; %bb.31:                               ;   in Loop: Header=BB381_8 Depth=1
	v_or_b32_e32 v1, 0x10000, v0
	v_cmp_eq_u32_sdwa vcc, v0, v49 src0_sel:WORD_0 src1_sel:DWORD
	s_nop 1
	v_cndmask_b32_e32 v15, v1, v0, vcc
; %bb.32:                               ;   in Loop: Header=BB381_8 Depth=1
	s_or_b64 exec, exec, s[4:5]
	v_mov_b32_e32 v47, v49
	v_lshl_add_u64 v[0:1], v[46:47], 1, s[20:21]
	v_cmp_gt_u32_e32 vcc, s11, v58
	global_store_short_d16_hi v[0:1], v15, off
	s_and_saveexec_b64 s[26:27], vcc
	s_cbranch_execz .LBB381_38
; %bb.33:                               ;   in Loop: Header=BB381_8 Depth=1
	s_waitcnt lgkmcnt(4)
	v_add_f32_e32 v12, v12, v13
	v_mul_f32_e32 v13, s30, v12
	s_waitcnt vmcnt(5)
	v_lshlrev_b32_e32 v12, 16, v18
	v_fmac_f32_e32 v12, s31, v13
	v_and_b32_e32 v13, 0x7f800000, v12
	v_cmp_ne_u32_e64 s[4:5], s38, v13
                                        ; implicit-def: $vgpr13
	s_and_saveexec_b64 s[28:29], s[4:5]
	s_xor_b64 s[4:5], exec, s[28:29]
; %bb.34:                               ;   in Loop: Header=BB381_8 Depth=1
	v_bfe_u32 v13, v12, 16, 1
	v_add3_u32 v13, v12, v13, s39
                                        ; implicit-def: $vgpr12
; %bb.35:                               ;   in Loop: Header=BB381_8 Depth=1
	s_andn2_saveexec_b64 s[28:29], s[4:5]
; %bb.36:                               ;   in Loop: Header=BB381_8 Depth=1
	v_or_b32_e32 v13, 0x10000, v12
	v_cmp_eq_u32_sdwa s[4:5], v12, v49 src0_sel:WORD_0 src1_sel:DWORD
	s_nop 1
	v_cndmask_b32_e64 v13, v13, v12, s[4:5]
; %bb.37:                               ;   in Loop: Header=BB381_8 Depth=1
	s_or_b64 exec, exec, s[28:29]
	global_store_short_d16_hi v[0:1], v13, off offset:2
.LBB381_38:                             ;   in Loop: Header=BB381_8 Depth=1
	s_or_b64 exec, exec, s[26:27]
	s_waitcnt lgkmcnt(3)
	v_add_f32_e32 v0, v9, v10
	v_mul_f32_e32 v1, s30, v0
	s_waitcnt vmcnt(4)
	v_lshlrev_b32_e32 v0, 16, v17
	v_fmac_f32_e32 v0, s31, v1
	v_and_b32_e32 v1, 0x7f800000, v0
	v_cmp_ne_u32_e64 s[4:5], s38, v1
                                        ; implicit-def: $vgpr1
	s_and_saveexec_b64 s[26:27], s[4:5]
	s_xor_b64 s[4:5], exec, s[26:27]
; %bb.39:                               ;   in Loop: Header=BB381_8 Depth=1
	v_bfe_u32 v1, v0, 16, 1
	v_add3_u32 v1, v0, v1, s39
                                        ; implicit-def: $vgpr0
; %bb.40:                               ;   in Loop: Header=BB381_8 Depth=1
	s_andn2_saveexec_b64 s[26:27], s[4:5]
; %bb.41:                               ;   in Loop: Header=BB381_8 Depth=1
	v_or_b32_e32 v1, 0x10000, v0
	v_cmp_eq_u32_sdwa s[4:5], v0, v49 src0_sel:WORD_0 src1_sel:DWORD
	s_nop 1
	v_cndmask_b32_e64 v1, v1, v0, s[4:5]
; %bb.42:                               ;   in Loop: Header=BB381_8 Depth=1
	s_or_b64 exec, exec, s[26:27]
	v_add_u32_e32 v48, s11, v46
	v_lshl_add_u64 v[12:13], v[48:49], 1, s[20:21]
	global_store_short_d16_hi v[12:13], v1, off
	s_and_saveexec_b64 s[26:27], vcc
	s_cbranch_execz .LBB381_48
; %bb.43:                               ;   in Loop: Header=BB381_8 Depth=1
	s_waitcnt lgkmcnt(2)
	v_add_f32_e32 v0, v7, v8
	v_mul_f32_e32 v0, s30, v0
	s_waitcnt vmcnt(4)
	v_lshlrev_b32_e32 v1, 16, v14
	v_fmac_f32_e32 v1, s31, v0
	v_and_b32_e32 v0, 0x7f800000, v1
	v_cmp_ne_u32_e64 s[4:5], s38, v0
                                        ; implicit-def: $vgpr0
	s_and_saveexec_b64 s[28:29], s[4:5]
	s_xor_b64 s[4:5], exec, s[28:29]
; %bb.44:                               ;   in Loop: Header=BB381_8 Depth=1
	v_bfe_u32 v0, v1, 16, 1
	v_add3_u32 v0, v1, v0, s39
                                        ; implicit-def: $vgpr1
; %bb.45:                               ;   in Loop: Header=BB381_8 Depth=1
	s_andn2_saveexec_b64 s[28:29], s[4:5]
; %bb.46:                               ;   in Loop: Header=BB381_8 Depth=1
	v_or_b32_e32 v0, 0x10000, v1
	v_cmp_eq_u32_sdwa s[4:5], v1, v49 src0_sel:WORD_0 src1_sel:DWORD
	s_nop 1
	v_cndmask_b32_e64 v0, v0, v1, s[4:5]
; %bb.47:                               ;   in Loop: Header=BB381_8 Depth=1
	s_or_b64 exec, exec, s[28:29]
	v_add_u32_e32 v8, s11, v58
	v_mov_b32_e32 v9, v49
	v_lshl_add_u64 v[8:9], v[8:9], 1, s[20:21]
	global_store_short_d16_hi v[8:9], v0, off
.LBB381_48:                             ;   in Loop: Header=BB381_8 Depth=1
	s_or_b64 exec, exec, s[26:27]
	s_waitcnt lgkmcnt(1)
	v_add_f32_e32 v0, v4, v5
	v_mul_f32_e32 v1, s30, v0
	s_waitcnt vmcnt(3)
	v_lshlrev_b32_e32 v0, 16, v11
	v_fmac_f32_e32 v0, s31, v1
	v_and_b32_e32 v1, 0x7f800000, v0
	v_cmp_ne_u32_e64 s[4:5], s38, v1
                                        ; implicit-def: $vgpr1
	s_and_saveexec_b64 s[26:27], s[4:5]
	s_xor_b64 s[4:5], exec, s[26:27]
; %bb.49:                               ;   in Loop: Header=BB381_8 Depth=1
	v_bfe_u32 v1, v0, 16, 1
	v_add3_u32 v1, v0, v1, s39
                                        ; implicit-def: $vgpr0
; %bb.50:                               ;   in Loop: Header=BB381_8 Depth=1
	s_andn2_saveexec_b64 s[26:27], s[4:5]
; %bb.51:                               ;   in Loop: Header=BB381_8 Depth=1
	v_or_b32_e32 v1, 0x10000, v0
	v_cmp_eq_u32_sdwa s[4:5], v0, v49 src0_sel:WORD_0 src1_sel:DWORD
	s_nop 1
	v_cndmask_b32_e64 v1, v1, v0, s[4:5]
; %bb.52:                               ;   in Loop: Header=BB381_8 Depth=1
	s_or_b64 exec, exec, s[26:27]
	v_add_u32_e32 v48, s11, v48
	v_lshl_add_u64 v[4:5], v[48:49], 1, s[20:21]
	global_store_short_d16_hi v[4:5], v1, off
	s_and_b64 exec, exec, vcc
	s_cbranch_execz .LBB381_7
; %bb.53:                               ;   in Loop: Header=BB381_8 Depth=1
	s_waitcnt lgkmcnt(0)
	v_add_f32_e32 v0, v2, v3
	v_mul_f32_e32 v0, s30, v0
	s_waitcnt vmcnt(3)
	v_lshlrev_b32_e32 v1, 16, v6
	v_fmac_f32_e32 v1, s31, v0
	v_and_b32_e32 v0, 0x7f800000, v1
	v_cmp_ne_u32_e32 vcc, s38, v0
                                        ; implicit-def: $vgpr0
	s_and_saveexec_b64 s[4:5], vcc
	s_xor_b64 s[4:5], exec, s[4:5]
; %bb.54:                               ;   in Loop: Header=BB381_8 Depth=1
	v_bfe_u32 v0, v1, 16, 1
	v_add3_u32 v0, v1, v0, s39
                                        ; implicit-def: $vgpr1
; %bb.55:                               ;   in Loop: Header=BB381_8 Depth=1
	s_andn2_saveexec_b64 s[4:5], s[4:5]
	s_cbranch_execz .LBB381_6
; %bb.56:                               ;   in Loop: Header=BB381_8 Depth=1
	v_or_b32_e32 v0, 0x10000, v1
	v_cmp_eq_u32_sdwa vcc, v1, v49 src0_sel:WORD_0 src1_sel:DWORD
	s_nop 1
	v_cndmask_b32_e32 v0, v0, v1, vcc
	s_branch .LBB381_6
.LBB381_57:
	s_endpgm
	.section	.rodata,"a",@progbits
	.p2align	6, 0x0
	.amdhsa_kernel _Z13wvSplitKQ_hf_I14__hip_bfloat16N3c1013Float8_e4m3fnELi64ELi2ELi16ELi16ELi1ELi3EEviiiiiiPKT0_S5_PKT_PS6_PKfSB_ii
		.amdhsa_group_segment_fixed_size 65536
		.amdhsa_private_segment_fixed_size 0
		.amdhsa_kernarg_size 80
		.amdhsa_user_sgpr_count 2
		.amdhsa_user_sgpr_dispatch_ptr 0
		.amdhsa_user_sgpr_queue_ptr 0
		.amdhsa_user_sgpr_kernarg_segment_ptr 1
		.amdhsa_user_sgpr_dispatch_id 0
		.amdhsa_user_sgpr_kernarg_preload_length 0
		.amdhsa_user_sgpr_kernarg_preload_offset 0
		.amdhsa_user_sgpr_private_segment_size 0
		.amdhsa_uses_dynamic_stack 0
		.amdhsa_enable_private_segment 0
		.amdhsa_system_sgpr_workgroup_id_x 1
		.amdhsa_system_sgpr_workgroup_id_y 0
		.amdhsa_system_sgpr_workgroup_id_z 0
		.amdhsa_system_sgpr_workgroup_info 0
		.amdhsa_system_vgpr_workitem_id 1
		.amdhsa_next_free_vgpr 59
		.amdhsa_next_free_sgpr 40
		.amdhsa_accum_offset 60
		.amdhsa_reserve_vcc 1
		.amdhsa_float_round_mode_32 0
		.amdhsa_float_round_mode_16_64 0
		.amdhsa_float_denorm_mode_32 3
		.amdhsa_float_denorm_mode_16_64 3
		.amdhsa_dx10_clamp 1
		.amdhsa_ieee_mode 1
		.amdhsa_fp16_overflow 0
		.amdhsa_tg_split 0
		.amdhsa_exception_fp_ieee_invalid_op 0
		.amdhsa_exception_fp_denorm_src 0
		.amdhsa_exception_fp_ieee_div_zero 0
		.amdhsa_exception_fp_ieee_overflow 0
		.amdhsa_exception_fp_ieee_underflow 0
		.amdhsa_exception_fp_ieee_inexact 0
		.amdhsa_exception_int_div_zero 0
	.end_amdhsa_kernel
	.section	.text._Z13wvSplitKQ_hf_I14__hip_bfloat16N3c1013Float8_e4m3fnELi64ELi2ELi16ELi16ELi1ELi3EEviiiiiiPKT0_S5_PKT_PS6_PKfSB_ii,"axG",@progbits,_Z13wvSplitKQ_hf_I14__hip_bfloat16N3c1013Float8_e4m3fnELi64ELi2ELi16ELi16ELi1ELi3EEviiiiiiPKT0_S5_PKT_PS6_PKfSB_ii,comdat
.Lfunc_end381:
	.size	_Z13wvSplitKQ_hf_I14__hip_bfloat16N3c1013Float8_e4m3fnELi64ELi2ELi16ELi16ELi1ELi3EEviiiiiiPKT0_S5_PKT_PS6_PKfSB_ii, .Lfunc_end381-_Z13wvSplitKQ_hf_I14__hip_bfloat16N3c1013Float8_e4m3fnELi64ELi2ELi16ELi16ELi1ELi3EEviiiiiiPKT0_S5_PKT_PS6_PKfSB_ii
                                        ; -- End function
	.section	.AMDGPU.csdata,"",@progbits
; Kernel info:
; codeLenInByte = 2660
; NumSgprs: 46
; NumVgprs: 59
; NumAgprs: 0
; TotalNumVgprs: 59
; ScratchSize: 0
; MemoryBound: 1
; FloatMode: 240
; IeeeMode: 1
; LDSByteSize: 65536 bytes/workgroup (compile time only)
; SGPRBlocks: 5
; VGPRBlocks: 7
; NumSGPRsForWavesPerEU: 46
; NumVGPRsForWavesPerEU: 59
; AccumOffset: 60
; Occupancy: 4
; WaveLimiterHint : 0
; COMPUTE_PGM_RSRC2:SCRATCH_EN: 0
; COMPUTE_PGM_RSRC2:USER_SGPR: 2
; COMPUTE_PGM_RSRC2:TRAP_HANDLER: 0
; COMPUTE_PGM_RSRC2:TGID_X_EN: 1
; COMPUTE_PGM_RSRC2:TGID_Y_EN: 0
; COMPUTE_PGM_RSRC2:TGID_Z_EN: 0
; COMPUTE_PGM_RSRC2:TIDIG_COMP_CNT: 1
; COMPUTE_PGM_RSRC3_GFX90A:ACCUM_OFFSET: 14
; COMPUTE_PGM_RSRC3_GFX90A:TG_SPLIT: 0
	.section	.text._Z17wvSplitKQ_hf_sml_I14__hip_bfloat16N3c1013Float8_e4m3fnELi32ELi2ELi16ELi16ELi1ELi4EEviiiiiiPKT0_S5_PKT_PS6_PKfSB_ii,"axG",@progbits,_Z17wvSplitKQ_hf_sml_I14__hip_bfloat16N3c1013Float8_e4m3fnELi32ELi2ELi16ELi16ELi1ELi4EEviiiiiiPKT0_S5_PKT_PS6_PKfSB_ii,comdat
	.protected	_Z17wvSplitKQ_hf_sml_I14__hip_bfloat16N3c1013Float8_e4m3fnELi32ELi2ELi16ELi16ELi1ELi4EEviiiiiiPKT0_S5_PKT_PS6_PKfSB_ii ; -- Begin function _Z17wvSplitKQ_hf_sml_I14__hip_bfloat16N3c1013Float8_e4m3fnELi32ELi2ELi16ELi16ELi1ELi4EEviiiiiiPKT0_S5_PKT_PS6_PKfSB_ii
	.globl	_Z17wvSplitKQ_hf_sml_I14__hip_bfloat16N3c1013Float8_e4m3fnELi32ELi2ELi16ELi16ELi1ELi4EEviiiiiiPKT0_S5_PKT_PS6_PKfSB_ii
	.p2align	8
	.type	_Z17wvSplitKQ_hf_sml_I14__hip_bfloat16N3c1013Float8_e4m3fnELi32ELi2ELi16ELi16ELi1ELi4EEviiiiiiPKT0_S5_PKT_PS6_PKfSB_ii,@function
_Z17wvSplitKQ_hf_sml_I14__hip_bfloat16N3c1013Float8_e4m3fnELi32ELi2ELi16ELi16ELi1ELi4EEviiiiiiPKT0_S5_PKT_PS6_PKfSB_ii: ; @_Z17wvSplitKQ_hf_sml_I14__hip_bfloat16N3c1013Float8_e4m3fnELi32ELi2ELi16ELi16ELi1ELi4EEviiiiiiPKT0_S5_PKT_PS6_PKfSB_ii
; %bb.0:
	s_load_dwordx4 s[16:19], s[0:1], 0x0
	v_and_b32_e32 v4, 0x3ff, v0
	v_bfe_u32 v5, v0, 10, 10
	v_lshlrev_b32_e32 v56, 4, v4
	v_lshl_add_u32 v0, v5, 9, v56
	s_waitcnt lgkmcnt(0)
	s_lshl_b32 s3, s17, 2
	s_min_u32 s3, s3, 0x10000
	v_cmp_gt_u32_e32 vcc, s3, v0
	s_and_saveexec_b64 s[4:5], vcc
	s_cbranch_execz .LBB382_9
; %bb.1:
	s_load_dwordx2 s[6:7], s[0:1], 0x20
	v_add_u32_e32 v1, 0x2000, v0
	v_cmp_gt_u32_e32 vcc, s3, v1
	s_waitcnt lgkmcnt(0)
	global_load_dwordx4 v[6:9], v0, s[6:7]
	s_waitcnt vmcnt(0)
	ds_write_b128 v0, v[6:9]
	s_and_saveexec_b64 s[8:9], vcc
	s_xor_b64 s[8:9], exec, s[8:9]
	s_cbranch_execz .LBB382_9
; %bb.2:
	v_mov_b32_e32 v1, 0
	v_lshl_add_u64 v[2:3], s[6:7], 0, v[0:1]
	v_add_co_u32_e32 v6, vcc, 0x2000, v2
	v_add_u32_e32 v1, 0x4000, v0
	s_nop 0
	v_addc_co_u32_e32 v7, vcc, 0, v3, vcc
	global_load_dwordx4 v[6:9], v[6:7], off
	v_cmp_gt_u32_e32 vcc, s3, v1
	s_waitcnt vmcnt(0)
	ds_write_b128 v0, v[6:9] offset:8192
	s_and_saveexec_b64 s[6:7], vcc
	s_xor_b64 s[6:7], exec, s[6:7]
	s_cbranch_execz .LBB382_9
; %bb.3:
	v_add_co_u32_e32 v6, vcc, 0x4000, v2
	v_add_u32_e32 v1, 0x6000, v0
	s_nop 0
	v_addc_co_u32_e32 v7, vcc, 0, v3, vcc
	global_load_dwordx4 v[6:9], v[6:7], off
	v_cmp_gt_u32_e32 vcc, s3, v1
	s_waitcnt vmcnt(0)
	ds_write_b128 v0, v[6:9] offset:16384
	s_and_saveexec_b64 s[6:7], vcc
	s_xor_b64 s[6:7], exec, s[6:7]
	s_cbranch_execz .LBB382_9
; %bb.4:
	v_add_co_u32_e32 v6, vcc, 0x6000, v2
	v_add_u32_e32 v1, 0x8000, v0
	s_nop 0
	v_addc_co_u32_e32 v7, vcc, 0, v3, vcc
	global_load_dwordx4 v[6:9], v[6:7], off
	v_cmp_gt_u32_e32 vcc, s3, v1
	s_waitcnt vmcnt(0)
	ds_write_b128 v0, v[6:9] offset:24576
	s_and_saveexec_b64 s[6:7], vcc
	s_xor_b64 s[6:7], exec, s[6:7]
	s_cbranch_execz .LBB382_9
; %bb.5:
	v_add_co_u32_e32 v6, vcc, 0x8000, v2
	v_add_u32_e32 v1, 0xa000, v0
	s_nop 0
	v_addc_co_u32_e32 v7, vcc, 0, v3, vcc
	global_load_dwordx4 v[6:9], v[6:7], off
	v_cmp_gt_u32_e32 vcc, s3, v1
	s_waitcnt vmcnt(0)
	ds_write_b128 v0, v[6:9] offset:32768
	s_and_saveexec_b64 s[6:7], vcc
	s_xor_b64 s[6:7], exec, s[6:7]
	s_cbranch_execz .LBB382_9
; %bb.6:
	v_add_co_u32_e32 v6, vcc, 0xa000, v2
	v_add_u32_e32 v1, 0xc000, v0
	s_nop 0
	v_addc_co_u32_e32 v7, vcc, 0, v3, vcc
	global_load_dwordx4 v[6:9], v[6:7], off
	v_cmp_gt_u32_e32 vcc, s3, v1
	s_waitcnt vmcnt(0)
	ds_write_b128 v0, v[6:9] offset:40960
	s_and_saveexec_b64 s[6:7], vcc
	s_xor_b64 s[6:7], exec, s[6:7]
	s_cbranch_execz .LBB382_9
; %bb.7:
	v_add_co_u32_e32 v6, vcc, 0xc000, v2
	v_add_u32_e32 v1, 0xe000, v0
	s_nop 0
	v_addc_co_u32_e32 v7, vcc, 0, v3, vcc
	global_load_dwordx4 v[6:9], v[6:7], off
	v_cmp_gt_u32_e32 vcc, s3, v1
	s_waitcnt vmcnt(0)
	ds_write_b128 v0, v[6:9] offset:49152
	s_and_saveexec_b64 s[6:7], vcc
	s_xor_b64 s[6:7], exec, s[6:7]
	s_cbranch_execz .LBB382_9
; %bb.8:
	v_add_co_u32_e32 v2, vcc, 0xe000, v2
	s_nop 1
	v_addc_co_u32_e32 v3, vcc, 0, v3, vcc
	global_load_dwordx4 v[6:9], v[2:3], off
	s_waitcnt vmcnt(0)
	ds_write_b128 v0, v[6:9] offset:57344
.LBB382_9:
	s_or_b64 exec, exec, s[4:5]
	s_load_dwordx2 s[4:5], s[0:1], 0x48
	;;#ASMSTART
	s_waitcnt vmcnt(0)
	;;#ASMEND
	s_waitcnt lgkmcnt(0)
	s_barrier
	v_cmp_gt_u32_e32 vcc, s4, v5
	s_and_saveexec_b64 s[6:7], vcc
	s_cbranch_execz .LBB382_61
; %bb.10:
	s_load_dwordx2 s[20:21], s[0:1], 0x10
	s_mul_i32 s2, s2, s4
	v_add_lshl_u32 v58, s2, v5, 1
	v_cmp_gt_u32_e32 vcc, s19, v58
	s_and_b64 exec, exec, vcc
	s_cbranch_execz .LBB382_61
; %bb.11:
	s_load_dwordx8 s[8:15], s[0:1], 0x28
	s_load_dwordx2 s[22:23], s[0:1], 0x18
	v_mbcnt_lo_u32_b32 v0, -1, 0
	v_mbcnt_hi_u32_b32 v0, -1, v0
	s_cmp_lg_u32 s16, 0
	v_and_b32_e32 v1, 63, v0
	s_cselect_b64 s[2:3], -1, 0
	s_add_i32 s30, s16, -16
	s_add_i32 s31, s19, -1
	v_cmp_lt_u32_e32 vcc, 43, v1
	s_mul_i32 s6, s4, s5
	s_waitcnt lgkmcnt(0)
	s_cmp_lg_u64 s[8:9], 0
	v_cndmask_b32_e64 v2, 20, 0, vcc
	v_cmp_lt_u32_e32 vcc, 23, v1
	s_cselect_b64 s[4:5], -1, 0
	s_lshl_b32 s33, s6, 1
	v_cndmask_b32_e64 v1, 40, 0, vcc
	s_abs_i32 s6, s21
	v_add_lshl_u32 v57, v2, v0, 2
	v_add_lshl_u32 v68, v1, v0, 2
	v_cvt_f32_u32_e32 v0, s20
	v_cvt_f32_u32_e32 v1, s6
	s_sub_i32 s7, 0, s20
	s_load_dword s28, s[12:13], 0x0
	s_load_dword s29, s[14:15], 0x0
	v_rcp_iflag_f32_e32 v0, v0
	v_rcp_iflag_f32_e32 v1, v1
	s_lshl_b32 s34, s19, 1
	v_cmp_eq_u32_e64 s[0:1], 0, v4
	v_mul_f32_e32 v0, 0x4f7ffffe, v0
	v_mul_f32_e32 v1, 0x4f7ffffe, v1
	v_cvt_u32_f32_e32 v0, v0
	v_cvt_u32_f32_e32 v1, v1
	s_mov_b64 s[12:13], 0
	s_mul_i32 s21, s19, 3
	v_mul_lo_u32 v2, s7, v0
	s_sub_i32 s7, 0, s6
	v_readfirstlane_b32 s14, v1
	s_mul_i32 s7, s7, s14
	s_mul_hi_u32 s7, s14, s7
	s_add_i32 s14, s14, s7
	s_sub_i32 s7, 1, s6
	s_cmp_lt_u32 s6, 2
	s_cselect_b32 s7, s7, 1
	s_sub_i32 s15, s7, s6
	s_cmp_ge_u32 s7, s6
	s_cselect_b32 s35, s15, s7
	s_lshr_b32 s7, s14, 31
	s_mul_i32 s7, s7, s6
	s_sub_i32 s7, 2, s7
	s_sub_i32 s15, s7, s6
	s_cmp_ge_u32 s7, s6
	s_cselect_b32 s7, s15, s7
	s_sub_i32 s15, s7, s6
	s_cmp_ge_u32 s7, s6
	s_cselect_b32 s36, s15, s7
	s_mul_hi_u32 s7, s14, 3
	s_mul_i32 s7, s7, s6
	s_sub_i32 s7, 3, s7
	s_sub_i32 s14, s7, s6
	s_cmp_ge_u32 s7, s6
	s_cselect_b32 s7, s14, s7
	v_mul_hi_u32 v2, v0, v2
	s_sub_i32 s14, s7, s6
	v_add_u32_e32 v69, v0, v2
	s_cmp_ge_u32 s7, s6
	v_cndmask_b32_e64 v0, 0, 1, s[2:3]
	s_cselect_b32 s37, s14, s7
	v_mad_u64_u32 v[62:63], s[6:7], s17, 3, v[56:57]
	v_cmp_ne_u32_e64 s[2:3], 1, v0
	v_cndmask_b32_e64 v0, 0, 1, s[4:5]
	v_mov_b32_e32 v61, 0
	s_mul_i32 s35, s35, s20
	s_mul_i32 s36, s36, s20
	;; [unrolled: 1-line block ×3, first 2 shown]
	v_lshl_add_u32 v63, s17, 1, v56
	v_add_u32_e32 v70, s17, v56
	s_mov_b32 s17, 0x7f800000
	s_movk_i32 s38, 0x7fff
	v_cmp_ne_u32_e64 s[4:5], 1, v0
	s_branch .LBB382_14
.LBB382_12:                             ;   in Loop: Header=BB382_14 Depth=1
	s_or_b64 exec, exec, s[6:7]
	v_add_u32_e32 v60, s21, v71
	v_lshl_add_u64 v[2:3], v[60:61], 1, s[10:11]
	global_store_short_d16_hi v[2:3], v0, off
.LBB382_13:                             ;   in Loop: Header=BB382_14 Depth=1
	s_or_b64 exec, exec, s[14:15]
	v_add_u32_e32 v58, s33, v58
	v_cmp_le_u32_e32 vcc, s19, v58
	s_or_b64 s[12:13], vcc, s[12:13]
	s_andn2_b64 exec, exec, s[12:13]
	s_cbranch_execz .LBB382_61
.LBB382_14:                             ; =>This Loop Header: Depth=1
                                        ;     Child Loop BB382_17 Depth 2
	s_and_b64 vcc, exec, s[2:3]
	v_or_b32_e32 v71, 1, v58
	v_mov_b32_e32 v31, v61
	v_mov_b32_e32 v30, v61
	;; [unrolled: 1-line block ×9, first 2 shown]
	s_waitcnt lgkmcnt(0)
	v_mov_b32_e32 v22, v61
	v_mov_b32_e32 v21, v61
	;; [unrolled: 1-line block ×20, first 2 shown]
	s_waitcnt vmcnt(4)
	v_mov_b32_e32 v6, v61
	v_mov_b32_e32 v5, v61
	;; [unrolled: 1-line block ×3, first 2 shown]
	s_cbranch_vccnz .LBB382_19
; %bb.15:                               ;   in Loop: Header=BB382_14 Depth=1
	v_min_u32_e32 v0, s31, v58
	v_mul_lo_u32 v64, v0, s18
	v_min_u32_e32 v0, s31, v71
	v_mov_b32_e32 v4, 0
	v_mov_b32_e32 v65, v61
	v_mul_lo_u32 v66, v0, s18
	v_mov_b32_e32 v67, v61
	s_mov_b32 s14, 0
	v_mov_b32_e32 v5, v4
	v_mov_b32_e32 v6, v4
	v_mov_b32_e32 v7, v4
	v_mov_b32_e32 v0, v4
	v_mov_b32_e32 v1, v4
	v_mov_b32_e32 v2, v4
	v_mov_b32_e32 v3, v4
	v_mov_b32_e32 v8, v4
	v_mov_b32_e32 v9, v4
	v_mov_b32_e32 v10, v4
	v_mov_b32_e32 v11, v4
	v_mov_b32_e32 v12, v4
	v_mov_b32_e32 v13, v4
	v_mov_b32_e32 v14, v4
	v_mov_b32_e32 v15, v4
	v_mov_b32_e32 v16, v4
	v_mov_b32_e32 v17, v4
	v_mov_b32_e32 v18, v4
	v_mov_b32_e32 v19, v4
	v_mov_b32_e32 v20, v4
	v_mov_b32_e32 v21, v4
	v_mov_b32_e32 v22, v4
	v_mov_b32_e32 v23, v4
	v_mov_b32_e32 v24, v4
	v_mov_b32_e32 v25, v4
	v_mov_b32_e32 v26, v4
	v_mov_b32_e32 v27, v4
	v_mov_b32_e32 v28, v4
	v_mov_b32_e32 v29, v4
	v_mov_b32_e32 v30, v4
	v_mov_b32_e32 v31, v4
	s_branch .LBB382_17
.LBB382_16:                             ;   in Loop: Header=BB382_17 Depth=2
	s_or_b64 exec, exec, s[6:7]
	s_waitcnt vmcnt(1) lgkmcnt(0)
	v_mfma_f32_16x16x32_fp8_fp8 v[28:31], v[44:45], v[36:37], v[28:31]
	s_addk_i32 s14, 0x200
	s_cmp_ge_u32 s14, s16
	s_waitcnt vmcnt(0)
	v_mfma_f32_16x16x32_fp8_fp8 v[24:27], v[44:45], v[32:33], v[24:27]
	v_mfma_f32_16x16x32_fp8_fp8 v[20:23], v[48:49], v[36:37], v[20:23]
	v_mfma_f32_16x16x32_fp8_fp8 v[16:19], v[48:49], v[32:33], v[16:19]
	v_mfma_f32_16x16x32_fp8_fp8 v[12:15], v[52:53], v[36:37], v[12:15]
	v_mfma_f32_16x16x32_fp8_fp8 v[8:11], v[52:53], v[32:33], v[8:11]
	v_mfma_f32_16x16x32_fp8_fp8 v[0:3], v[40:41], v[36:37], v[0:3]
	v_mfma_f32_16x16x32_fp8_fp8 v[4:7], v[40:41], v[32:33], v[4:7]
	v_mfma_f32_16x16x32_fp8_fp8 v[28:31], v[46:47], v[38:39], v[28:31]
	v_mfma_f32_16x16x32_fp8_fp8 v[24:27], v[46:47], v[34:35], v[24:27]
	v_mfma_f32_16x16x32_fp8_fp8 v[20:23], v[50:51], v[38:39], v[20:23]
	v_mfma_f32_16x16x32_fp8_fp8 v[16:19], v[50:51], v[34:35], v[16:19]
	v_mfma_f32_16x16x32_fp8_fp8 v[12:15], v[54:55], v[38:39], v[12:15]
	v_mfma_f32_16x16x32_fp8_fp8 v[8:11], v[54:55], v[34:35], v[8:11]
	v_mfma_f32_16x16x32_fp8_fp8 v[0:3], v[42:43], v[38:39], v[0:3]
	v_mfma_f32_16x16x32_fp8_fp8 v[4:7], v[42:43], v[34:35], v[4:7]
	s_cbranch_scc1 .LBB382_19
.LBB382_17:                             ;   Parent Loop BB382_14 Depth=1
                                        ; =>  This Inner Loop Header: Depth=2
	v_add_u32_e32 v59, s14, v56
	v_min_u32_e32 v60, s30, v59
	v_lshl_add_u64 v[32:33], s[22:23], 0, v[60:61]
	v_lshl_add_u64 v[40:41], v[32:33], 0, v[64:65]
	v_lshl_add_u64 v[42:43], v[32:33], 0, v[66:67]
	global_load_dwordx4 v[36:39], v[40:41], off nt
	global_load_dwordx4 v[32:35], v[42:43], off nt
	v_mov_b64_e32 v[44:45], 0
	v_cmp_gt_u32_e32 vcc, s16, v59
	v_mov_b64_e32 v[46:47], v[44:45]
	v_mov_b64_e32 v[48:49], v[44:45]
	;; [unrolled: 1-line block ×7, first 2 shown]
	s_and_saveexec_b64 s[6:7], vcc
	s_cbranch_execz .LBB382_16
; %bb.18:                               ;   in Loop: Header=BB382_17 Depth=2
	v_add_u32_e32 v40, s14, v70
	ds_read_b128 v[44:47], v59
	ds_read_b128 v[48:51], v40
	v_add_u32_e32 v40, s14, v63
	v_add_u32_e32 v41, s14, v62
	ds_read_b128 v[52:55], v40
	ds_read_b128 v[40:43], v41
	s_branch .LBB382_16
.LBB382_19:                             ;   in Loop: Header=BB382_14 Depth=1
	v_cvt_i32_f32_e32 v29, v29
	v_cvt_i32_f32_e32 v30, v30
	;; [unrolled: 1-line block ×4, first 2 shown]
	v_cvt_f32_i32_dpp v29, v29 row_shl:1 row_mask:0xf bank_mask:0xf bound_ctrl:1
	v_cvt_f32_i32_dpp v30, v30 row_shl:2 row_mask:0xf bank_mask:0xf bound_ctrl:1
	v_cvt_i32_f32_e32 v26, v26
	v_cvt_i32_f32_e32 v27, v27
	v_cvt_f32_i32_dpp v31, v31 row_shl:3 row_mask:0xf bank_mask:0xf bound_ctrl:1
	v_add_f32_e32 v28, v28, v29
	v_add_f32_e32 v28, v28, v30
	v_cvt_f32_i32_dpp v30, v25 row_shl:1 row_mask:0xf bank_mask:0xf bound_ctrl:1
	v_cvt_f32_i32_dpp v26, v26 row_shl:2 row_mask:0xf bank_mask:0xf bound_ctrl:1
	v_cvt_f32_i32_dpp v27, v27 row_shl:3 row_mask:0xf bank_mask:0xf bound_ctrl:1
	v_add_f32_e32 v28, v28, v31
	ds_bpermute_b32 v29, v57, v28
	v_add_f32_e32 v24, v24, v30
	v_add_f32_e32 v24, v24, v26
	v_cvt_i32_f32_e32 v21, v21
	v_add_f32_e32 v24, v24, v27
	v_cvt_i32_f32_e32 v27, v22
	v_cvt_i32_f32_e32 v23, v23
	s_waitcnt lgkmcnt(0)
	v_add_f32_e32 v25, v28, v29
	v_cvt_f32_i32_dpp v28, v21 row_shl:1 row_mask:0xf bank_mask:0xf bound_ctrl:1
	v_cvt_f32_i32_dpp v27, v27 row_shl:2 row_mask:0xf bank_mask:0xf bound_ctrl:1
	;; [unrolled: 1-line block ×3, first 2 shown]
	ds_bpermute_b32 v26, v57, v24
	v_add_f32_e32 v20, v20, v28
	v_add_f32_e32 v20, v20, v27
	v_cvt_i32_f32_e32 v17, v17
	v_cvt_i32_f32_e32 v13, v13
	v_add_f32_e32 v20, v20, v23
	v_cvt_i32_f32_e32 v23, v18
	v_cvt_i32_f32_e32 v14, v14
	;; [unrolled: 1-line block ×4, first 2 shown]
	s_waitcnt lgkmcnt(0)
	v_add_f32_e32 v21, v24, v26
	v_cvt_f32_i32_dpp v26, v17 row_shl:1 row_mask:0xf bank_mask:0xf bound_ctrl:1
	v_cvt_f32_i32_dpp v13, v13 row_shl:1 row_mask:0xf bank_mask:0xf bound_ctrl:1
	;; [unrolled: 1-line block ×4, first 2 shown]
	ds_bpermute_b32 v24, v57, v20
	v_cvt_f32_i32_dpp v19, v19 row_shl:3 row_mask:0xf bank_mask:0xf bound_ctrl:1
	v_cvt_f32_i32_dpp v15, v15 row_shl:3 row_mask:0xf bank_mask:0xf bound_ctrl:1
	v_cvt_i32_f32_e32 v1, v1
	v_cvt_i32_f32_e32 v2, v2
	v_add_f32_e32 v16, v16, v26
	v_add_f32_e32 v12, v12, v13
	;; [unrolled: 1-line block ×6, first 2 shown]
	v_cvt_f32_i32_dpp v1, v1 row_shl:1 row_mask:0xf bank_mask:0xf bound_ctrl:1
	s_waitcnt lgkmcnt(0)
	v_add_f32_e32 v17, v20, v24
	ds_bpermute_b32 v19, v57, v16
	ds_bpermute_b32 v20, v57, v14
	v_cvt_f32_i32_dpp v2, v2 row_shl:2 row_mask:0xf bank_mask:0xf bound_ctrl:1
	v_cvt_i32_f32_e32 v3, v3
	v_cvt_i32_f32_e32 v23, v9
	v_add_f32_e32 v0, v0, v1
	v_add_f32_e32 v0, v0, v2
	v_cvt_f32_i32_dpp v1, v3 row_shl:3 row_mask:0xf bank_mask:0xf bound_ctrl:1
	v_cvt_i32_f32_e32 v2, v5
	s_waitcnt lgkmcnt(1)
	v_add_f32_e32 v12, v16, v19
	s_waitcnt lgkmcnt(0)
	v_add_f32_e32 v9, v14, v20
	v_cvt_f32_i32_dpp v14, v23 row_shl:1 row_mask:0xf bank_mask:0xf bound_ctrl:1
	v_cvt_i32_f32_e32 v16, v10
	v_cvt_i32_f32_e32 v3, v6
	;; [unrolled: 1-line block ×4, first 2 shown]
	v_add_f32_e32 v0, v0, v1
	v_cvt_f32_i32_dpp v1, v2 row_shl:1 row_mask:0xf bank_mask:0xf bound_ctrl:1
	v_add_f32_e32 v8, v8, v14
	v_cvt_f32_i32_dpp v14, v16 row_shl:2 row_mask:0xf bank_mask:0xf bound_ctrl:1
	v_cvt_f32_i32_dpp v2, v3 row_shl:2 row_mask:0xf bank_mask:0xf bound_ctrl:1
	;; [unrolled: 1-line block ×4, first 2 shown]
	v_add_f32_e32 v1, v4, v1
	v_add_f32_e32 v8, v8, v14
	;; [unrolled: 1-line block ×5, first 2 shown]
	ds_bpermute_b32 v11, v57, v8
	ds_bpermute_b32 v5, v57, v0
	;; [unrolled: 1-line block ×5, first 2 shown]
	s_waitcnt lgkmcnt(4)
	v_add_f32_e32 v7, v8, v11
	s_waitcnt lgkmcnt(3)
	v_add_f32_e32 v4, v0, v5
	;; [unrolled: 2-line block ×3, first 2 shown]
	ds_bpermute_b32 v15, v68, v17
	ds_bpermute_b32 v13, v68, v12
	;; [unrolled: 1-line block ×6, first 2 shown]
	s_and_saveexec_b64 s[14:15], s[0:1]
	s_cbranch_execz .LBB382_13
; %bb.20:                               ;   in Loop: Header=BB382_14 Depth=1
	s_and_b64 vcc, exec, s[4:5]
	v_mov_b32_e32 v0, 0
	v_mov_b32_e32 v23, 0
	;; [unrolled: 1-line block ×8, first 2 shown]
	s_cbranch_vccnz .LBB382_22
; %bb.21:                               ;   in Loop: Header=BB382_14 Depth=1
	v_mul_hi_u32 v0, v58, v69
	v_mul_lo_u32 v0, v0, s20
	v_sub_u32_e32 v0, v58, v0
	v_subrev_u32_e32 v1, s20, v0
	v_cmp_le_u32_e32 vcc, s20, v0
	v_mov_b32_e32 v31, v61
	v_mov_b32_e32 v33, v61
	v_cndmask_b32_e32 v0, v0, v1, vcc
	v_subrev_u32_e32 v1, s20, v0
	v_cmp_le_u32_e32 vcc, s20, v0
	v_mov_b32_e32 v35, v61
	v_mov_b32_e32 v37, v61
	v_cndmask_b32_e32 v60, v0, v1, vcc
	v_mul_hi_u32 v0, v71, v69
	v_mul_lo_u32 v0, v0, s20
	v_sub_u32_e32 v0, v71, v0
	v_subrev_u32_e32 v1, s20, v0
	v_cmp_le_u32_e32 vcc, s20, v0
	v_lshl_add_u64 v[26:27], v[60:61], 1, s[8:9]
	v_add_u32_e32 v30, s35, v60
	v_cndmask_b32_e32 v0, v0, v1, vcc
	v_subrev_u32_e32 v1, s20, v0
	v_cmp_le_u32_e32 vcc, s20, v0
	v_add_u32_e32 v34, s36, v60
	v_add_u32_e32 v60, s37, v60
	v_cndmask_b32_e32 v0, v0, v1, vcc
	v_mov_b32_e32 v1, v61
	v_add_u32_e32 v32, s35, v0
	v_add_u32_e32 v36, s36, v0
	v_lshl_add_u64 v[38:39], v[60:61], 1, s[8:9]
	v_add_u32_e32 v60, s37, v0
	v_lshl_add_u64 v[28:29], v[0:1], 1, s[8:9]
	v_lshl_add_u64 v[30:31], v[30:31], 1, s[8:9]
	;; [unrolled: 1-line block ×6, first 2 shown]
	global_load_ushort v0, v[26:27], off
	global_load_ushort v23, v[28:29], off
	;; [unrolled: 1-line block ×8, first 2 shown]
.LBB382_22:                             ;   in Loop: Header=BB382_14 Depth=1
	s_waitcnt lgkmcnt(7)
	v_add_f32_e32 v1, v25, v22
	v_mul_f32_e32 v1, s28, v1
	s_waitcnt vmcnt(7)
	v_lshlrev_b32_e32 v0, 16, v0
	v_fmac_f32_e32 v0, s29, v1
	v_and_b32_e32 v1, 0x7f800000, v0
	v_cmp_ne_u32_e32 vcc, s17, v1
                                        ; implicit-def: $vgpr22
	s_and_saveexec_b64 s[6:7], vcc
	s_xor_b64 s[6:7], exec, s[6:7]
; %bb.23:                               ;   in Loop: Header=BB382_14 Depth=1
	v_bfe_u32 v1, v0, 16, 1
	v_add3_u32 v22, v0, v1, s38
                                        ; implicit-def: $vgpr0
; %bb.24:                               ;   in Loop: Header=BB382_14 Depth=1
	s_andn2_saveexec_b64 s[6:7], s[6:7]
; %bb.25:                               ;   in Loop: Header=BB382_14 Depth=1
	v_or_b32_e32 v1, 0x10000, v0
	v_cmp_eq_u32_sdwa vcc, v0, v61 src0_sel:WORD_0 src1_sel:DWORD
	s_nop 1
	v_cndmask_b32_e32 v22, v1, v0, vcc
; %bb.26:                               ;   in Loop: Header=BB382_14 Depth=1
	s_or_b64 exec, exec, s[6:7]
	v_mov_b32_e32 v59, v61
	v_lshl_add_u64 v[0:1], v[58:59], 1, s[10:11]
	v_cmp_gt_u32_e32 vcc, s19, v71
	global_store_short_d16_hi v[0:1], v22, off
	s_and_saveexec_b64 s[24:25], vcc
	s_cbranch_execz .LBB382_32
; %bb.27:                               ;   in Loop: Header=BB382_14 Depth=1
	s_waitcnt lgkmcnt(6)
	v_add_f32_e32 v18, v21, v18
	v_mul_f32_e32 v21, s28, v18
	s_waitcnt vmcnt(7)
	v_lshlrev_b32_e32 v18, 16, v23
	v_fmac_f32_e32 v18, s29, v21
	v_and_b32_e32 v21, 0x7f800000, v18
	v_cmp_ne_u32_e64 s[6:7], s17, v21
                                        ; implicit-def: $vgpr21
	s_and_saveexec_b64 s[26:27], s[6:7]
	s_xor_b64 s[6:7], exec, s[26:27]
; %bb.28:                               ;   in Loop: Header=BB382_14 Depth=1
	v_bfe_u32 v21, v18, 16, 1
	v_add3_u32 v21, v18, v21, s38
                                        ; implicit-def: $vgpr18
; %bb.29:                               ;   in Loop: Header=BB382_14 Depth=1
	s_andn2_saveexec_b64 s[26:27], s[6:7]
; %bb.30:                               ;   in Loop: Header=BB382_14 Depth=1
	v_or_b32_e32 v21, 0x10000, v18
	v_cmp_eq_u32_sdwa s[6:7], v18, v61 src0_sel:WORD_0 src1_sel:DWORD
	s_nop 1
	v_cndmask_b32_e64 v21, v21, v18, s[6:7]
; %bb.31:                               ;   in Loop: Header=BB382_14 Depth=1
	s_or_b64 exec, exec, s[26:27]
	global_store_short_d16_hi v[0:1], v21, off offset:2
.LBB382_32:                             ;   in Loop: Header=BB382_14 Depth=1
	s_or_b64 exec, exec, s[24:25]
	s_waitcnt lgkmcnt(5)
	v_add_f32_e32 v0, v17, v15
	v_mul_f32_e32 v1, s28, v0
	s_waitcnt vmcnt(6)
	v_lshlrev_b32_e32 v0, 16, v20
	v_fmac_f32_e32 v0, s29, v1
	v_and_b32_e32 v1, 0x7f800000, v0
	v_cmp_ne_u32_e64 s[6:7], s17, v1
                                        ; implicit-def: $vgpr1
	s_and_saveexec_b64 s[24:25], s[6:7]
	s_xor_b64 s[6:7], exec, s[24:25]
; %bb.33:                               ;   in Loop: Header=BB382_14 Depth=1
	v_bfe_u32 v1, v0, 16, 1
	v_add3_u32 v1, v0, v1, s38
                                        ; implicit-def: $vgpr0
; %bb.34:                               ;   in Loop: Header=BB382_14 Depth=1
	s_andn2_saveexec_b64 s[24:25], s[6:7]
; %bb.35:                               ;   in Loop: Header=BB382_14 Depth=1
	v_or_b32_e32 v1, 0x10000, v0
	v_cmp_eq_u32_sdwa s[6:7], v0, v61 src0_sel:WORD_0 src1_sel:DWORD
	s_nop 1
	v_cndmask_b32_e64 v1, v1, v0, s[6:7]
; %bb.36:                               ;   in Loop: Header=BB382_14 Depth=1
	s_or_b64 exec, exec, s[24:25]
	v_add_u32_e32 v60, s19, v58
	v_lshl_add_u64 v[20:21], v[60:61], 1, s[10:11]
	global_store_short_d16_hi v[20:21], v1, off
	s_and_saveexec_b64 s[24:25], vcc
	s_cbranch_execz .LBB382_42
; %bb.37:                               ;   in Loop: Header=BB382_14 Depth=1
	s_waitcnt lgkmcnt(4)
	v_add_f32_e32 v0, v12, v13
	v_mul_f32_e32 v0, s28, v0
	s_waitcnt vmcnt(6)
	v_lshlrev_b32_e32 v1, 16, v19
	v_fmac_f32_e32 v1, s29, v0
	v_and_b32_e32 v0, 0x7f800000, v1
	v_cmp_ne_u32_e64 s[6:7], s17, v0
                                        ; implicit-def: $vgpr0
	s_and_saveexec_b64 s[26:27], s[6:7]
	s_xor_b64 s[6:7], exec, s[26:27]
; %bb.38:                               ;   in Loop: Header=BB382_14 Depth=1
	v_bfe_u32 v0, v1, 16, 1
	v_add3_u32 v0, v1, v0, s38
                                        ; implicit-def: $vgpr1
; %bb.39:                               ;   in Loop: Header=BB382_14 Depth=1
	s_andn2_saveexec_b64 s[26:27], s[6:7]
; %bb.40:                               ;   in Loop: Header=BB382_14 Depth=1
	v_or_b32_e32 v0, 0x10000, v1
	v_cmp_eq_u32_sdwa s[6:7], v1, v61 src0_sel:WORD_0 src1_sel:DWORD
	s_nop 1
	v_cndmask_b32_e64 v0, v0, v1, s[6:7]
; %bb.41:                               ;   in Loop: Header=BB382_14 Depth=1
	s_or_b64 exec, exec, s[26:27]
	v_add_u32_e32 v12, s19, v71
	v_mov_b32_e32 v13, v61
	v_lshl_add_u64 v[12:13], v[12:13], 1, s[10:11]
	global_store_short_d16_hi v[12:13], v0, off
.LBB382_42:                             ;   in Loop: Header=BB382_14 Depth=1
	s_or_b64 exec, exec, s[24:25]
	s_waitcnt lgkmcnt(3)
	v_add_f32_e32 v0, v9, v10
	v_mul_f32_e32 v1, s28, v0
	s_waitcnt vmcnt(5)
	v_lshlrev_b32_e32 v0, 16, v16
	v_fmac_f32_e32 v0, s29, v1
	v_and_b32_e32 v1, 0x7f800000, v0
	v_cmp_ne_u32_e64 s[6:7], s17, v1
                                        ; implicit-def: $vgpr1
	s_and_saveexec_b64 s[24:25], s[6:7]
	s_xor_b64 s[6:7], exec, s[24:25]
; %bb.43:                               ;   in Loop: Header=BB382_14 Depth=1
	v_bfe_u32 v1, v0, 16, 1
	v_add3_u32 v1, v0, v1, s38
                                        ; implicit-def: $vgpr0
; %bb.44:                               ;   in Loop: Header=BB382_14 Depth=1
	s_andn2_saveexec_b64 s[24:25], s[6:7]
; %bb.45:                               ;   in Loop: Header=BB382_14 Depth=1
	v_or_b32_e32 v1, 0x10000, v0
	v_cmp_eq_u32_sdwa s[6:7], v0, v61 src0_sel:WORD_0 src1_sel:DWORD
	s_nop 1
	v_cndmask_b32_e64 v1, v1, v0, s[6:7]
; %bb.46:                               ;   in Loop: Header=BB382_14 Depth=1
	s_or_b64 exec, exec, s[24:25]
	v_add_u32_e32 v60, s19, v60
	v_lshl_add_u64 v[12:13], v[60:61], 1, s[10:11]
	global_store_short_d16_hi v[12:13], v1, off
	s_and_saveexec_b64 s[24:25], vcc
	s_cbranch_execz .LBB382_52
; %bb.47:                               ;   in Loop: Header=BB382_14 Depth=1
	s_waitcnt lgkmcnt(2)
	v_add_f32_e32 v0, v7, v8
	v_mul_f32_e32 v0, s28, v0
	s_waitcnt vmcnt(5)
	v_lshlrev_b32_e32 v1, 16, v14
	v_fmac_f32_e32 v1, s29, v0
	v_and_b32_e32 v0, 0x7f800000, v1
	v_cmp_ne_u32_e64 s[6:7], s17, v0
                                        ; implicit-def: $vgpr0
	s_and_saveexec_b64 s[26:27], s[6:7]
	s_xor_b64 s[6:7], exec, s[26:27]
; %bb.48:                               ;   in Loop: Header=BB382_14 Depth=1
	v_bfe_u32 v0, v1, 16, 1
	v_add3_u32 v0, v1, v0, s38
                                        ; implicit-def: $vgpr1
; %bb.49:                               ;   in Loop: Header=BB382_14 Depth=1
	s_andn2_saveexec_b64 s[26:27], s[6:7]
; %bb.50:                               ;   in Loop: Header=BB382_14 Depth=1
	v_or_b32_e32 v0, 0x10000, v1
	v_cmp_eq_u32_sdwa s[6:7], v1, v61 src0_sel:WORD_0 src1_sel:DWORD
	s_nop 1
	v_cndmask_b32_e64 v0, v0, v1, s[6:7]
; %bb.51:                               ;   in Loop: Header=BB382_14 Depth=1
	s_or_b64 exec, exec, s[26:27]
	v_add_u32_e32 v8, s34, v71
	v_mov_b32_e32 v9, v61
	v_lshl_add_u64 v[8:9], v[8:9], 1, s[10:11]
	global_store_short_d16_hi v[8:9], v0, off
.LBB382_52:                             ;   in Loop: Header=BB382_14 Depth=1
	s_or_b64 exec, exec, s[24:25]
	s_waitcnt lgkmcnt(1)
	v_add_f32_e32 v0, v4, v5
	v_mul_f32_e32 v1, s28, v0
	s_waitcnt vmcnt(4)
	v_lshlrev_b32_e32 v0, 16, v11
	v_fmac_f32_e32 v0, s29, v1
	v_and_b32_e32 v1, 0x7f800000, v0
	v_cmp_ne_u32_e64 s[6:7], s17, v1
                                        ; implicit-def: $vgpr1
	s_and_saveexec_b64 s[24:25], s[6:7]
	s_xor_b64 s[6:7], exec, s[24:25]
; %bb.53:                               ;   in Loop: Header=BB382_14 Depth=1
	v_bfe_u32 v1, v0, 16, 1
	v_add3_u32 v1, v0, v1, s38
                                        ; implicit-def: $vgpr0
; %bb.54:                               ;   in Loop: Header=BB382_14 Depth=1
	s_andn2_saveexec_b64 s[24:25], s[6:7]
; %bb.55:                               ;   in Loop: Header=BB382_14 Depth=1
	v_or_b32_e32 v1, 0x10000, v0
	v_cmp_eq_u32_sdwa s[6:7], v0, v61 src0_sel:WORD_0 src1_sel:DWORD
	s_nop 1
	v_cndmask_b32_e64 v1, v1, v0, s[6:7]
; %bb.56:                               ;   in Loop: Header=BB382_14 Depth=1
	s_or_b64 exec, exec, s[24:25]
	v_add_u32_e32 v60, s19, v60
	v_lshl_add_u64 v[4:5], v[60:61], 1, s[10:11]
	global_store_short_d16_hi v[4:5], v1, off
	s_and_b64 exec, exec, vcc
	s_cbranch_execz .LBB382_13
; %bb.57:                               ;   in Loop: Header=BB382_14 Depth=1
	s_waitcnt lgkmcnt(0)
	v_add_f32_e32 v0, v2, v3
	v_mul_f32_e32 v0, s28, v0
	s_waitcnt vmcnt(4)
	v_lshlrev_b32_e32 v1, 16, v6
	v_fmac_f32_e32 v1, s29, v0
	v_and_b32_e32 v0, 0x7f800000, v1
	v_cmp_ne_u32_e32 vcc, s17, v0
                                        ; implicit-def: $vgpr0
	s_and_saveexec_b64 s[6:7], vcc
	s_xor_b64 s[6:7], exec, s[6:7]
; %bb.58:                               ;   in Loop: Header=BB382_14 Depth=1
	v_bfe_u32 v0, v1, 16, 1
	v_add3_u32 v0, v1, v0, s38
                                        ; implicit-def: $vgpr1
; %bb.59:                               ;   in Loop: Header=BB382_14 Depth=1
	s_andn2_saveexec_b64 s[6:7], s[6:7]
	s_cbranch_execz .LBB382_12
; %bb.60:                               ;   in Loop: Header=BB382_14 Depth=1
	v_or_b32_e32 v0, 0x10000, v1
	v_cmp_eq_u32_sdwa vcc, v1, v61 src0_sel:WORD_0 src1_sel:DWORD
	s_nop 1
	v_cndmask_b32_e32 v0, v0, v1, vcc
	s_branch .LBB382_12
.LBB382_61:
	s_endpgm
	.section	.rodata,"a",@progbits
	.p2align	6, 0x0
	.amdhsa_kernel _Z17wvSplitKQ_hf_sml_I14__hip_bfloat16N3c1013Float8_e4m3fnELi32ELi2ELi16ELi16ELi1ELi4EEviiiiiiPKT0_S5_PKT_PS6_PKfSB_ii
		.amdhsa_group_segment_fixed_size 65536
		.amdhsa_private_segment_fixed_size 0
		.amdhsa_kernarg_size 80
		.amdhsa_user_sgpr_count 2
		.amdhsa_user_sgpr_dispatch_ptr 0
		.amdhsa_user_sgpr_queue_ptr 0
		.amdhsa_user_sgpr_kernarg_segment_ptr 1
		.amdhsa_user_sgpr_dispatch_id 0
		.amdhsa_user_sgpr_kernarg_preload_length 0
		.amdhsa_user_sgpr_kernarg_preload_offset 0
		.amdhsa_user_sgpr_private_segment_size 0
		.amdhsa_uses_dynamic_stack 0
		.amdhsa_enable_private_segment 0
		.amdhsa_system_sgpr_workgroup_id_x 1
		.amdhsa_system_sgpr_workgroup_id_y 0
		.amdhsa_system_sgpr_workgroup_id_z 0
		.amdhsa_system_sgpr_workgroup_info 0
		.amdhsa_system_vgpr_workitem_id 1
		.amdhsa_next_free_vgpr 72
		.amdhsa_next_free_sgpr 39
		.amdhsa_accum_offset 72
		.amdhsa_reserve_vcc 1
		.amdhsa_float_round_mode_32 0
		.amdhsa_float_round_mode_16_64 0
		.amdhsa_float_denorm_mode_32 3
		.amdhsa_float_denorm_mode_16_64 3
		.amdhsa_dx10_clamp 1
		.amdhsa_ieee_mode 1
		.amdhsa_fp16_overflow 0
		.amdhsa_tg_split 0
		.amdhsa_exception_fp_ieee_invalid_op 0
		.amdhsa_exception_fp_denorm_src 0
		.amdhsa_exception_fp_ieee_div_zero 0
		.amdhsa_exception_fp_ieee_overflow 0
		.amdhsa_exception_fp_ieee_underflow 0
		.amdhsa_exception_fp_ieee_inexact 0
		.amdhsa_exception_int_div_zero 0
	.end_amdhsa_kernel
	.section	.text._Z17wvSplitKQ_hf_sml_I14__hip_bfloat16N3c1013Float8_e4m3fnELi32ELi2ELi16ELi16ELi1ELi4EEviiiiiiPKT0_S5_PKT_PS6_PKfSB_ii,"axG",@progbits,_Z17wvSplitKQ_hf_sml_I14__hip_bfloat16N3c1013Float8_e4m3fnELi32ELi2ELi16ELi16ELi1ELi4EEviiiiiiPKT0_S5_PKT_PS6_PKfSB_ii,comdat
.Lfunc_end382:
	.size	_Z17wvSplitKQ_hf_sml_I14__hip_bfloat16N3c1013Float8_e4m3fnELi32ELi2ELi16ELi16ELi1ELi4EEviiiiiiPKT0_S5_PKT_PS6_PKfSB_ii, .Lfunc_end382-_Z17wvSplitKQ_hf_sml_I14__hip_bfloat16N3c1013Float8_e4m3fnELi32ELi2ELi16ELi16ELi1ELi4EEviiiiiiPKT0_S5_PKT_PS6_PKfSB_ii
                                        ; -- End function
	.section	.AMDGPU.csdata,"",@progbits
; Kernel info:
; codeLenInByte = 3532
; NumSgprs: 45
; NumVgprs: 72
; NumAgprs: 0
; TotalNumVgprs: 72
; ScratchSize: 0
; MemoryBound: 0
; FloatMode: 240
; IeeeMode: 1
; LDSByteSize: 65536 bytes/workgroup (compile time only)
; SGPRBlocks: 5
; VGPRBlocks: 8
; NumSGPRsForWavesPerEU: 45
; NumVGPRsForWavesPerEU: 72
; AccumOffset: 72
; Occupancy: 2
; WaveLimiterHint : 0
; COMPUTE_PGM_RSRC2:SCRATCH_EN: 0
; COMPUTE_PGM_RSRC2:USER_SGPR: 2
; COMPUTE_PGM_RSRC2:TRAP_HANDLER: 0
; COMPUTE_PGM_RSRC2:TGID_X_EN: 1
; COMPUTE_PGM_RSRC2:TGID_Y_EN: 0
; COMPUTE_PGM_RSRC2:TGID_Z_EN: 0
; COMPUTE_PGM_RSRC2:TIDIG_COMP_CNT: 1
; COMPUTE_PGM_RSRC3_GFX90A:ACCUM_OFFSET: 17
; COMPUTE_PGM_RSRC3_GFX90A:TG_SPLIT: 0
	.section	.text._Z13wvSplitKQ_hf_I14__hip_bfloat16N3c1013Float8_e4m3fnELi32ELi2ELi16ELi16ELi1ELi4EEviiiiiiPKT0_S5_PKT_PS6_PKfSB_ii,"axG",@progbits,_Z13wvSplitKQ_hf_I14__hip_bfloat16N3c1013Float8_e4m3fnELi32ELi2ELi16ELi16ELi1ELi4EEviiiiiiPKT0_S5_PKT_PS6_PKfSB_ii,comdat
	.protected	_Z13wvSplitKQ_hf_I14__hip_bfloat16N3c1013Float8_e4m3fnELi32ELi2ELi16ELi16ELi1ELi4EEviiiiiiPKT0_S5_PKT_PS6_PKfSB_ii ; -- Begin function _Z13wvSplitKQ_hf_I14__hip_bfloat16N3c1013Float8_e4m3fnELi32ELi2ELi16ELi16ELi1ELi4EEviiiiiiPKT0_S5_PKT_PS6_PKfSB_ii
	.globl	_Z13wvSplitKQ_hf_I14__hip_bfloat16N3c1013Float8_e4m3fnELi32ELi2ELi16ELi16ELi1ELi4EEviiiiiiPKT0_S5_PKT_PS6_PKfSB_ii
	.p2align	8
	.type	_Z13wvSplitKQ_hf_I14__hip_bfloat16N3c1013Float8_e4m3fnELi32ELi2ELi16ELi16ELi1ELi4EEviiiiiiPKT0_S5_PKT_PS6_PKfSB_ii,@function
_Z13wvSplitKQ_hf_I14__hip_bfloat16N3c1013Float8_e4m3fnELi32ELi2ELi16ELi16ELi1ELi4EEviiiiiiPKT0_S5_PKT_PS6_PKfSB_ii: ; @_Z13wvSplitKQ_hf_I14__hip_bfloat16N3c1013Float8_e4m3fnELi32ELi2ELi16ELi16ELi1ELi4EEviiiiiiPKT0_S5_PKT_PS6_PKfSB_ii
; %bb.0:
	s_load_dwordx4 s[16:19], s[0:1], 0x0
	s_load_dwordx2 s[6:7], s[0:1], 0x20
	v_and_b32_e32 v4, 0x3ff, v0
	v_bfe_u32 v5, v0, 10, 10
	v_lshlrev_b32_e32 v56, 4, v4
	s_waitcnt lgkmcnt(0)
	s_lshl_b32 s3, s17, 2
	v_lshl_add_u32 v0, v5, 9, v56
	s_min_u32 s3, s3, 0x10000
	v_cmp_gt_u32_e32 vcc, s3, v0
	s_and_saveexec_b64 s[4:5], vcc
	s_cbranch_execz .LBB383_9
; %bb.1:
	global_load_dwordx4 v[6:9], v0, s[6:7]
	v_add_u32_e32 v1, 0x2000, v0
	v_cmp_gt_u32_e32 vcc, s3, v1
	s_waitcnt vmcnt(0)
	ds_write_b128 v0, v[6:9]
	s_and_saveexec_b64 s[8:9], vcc
	s_xor_b64 s[8:9], exec, s[8:9]
	s_cbranch_execz .LBB383_9
; %bb.2:
	v_mov_b32_e32 v1, 0
	v_lshl_add_u64 v[2:3], s[6:7], 0, v[0:1]
	v_add_co_u32_e32 v6, vcc, 0x2000, v2
	v_add_u32_e32 v1, 0x4000, v0
	s_nop 0
	v_addc_co_u32_e32 v7, vcc, 0, v3, vcc
	global_load_dwordx4 v[6:9], v[6:7], off
	v_cmp_gt_u32_e32 vcc, s3, v1
	s_waitcnt vmcnt(0)
	ds_write_b128 v0, v[6:9] offset:8192
	s_and_saveexec_b64 s[8:9], vcc
	s_xor_b64 s[8:9], exec, s[8:9]
	s_cbranch_execz .LBB383_9
; %bb.3:
	v_add_co_u32_e32 v6, vcc, 0x4000, v2
	v_add_u32_e32 v1, 0x6000, v0
	s_nop 0
	v_addc_co_u32_e32 v7, vcc, 0, v3, vcc
	global_load_dwordx4 v[6:9], v[6:7], off
	v_cmp_gt_u32_e32 vcc, s3, v1
	s_waitcnt vmcnt(0)
	ds_write_b128 v0, v[6:9] offset:16384
	s_and_saveexec_b64 s[8:9], vcc
	s_xor_b64 s[8:9], exec, s[8:9]
	s_cbranch_execz .LBB383_9
; %bb.4:
	;; [unrolled: 12-line block ×6, first 2 shown]
	v_add_co_u32_e32 v2, vcc, 0xe000, v2
	s_nop 1
	v_addc_co_u32_e32 v3, vcc, 0, v3, vcc
	global_load_dwordx4 v[6:9], v[2:3], off
	s_waitcnt vmcnt(0)
	ds_write_b128 v0, v[6:9] offset:57344
.LBB383_9:
	s_or_b64 exec, exec, s[4:5]
	s_load_dwordx2 s[4:5], s[0:1], 0x48
	;;#ASMSTART
	s_waitcnt vmcnt(0)
	;;#ASMEND
	s_waitcnt lgkmcnt(0)
	s_barrier
	v_cmp_gt_u32_e32 vcc, s4, v5
	s_and_saveexec_b64 s[8:9], vcc
	s_cbranch_execz .LBB383_77
; %bb.10:
	s_load_dwordx2 s[20:21], s[0:1], 0x10
	s_mul_i32 s2, s2, s4
	v_add_lshl_u32 v58, s2, v5, 1
	v_cmp_gt_u32_e32 vcc, s19, v58
	s_and_b64 exec, exec, vcc
	s_cbranch_execz .LBB383_77
; %bb.11:
	s_load_dwordx8 s[8:15], s[0:1], 0x28
	s_load_dwordx2 s[22:23], s[0:1], 0x18
	v_mbcnt_lo_u32_b32 v0, -1, 0
	v_mbcnt_hi_u32_b32 v0, -1, v0
	s_cmp_lg_u32 s16, 0
	v_and_b32_e32 v1, 63, v0
	s_cselect_b64 s[2:3], -1, 0
	s_add_i32 s33, s16, -16
	s_add_i32 s34, s19, -1
	v_cmp_lt_u32_e32 vcc, 43, v1
	s_mul_i32 s4, s4, s5
	s_waitcnt lgkmcnt(0)
	s_cmp_lg_u64 s[8:9], 0
	v_cndmask_b32_e64 v2, 20, 0, vcc
	v_cmp_lt_u32_e32 vcc, 23, v1
	s_load_dword s30, s[12:13], 0x0
	s_load_dword s31, s[14:15], 0x0
	v_cndmask_b32_e64 v1, 40, 0, vcc
	s_cselect_b64 s[14:15], -1, 0
	s_lshl_b32 s35, s4, 1
	s_abs_i32 s4, s21
	v_add_lshl_u32 v57, v2, v0, 2
	v_add_lshl_u32 v68, v1, v0, 2
	v_cvt_f32_u32_e32 v0, s20
	v_cvt_f32_u32_e32 v1, s4
	s_sub_i32 s5, 0, s20
	s_lshl_b32 s36, s19, 1
	v_rcp_iflag_f32_e32 v0, v0
	v_rcp_iflag_f32_e32 v1, v1
	v_cmp_eq_u32_e64 s[0:1], 0, v4
	s_mov_b64 s[12:13], 0
	v_mul_f32_e32 v0, 0x4f7ffffe, v0
	v_mul_f32_e32 v1, 0x4f7ffffe, v1
	v_cvt_u32_f32_e32 v0, v0
	v_cvt_u32_f32_e32 v1, v1
	s_mul_i32 s21, s19, 3
	v_mov_b32_e32 v61, 0
	v_mul_lo_u32 v2, s5, v0
	s_sub_i32 s5, 0, s4
	v_readfirstlane_b32 s24, v1
	s_mul_i32 s5, s5, s24
	s_mul_hi_u32 s5, s24, s5
	s_add_i32 s24, s24, s5
	s_sub_i32 s5, 1, s4
	s_cmp_lt_u32 s4, 2
	s_cselect_b32 s5, s5, 1
	s_sub_i32 s25, s5, s4
	s_cmp_ge_u32 s5, s4
	s_cselect_b32 s37, s25, s5
	s_lshr_b32 s5, s24, 31
	s_mul_i32 s5, s5, s4
	s_sub_i32 s5, 2, s5
	s_sub_i32 s25, s5, s4
	s_cmp_ge_u32 s5, s4
	s_cselect_b32 s5, s25, s5
	s_sub_i32 s25, s5, s4
	s_cmp_ge_u32 s5, s4
	s_cselect_b32 s38, s25, s5
	s_mul_hi_u32 s5, s24, 3
	s_mul_i32 s5, s5, s4
	s_sub_i32 s5, 3, s5
	s_sub_i32 s24, s5, s4
	s_cmp_ge_u32 s5, s4
	s_cselect_b32 s5, s24, s5
	s_sub_i32 s24, s5, s4
	v_mul_hi_u32 v2, v0, v2
	s_cmp_ge_u32 s5, s4
	v_add_u32_e32 v69, v0, v2
	s_cselect_b32 s39, s24, s5
	v_mad_u64_u32 v[62:63], s[4:5], s17, 3, v[56:57]
	v_cndmask_b32_e64 v0, 0, 1, s[2:3]
	s_mul_i32 s37, s37, s20
	s_mul_i32 s38, s38, s20
	;; [unrolled: 1-line block ×3, first 2 shown]
	v_lshl_add_u32 v70, s17, 1, v56
	v_add_u32_e32 v63, s17, v56
	v_cmp_ne_u32_e64 s[2:3], 1, v0
	s_mov_b32 s17, 0xffff
	s_mov_b32 s40, 0x7f800000
	s_movk_i32 s41, 0x7fff
	s_branch .LBB383_14
.LBB383_12:                             ;   in Loop: Header=BB383_14 Depth=1
	s_or_b64 exec, exec, s[4:5]
	v_add_u32_e32 v60, s21, v71
	v_lshl_add_u64 v[2:3], v[60:61], 1, s[10:11]
	global_store_short_d16_hi v[2:3], v0, off
.LBB383_13:                             ;   in Loop: Header=BB383_14 Depth=1
	s_or_b64 exec, exec, s[24:25]
	v_add_u32_e32 v58, s35, v58
	v_cmp_le_u32_e32 vcc, s19, v58
	s_or_b64 s[12:13], vcc, s[12:13]
	s_andn2_b64 exec, exec, s[12:13]
	s_cbranch_execz .LBB383_77
.LBB383_14:                             ; =>This Loop Header: Depth=1
                                        ;     Child Loop BB383_18 Depth 2
	s_and_b64 vcc, exec, s[2:3]
	v_or_b32_e32 v71, 1, v58
	v_mov_b32_e32 v31, v61
	v_mov_b32_e32 v30, v61
	;; [unrolled: 1-line block ×9, first 2 shown]
	s_waitcnt lgkmcnt(0)
	v_mov_b32_e32 v22, v61
	v_mov_b32_e32 v21, v61
	;; [unrolled: 1-line block ×20, first 2 shown]
	s_waitcnt vmcnt(4)
	v_mov_b32_e32 v6, v61
	v_mov_b32_e32 v5, v61
	;; [unrolled: 1-line block ×3, first 2 shown]
	s_cbranch_vccnz .LBB383_35
; %bb.15:                               ;   in Loop: Header=BB383_14 Depth=1
	v_min_u32_e32 v0, s34, v58
	v_mul_lo_u32 v64, v0, s18
	v_min_u32_e32 v0, s34, v71
	v_mov_b32_e32 v4, 0
	v_mov_b32_e32 v65, v61
	v_mul_lo_u32 v66, v0, s18
	v_mov_b32_e32 v67, v61
	s_mov_b32 s26, 0
	v_mov_b32_e32 v5, v4
	v_mov_b32_e32 v6, v4
	;; [unrolled: 1-line block ×31, first 2 shown]
	s_branch .LBB383_18
.LBB383_16:                             ;   in Loop: Header=BB383_18 Depth=2
	s_or_b64 exec, exec, s[24:25]
.LBB383_17:                             ;   in Loop: Header=BB383_18 Depth=2
	s_or_b64 exec, exec, s[4:5]
	s_waitcnt vmcnt(0) lgkmcnt(0)
	v_mfma_f32_16x16x32_fp8_fp8 v[28:31], v[40:41], v[36:37], v[28:31]
	s_addk_i32 s26, 0x200
	s_cmp_ge_u32 s26, s16
	v_mfma_f32_16x16x32_fp8_fp8 v[24:27], v[40:41], v[32:33], v[24:27]
	v_mfma_f32_16x16x32_fp8_fp8 v[20:23], v[44:45], v[36:37], v[20:23]
	;; [unrolled: 1-line block ×15, first 2 shown]
	s_cbranch_scc1 .LBB383_35
.LBB383_18:                             ;   Parent Loop BB383_14 Depth=1
                                        ; =>  This Inner Loop Header: Depth=2
	v_add_u32_e32 v59, s26, v56
	v_min_u32_e32 v60, s33, v59
	v_lshl_add_u64 v[32:33], s[22:23], 0, v[60:61]
	v_lshl_add_u64 v[40:41], v[32:33], 0, v[64:65]
	;; [unrolled: 1-line block ×3, first 2 shown]
	global_load_dwordx4 v[36:39], v[40:41], off nt
	global_load_dwordx4 v[32:35], v[42:43], off nt
	v_mov_b64_e32 v[54:55], 0
	v_cmp_gt_u32_e32 vcc, s16, v59
	v_mov_b64_e32 v[52:53], v[54:55]
	v_mov_b64_e32 v[50:51], v[54:55]
	;; [unrolled: 1-line block ×7, first 2 shown]
	s_and_saveexec_b64 s[4:5], vcc
	s_cbranch_execz .LBB383_17
; %bb.19:                               ;   in Loop: Header=BB383_18 Depth=2
	v_cmp_lt_u32_e32 vcc, s17, v59
                                        ; implicit-def: $vgpr42_vgpr43
	s_and_saveexec_b64 s[24:25], vcc
	s_xor_b64 s[24:25], exec, s[24:25]
	s_cbranch_execz .LBB383_21
; %bb.20:                               ;   in Loop: Header=BB383_18 Depth=2
	global_load_dwordx4 v[40:43], v59, s[6:7]
                                        ; implicit-def: $vgpr59
.LBB383_21:                             ;   in Loop: Header=BB383_18 Depth=2
	s_andn2_saveexec_b64 s[24:25], s[24:25]
	s_cbranch_execz .LBB383_23
; %bb.22:                               ;   in Loop: Header=BB383_18 Depth=2
	s_waitcnt vmcnt(0)
	ds_read_b128 v[40:43], v59
.LBB383_23:                             ;   in Loop: Header=BB383_18 Depth=2
	s_or_b64 exec, exec, s[24:25]
	v_add_u32_e32 v48, s26, v63
	v_cmp_lt_u32_e32 vcc, s17, v48
                                        ; implicit-def: $vgpr46_vgpr47
	s_and_saveexec_b64 s[24:25], vcc
	s_xor_b64 s[24:25], exec, s[24:25]
	s_cbranch_execz .LBB383_25
; %bb.24:                               ;   in Loop: Header=BB383_18 Depth=2
	global_load_dwordx4 v[44:47], v48, s[6:7]
                                        ; implicit-def: $vgpr48
.LBB383_25:                             ;   in Loop: Header=BB383_18 Depth=2
	s_andn2_saveexec_b64 s[24:25], s[24:25]
	s_cbranch_execz .LBB383_27
; %bb.26:                               ;   in Loop: Header=BB383_18 Depth=2
	s_waitcnt vmcnt(0)
	ds_read_b128 v[44:47], v48
.LBB383_27:                             ;   in Loop: Header=BB383_18 Depth=2
	s_or_b64 exec, exec, s[24:25]
	v_add_u32_e32 v52, s26, v70
	v_cmp_lt_u32_e32 vcc, s17, v52
                                        ; implicit-def: $vgpr50_vgpr51
	s_and_saveexec_b64 s[24:25], vcc
	s_xor_b64 s[24:25], exec, s[24:25]
	s_cbranch_execz .LBB383_29
; %bb.28:                               ;   in Loop: Header=BB383_18 Depth=2
	global_load_dwordx4 v[48:51], v52, s[6:7]
                                        ; implicit-def: $vgpr52
.LBB383_29:                             ;   in Loop: Header=BB383_18 Depth=2
	s_andn2_saveexec_b64 s[24:25], s[24:25]
	s_cbranch_execz .LBB383_31
; %bb.30:                               ;   in Loop: Header=BB383_18 Depth=2
	s_waitcnt vmcnt(0)
	ds_read_b128 v[48:51], v52
.LBB383_31:                             ;   in Loop: Header=BB383_18 Depth=2
	s_or_b64 exec, exec, s[24:25]
	v_add_u32_e32 v59, s26, v62
	v_cmp_lt_u32_e32 vcc, s17, v59
                                        ; implicit-def: $vgpr54_vgpr55
	s_and_saveexec_b64 s[24:25], vcc
	s_xor_b64 s[24:25], exec, s[24:25]
	s_cbranch_execz .LBB383_33
; %bb.32:                               ;   in Loop: Header=BB383_18 Depth=2
	global_load_dwordx4 v[52:55], v59, s[6:7]
                                        ; implicit-def: $vgpr59
.LBB383_33:                             ;   in Loop: Header=BB383_18 Depth=2
	s_andn2_saveexec_b64 s[24:25], s[24:25]
	s_cbranch_execz .LBB383_16
; %bb.34:                               ;   in Loop: Header=BB383_18 Depth=2
	s_waitcnt vmcnt(0)
	ds_read_b128 v[52:55], v59
	s_branch .LBB383_16
.LBB383_35:                             ;   in Loop: Header=BB383_14 Depth=1
	v_cvt_i32_f32_e32 v29, v29
	v_cvt_i32_f32_e32 v30, v30
	;; [unrolled: 1-line block ×4, first 2 shown]
	v_cvt_f32_i32_dpp v29, v29 row_shl:1 row_mask:0xf bank_mask:0xf bound_ctrl:1
	v_cvt_f32_i32_dpp v30, v30 row_shl:2 row_mask:0xf bank_mask:0xf bound_ctrl:1
	v_cvt_i32_f32_e32 v26, v26
	v_cvt_i32_f32_e32 v27, v27
	v_cvt_f32_i32_dpp v31, v31 row_shl:3 row_mask:0xf bank_mask:0xf bound_ctrl:1
	v_add_f32_e32 v28, v28, v29
	v_add_f32_e32 v28, v28, v30
	v_cvt_f32_i32_dpp v30, v25 row_shl:1 row_mask:0xf bank_mask:0xf bound_ctrl:1
	v_cvt_f32_i32_dpp v26, v26 row_shl:2 row_mask:0xf bank_mask:0xf bound_ctrl:1
	v_cvt_f32_i32_dpp v27, v27 row_shl:3 row_mask:0xf bank_mask:0xf bound_ctrl:1
	v_add_f32_e32 v28, v28, v31
	ds_bpermute_b32 v29, v57, v28
	v_add_f32_e32 v24, v24, v30
	v_add_f32_e32 v24, v24, v26
	v_cvt_i32_f32_e32 v21, v21
	v_add_f32_e32 v24, v24, v27
	v_cvt_i32_f32_e32 v27, v22
	v_cvt_i32_f32_e32 v23, v23
	s_waitcnt lgkmcnt(0)
	v_add_f32_e32 v25, v28, v29
	v_cvt_f32_i32_dpp v28, v21 row_shl:1 row_mask:0xf bank_mask:0xf bound_ctrl:1
	v_cvt_f32_i32_dpp v27, v27 row_shl:2 row_mask:0xf bank_mask:0xf bound_ctrl:1
	;; [unrolled: 1-line block ×3, first 2 shown]
	ds_bpermute_b32 v26, v57, v24
	v_add_f32_e32 v20, v20, v28
	v_add_f32_e32 v20, v20, v27
	v_cvt_i32_f32_e32 v17, v17
	v_cvt_i32_f32_e32 v13, v13
	v_add_f32_e32 v20, v20, v23
	v_cvt_i32_f32_e32 v23, v18
	v_cvt_i32_f32_e32 v14, v14
	;; [unrolled: 1-line block ×4, first 2 shown]
	s_waitcnt lgkmcnt(0)
	v_add_f32_e32 v21, v24, v26
	v_cvt_f32_i32_dpp v26, v17 row_shl:1 row_mask:0xf bank_mask:0xf bound_ctrl:1
	v_cvt_f32_i32_dpp v13, v13 row_shl:1 row_mask:0xf bank_mask:0xf bound_ctrl:1
	;; [unrolled: 1-line block ×4, first 2 shown]
	ds_bpermute_b32 v24, v57, v20
	v_cvt_f32_i32_dpp v19, v19 row_shl:3 row_mask:0xf bank_mask:0xf bound_ctrl:1
	v_cvt_f32_i32_dpp v15, v15 row_shl:3 row_mask:0xf bank_mask:0xf bound_ctrl:1
	v_cvt_i32_f32_e32 v1, v1
	v_cvt_i32_f32_e32 v2, v2
	v_add_f32_e32 v16, v16, v26
	v_add_f32_e32 v12, v12, v13
	;; [unrolled: 1-line block ×6, first 2 shown]
	v_cvt_f32_i32_dpp v1, v1 row_shl:1 row_mask:0xf bank_mask:0xf bound_ctrl:1
	s_waitcnt lgkmcnt(0)
	v_add_f32_e32 v17, v20, v24
	ds_bpermute_b32 v19, v57, v16
	ds_bpermute_b32 v20, v57, v14
	v_cvt_f32_i32_dpp v2, v2 row_shl:2 row_mask:0xf bank_mask:0xf bound_ctrl:1
	v_cvt_i32_f32_e32 v3, v3
	v_cvt_i32_f32_e32 v23, v9
	v_add_f32_e32 v0, v0, v1
	v_add_f32_e32 v0, v0, v2
	v_cvt_f32_i32_dpp v1, v3 row_shl:3 row_mask:0xf bank_mask:0xf bound_ctrl:1
	v_cvt_i32_f32_e32 v2, v5
	s_waitcnt lgkmcnt(1)
	v_add_f32_e32 v12, v16, v19
	s_waitcnt lgkmcnt(0)
	v_add_f32_e32 v9, v14, v20
	v_cvt_f32_i32_dpp v14, v23 row_shl:1 row_mask:0xf bank_mask:0xf bound_ctrl:1
	v_cvt_i32_f32_e32 v16, v10
	v_cvt_i32_f32_e32 v3, v6
	;; [unrolled: 1-line block ×4, first 2 shown]
	v_add_f32_e32 v0, v0, v1
	v_cvt_f32_i32_dpp v1, v2 row_shl:1 row_mask:0xf bank_mask:0xf bound_ctrl:1
	v_add_f32_e32 v8, v8, v14
	v_cvt_f32_i32_dpp v14, v16 row_shl:2 row_mask:0xf bank_mask:0xf bound_ctrl:1
	v_cvt_f32_i32_dpp v2, v3 row_shl:2 row_mask:0xf bank_mask:0xf bound_ctrl:1
	;; [unrolled: 1-line block ×4, first 2 shown]
	v_add_f32_e32 v1, v4, v1
	v_add_f32_e32 v8, v8, v14
	v_add_f32_e32 v1, v1, v2
	v_add_f32_e32 v8, v8, v11
	v_add_f32_e32 v1, v1, v3
	ds_bpermute_b32 v11, v57, v8
	ds_bpermute_b32 v5, v57, v0
	;; [unrolled: 1-line block ×5, first 2 shown]
	s_waitcnt lgkmcnt(4)
	v_add_f32_e32 v7, v8, v11
	s_waitcnt lgkmcnt(3)
	v_add_f32_e32 v4, v0, v5
	;; [unrolled: 2-line block ×3, first 2 shown]
	ds_bpermute_b32 v15, v68, v17
	ds_bpermute_b32 v13, v68, v12
	;; [unrolled: 1-line block ×6, first 2 shown]
	s_and_saveexec_b64 s[24:25], s[0:1]
	s_cbranch_execz .LBB383_13
; %bb.36:                               ;   in Loop: Header=BB383_14 Depth=1
	s_andn2_b64 vcc, exec, s[14:15]
	v_mov_b32_e32 v0, 0
	v_mov_b32_e32 v23, 0
	;; [unrolled: 1-line block ×8, first 2 shown]
	s_cbranch_vccnz .LBB383_38
; %bb.37:                               ;   in Loop: Header=BB383_14 Depth=1
	v_mul_hi_u32 v0, v58, v69
	v_mul_lo_u32 v0, v0, s20
	v_sub_u32_e32 v0, v58, v0
	v_subrev_u32_e32 v1, s20, v0
	v_cmp_le_u32_e32 vcc, s20, v0
	v_mov_b32_e32 v31, v61
	v_mov_b32_e32 v33, v61
	v_cndmask_b32_e32 v0, v0, v1, vcc
	v_subrev_u32_e32 v1, s20, v0
	v_cmp_le_u32_e32 vcc, s20, v0
	v_mov_b32_e32 v35, v61
	v_mov_b32_e32 v37, v61
	v_cndmask_b32_e32 v60, v0, v1, vcc
	v_mul_hi_u32 v0, v71, v69
	v_mul_lo_u32 v0, v0, s20
	v_sub_u32_e32 v0, v71, v0
	v_subrev_u32_e32 v1, s20, v0
	v_cmp_le_u32_e32 vcc, s20, v0
	v_lshl_add_u64 v[26:27], v[60:61], 1, s[8:9]
	v_add_u32_e32 v30, s37, v60
	v_cndmask_b32_e32 v0, v0, v1, vcc
	v_subrev_u32_e32 v1, s20, v0
	v_cmp_le_u32_e32 vcc, s20, v0
	v_add_u32_e32 v34, s38, v60
	v_add_u32_e32 v60, s39, v60
	v_cndmask_b32_e32 v0, v0, v1, vcc
	v_mov_b32_e32 v1, v61
	v_add_u32_e32 v32, s37, v0
	v_add_u32_e32 v36, s38, v0
	v_lshl_add_u64 v[38:39], v[60:61], 1, s[8:9]
	v_add_u32_e32 v60, s39, v0
	v_lshl_add_u64 v[28:29], v[0:1], 1, s[8:9]
	v_lshl_add_u64 v[30:31], v[30:31], 1, s[8:9]
	;; [unrolled: 1-line block ×6, first 2 shown]
	global_load_ushort v0, v[26:27], off
	global_load_ushort v23, v[28:29], off
	;; [unrolled: 1-line block ×8, first 2 shown]
.LBB383_38:                             ;   in Loop: Header=BB383_14 Depth=1
	s_waitcnt lgkmcnt(7)
	v_add_f32_e32 v1, v25, v22
	v_mul_f32_e32 v1, s30, v1
	s_waitcnt vmcnt(7)
	v_lshlrev_b32_e32 v0, 16, v0
	v_fmac_f32_e32 v0, s31, v1
	v_and_b32_e32 v1, 0x7f800000, v0
	v_cmp_ne_u32_e32 vcc, s40, v1
                                        ; implicit-def: $vgpr22
	s_and_saveexec_b64 s[4:5], vcc
	s_xor_b64 s[4:5], exec, s[4:5]
; %bb.39:                               ;   in Loop: Header=BB383_14 Depth=1
	v_bfe_u32 v1, v0, 16, 1
	v_add3_u32 v22, v0, v1, s41
                                        ; implicit-def: $vgpr0
; %bb.40:                               ;   in Loop: Header=BB383_14 Depth=1
	s_andn2_saveexec_b64 s[4:5], s[4:5]
; %bb.41:                               ;   in Loop: Header=BB383_14 Depth=1
	v_or_b32_e32 v1, 0x10000, v0
	v_cmp_eq_u32_sdwa vcc, v0, v61 src0_sel:WORD_0 src1_sel:DWORD
	s_nop 1
	v_cndmask_b32_e32 v22, v1, v0, vcc
; %bb.42:                               ;   in Loop: Header=BB383_14 Depth=1
	s_or_b64 exec, exec, s[4:5]
	v_mov_b32_e32 v59, v61
	v_lshl_add_u64 v[0:1], v[58:59], 1, s[10:11]
	v_cmp_gt_u32_e32 vcc, s19, v71
	global_store_short_d16_hi v[0:1], v22, off
	s_and_saveexec_b64 s[26:27], vcc
	s_cbranch_execz .LBB383_48
; %bb.43:                               ;   in Loop: Header=BB383_14 Depth=1
	s_waitcnt lgkmcnt(6)
	v_add_f32_e32 v18, v21, v18
	v_mul_f32_e32 v21, s30, v18
	s_waitcnt vmcnt(7)
	v_lshlrev_b32_e32 v18, 16, v23
	v_fmac_f32_e32 v18, s31, v21
	v_and_b32_e32 v21, 0x7f800000, v18
	v_cmp_ne_u32_e64 s[4:5], s40, v21
                                        ; implicit-def: $vgpr21
	s_and_saveexec_b64 s[28:29], s[4:5]
	s_xor_b64 s[4:5], exec, s[28:29]
; %bb.44:                               ;   in Loop: Header=BB383_14 Depth=1
	v_bfe_u32 v21, v18, 16, 1
	v_add3_u32 v21, v18, v21, s41
                                        ; implicit-def: $vgpr18
; %bb.45:                               ;   in Loop: Header=BB383_14 Depth=1
	s_andn2_saveexec_b64 s[28:29], s[4:5]
; %bb.46:                               ;   in Loop: Header=BB383_14 Depth=1
	v_or_b32_e32 v21, 0x10000, v18
	v_cmp_eq_u32_sdwa s[4:5], v18, v61 src0_sel:WORD_0 src1_sel:DWORD
	s_nop 1
	v_cndmask_b32_e64 v21, v21, v18, s[4:5]
; %bb.47:                               ;   in Loop: Header=BB383_14 Depth=1
	s_or_b64 exec, exec, s[28:29]
	global_store_short_d16_hi v[0:1], v21, off offset:2
.LBB383_48:                             ;   in Loop: Header=BB383_14 Depth=1
	s_or_b64 exec, exec, s[26:27]
	s_waitcnt lgkmcnt(5)
	v_add_f32_e32 v0, v17, v15
	v_mul_f32_e32 v1, s30, v0
	s_waitcnt vmcnt(6)
	v_lshlrev_b32_e32 v0, 16, v20
	v_fmac_f32_e32 v0, s31, v1
	v_and_b32_e32 v1, 0x7f800000, v0
	v_cmp_ne_u32_e64 s[4:5], s40, v1
                                        ; implicit-def: $vgpr1
	s_and_saveexec_b64 s[26:27], s[4:5]
	s_xor_b64 s[4:5], exec, s[26:27]
; %bb.49:                               ;   in Loop: Header=BB383_14 Depth=1
	v_bfe_u32 v1, v0, 16, 1
	v_add3_u32 v1, v0, v1, s41
                                        ; implicit-def: $vgpr0
; %bb.50:                               ;   in Loop: Header=BB383_14 Depth=1
	s_andn2_saveexec_b64 s[26:27], s[4:5]
; %bb.51:                               ;   in Loop: Header=BB383_14 Depth=1
	v_or_b32_e32 v1, 0x10000, v0
	v_cmp_eq_u32_sdwa s[4:5], v0, v61 src0_sel:WORD_0 src1_sel:DWORD
	s_nop 1
	v_cndmask_b32_e64 v1, v1, v0, s[4:5]
; %bb.52:                               ;   in Loop: Header=BB383_14 Depth=1
	s_or_b64 exec, exec, s[26:27]
	v_add_u32_e32 v60, s19, v58
	v_lshl_add_u64 v[20:21], v[60:61], 1, s[10:11]
	global_store_short_d16_hi v[20:21], v1, off
	s_and_saveexec_b64 s[26:27], vcc
	s_cbranch_execz .LBB383_58
; %bb.53:                               ;   in Loop: Header=BB383_14 Depth=1
	s_waitcnt lgkmcnt(4)
	v_add_f32_e32 v0, v12, v13
	v_mul_f32_e32 v0, s30, v0
	s_waitcnt vmcnt(6)
	v_lshlrev_b32_e32 v1, 16, v19
	v_fmac_f32_e32 v1, s31, v0
	v_and_b32_e32 v0, 0x7f800000, v1
	v_cmp_ne_u32_e64 s[4:5], s40, v0
                                        ; implicit-def: $vgpr0
	s_and_saveexec_b64 s[28:29], s[4:5]
	s_xor_b64 s[4:5], exec, s[28:29]
; %bb.54:                               ;   in Loop: Header=BB383_14 Depth=1
	v_bfe_u32 v0, v1, 16, 1
	v_add3_u32 v0, v1, v0, s41
                                        ; implicit-def: $vgpr1
; %bb.55:                               ;   in Loop: Header=BB383_14 Depth=1
	s_andn2_saveexec_b64 s[28:29], s[4:5]
; %bb.56:                               ;   in Loop: Header=BB383_14 Depth=1
	v_or_b32_e32 v0, 0x10000, v1
	v_cmp_eq_u32_sdwa s[4:5], v1, v61 src0_sel:WORD_0 src1_sel:DWORD
	s_nop 1
	v_cndmask_b32_e64 v0, v0, v1, s[4:5]
; %bb.57:                               ;   in Loop: Header=BB383_14 Depth=1
	s_or_b64 exec, exec, s[28:29]
	v_add_u32_e32 v12, s19, v71
	v_mov_b32_e32 v13, v61
	v_lshl_add_u64 v[12:13], v[12:13], 1, s[10:11]
	global_store_short_d16_hi v[12:13], v0, off
.LBB383_58:                             ;   in Loop: Header=BB383_14 Depth=1
	s_or_b64 exec, exec, s[26:27]
	s_waitcnt lgkmcnt(3)
	v_add_f32_e32 v0, v9, v10
	v_mul_f32_e32 v1, s30, v0
	s_waitcnt vmcnt(5)
	v_lshlrev_b32_e32 v0, 16, v16
	v_fmac_f32_e32 v0, s31, v1
	v_and_b32_e32 v1, 0x7f800000, v0
	v_cmp_ne_u32_e64 s[4:5], s40, v1
                                        ; implicit-def: $vgpr1
	s_and_saveexec_b64 s[26:27], s[4:5]
	s_xor_b64 s[4:5], exec, s[26:27]
; %bb.59:                               ;   in Loop: Header=BB383_14 Depth=1
	v_bfe_u32 v1, v0, 16, 1
	v_add3_u32 v1, v0, v1, s41
                                        ; implicit-def: $vgpr0
; %bb.60:                               ;   in Loop: Header=BB383_14 Depth=1
	s_andn2_saveexec_b64 s[26:27], s[4:5]
; %bb.61:                               ;   in Loop: Header=BB383_14 Depth=1
	v_or_b32_e32 v1, 0x10000, v0
	v_cmp_eq_u32_sdwa s[4:5], v0, v61 src0_sel:WORD_0 src1_sel:DWORD
	s_nop 1
	v_cndmask_b32_e64 v1, v1, v0, s[4:5]
; %bb.62:                               ;   in Loop: Header=BB383_14 Depth=1
	s_or_b64 exec, exec, s[26:27]
	v_add_u32_e32 v60, s19, v60
	v_lshl_add_u64 v[12:13], v[60:61], 1, s[10:11]
	global_store_short_d16_hi v[12:13], v1, off
	s_and_saveexec_b64 s[26:27], vcc
	s_cbranch_execz .LBB383_68
; %bb.63:                               ;   in Loop: Header=BB383_14 Depth=1
	s_waitcnt lgkmcnt(2)
	v_add_f32_e32 v0, v7, v8
	v_mul_f32_e32 v0, s30, v0
	s_waitcnt vmcnt(5)
	v_lshlrev_b32_e32 v1, 16, v14
	v_fmac_f32_e32 v1, s31, v0
	v_and_b32_e32 v0, 0x7f800000, v1
	v_cmp_ne_u32_e64 s[4:5], s40, v0
                                        ; implicit-def: $vgpr0
	s_and_saveexec_b64 s[28:29], s[4:5]
	s_xor_b64 s[4:5], exec, s[28:29]
; %bb.64:                               ;   in Loop: Header=BB383_14 Depth=1
	v_bfe_u32 v0, v1, 16, 1
	v_add3_u32 v0, v1, v0, s41
                                        ; implicit-def: $vgpr1
; %bb.65:                               ;   in Loop: Header=BB383_14 Depth=1
	s_andn2_saveexec_b64 s[28:29], s[4:5]
; %bb.66:                               ;   in Loop: Header=BB383_14 Depth=1
	v_or_b32_e32 v0, 0x10000, v1
	v_cmp_eq_u32_sdwa s[4:5], v1, v61 src0_sel:WORD_0 src1_sel:DWORD
	s_nop 1
	v_cndmask_b32_e64 v0, v0, v1, s[4:5]
; %bb.67:                               ;   in Loop: Header=BB383_14 Depth=1
	s_or_b64 exec, exec, s[28:29]
	v_add_u32_e32 v8, s36, v71
	v_mov_b32_e32 v9, v61
	v_lshl_add_u64 v[8:9], v[8:9], 1, s[10:11]
	global_store_short_d16_hi v[8:9], v0, off
.LBB383_68:                             ;   in Loop: Header=BB383_14 Depth=1
	s_or_b64 exec, exec, s[26:27]
	s_waitcnt lgkmcnt(1)
	v_add_f32_e32 v0, v4, v5
	v_mul_f32_e32 v1, s30, v0
	s_waitcnt vmcnt(4)
	v_lshlrev_b32_e32 v0, 16, v11
	v_fmac_f32_e32 v0, s31, v1
	v_and_b32_e32 v1, 0x7f800000, v0
	v_cmp_ne_u32_e64 s[4:5], s40, v1
                                        ; implicit-def: $vgpr1
	s_and_saveexec_b64 s[26:27], s[4:5]
	s_xor_b64 s[4:5], exec, s[26:27]
; %bb.69:                               ;   in Loop: Header=BB383_14 Depth=1
	v_bfe_u32 v1, v0, 16, 1
	v_add3_u32 v1, v0, v1, s41
                                        ; implicit-def: $vgpr0
; %bb.70:                               ;   in Loop: Header=BB383_14 Depth=1
	s_andn2_saveexec_b64 s[26:27], s[4:5]
; %bb.71:                               ;   in Loop: Header=BB383_14 Depth=1
	v_or_b32_e32 v1, 0x10000, v0
	v_cmp_eq_u32_sdwa s[4:5], v0, v61 src0_sel:WORD_0 src1_sel:DWORD
	s_nop 1
	v_cndmask_b32_e64 v1, v1, v0, s[4:5]
; %bb.72:                               ;   in Loop: Header=BB383_14 Depth=1
	s_or_b64 exec, exec, s[26:27]
	v_add_u32_e32 v60, s19, v60
	v_lshl_add_u64 v[4:5], v[60:61], 1, s[10:11]
	global_store_short_d16_hi v[4:5], v1, off
	s_and_b64 exec, exec, vcc
	s_cbranch_execz .LBB383_13
; %bb.73:                               ;   in Loop: Header=BB383_14 Depth=1
	s_waitcnt lgkmcnt(0)
	v_add_f32_e32 v0, v2, v3
	v_mul_f32_e32 v0, s30, v0
	s_waitcnt vmcnt(4)
	v_lshlrev_b32_e32 v1, 16, v6
	v_fmac_f32_e32 v1, s31, v0
	v_and_b32_e32 v0, 0x7f800000, v1
	v_cmp_ne_u32_e32 vcc, s40, v0
                                        ; implicit-def: $vgpr0
	s_and_saveexec_b64 s[4:5], vcc
	s_xor_b64 s[4:5], exec, s[4:5]
; %bb.74:                               ;   in Loop: Header=BB383_14 Depth=1
	v_bfe_u32 v0, v1, 16, 1
	v_add3_u32 v0, v1, v0, s41
                                        ; implicit-def: $vgpr1
; %bb.75:                               ;   in Loop: Header=BB383_14 Depth=1
	s_andn2_saveexec_b64 s[4:5], s[4:5]
	s_cbranch_execz .LBB383_12
; %bb.76:                               ;   in Loop: Header=BB383_14 Depth=1
	v_or_b32_e32 v0, 0x10000, v1
	v_cmp_eq_u32_sdwa vcc, v1, v61 src0_sel:WORD_0 src1_sel:DWORD
	s_nop 1
	v_cndmask_b32_e32 v0, v0, v1, vcc
	s_branch .LBB383_12
.LBB383_77:
	s_endpgm
	.section	.rodata,"a",@progbits
	.p2align	6, 0x0
	.amdhsa_kernel _Z13wvSplitKQ_hf_I14__hip_bfloat16N3c1013Float8_e4m3fnELi32ELi2ELi16ELi16ELi1ELi4EEviiiiiiPKT0_S5_PKT_PS6_PKfSB_ii
		.amdhsa_group_segment_fixed_size 65536
		.amdhsa_private_segment_fixed_size 0
		.amdhsa_kernarg_size 80
		.amdhsa_user_sgpr_count 2
		.amdhsa_user_sgpr_dispatch_ptr 0
		.amdhsa_user_sgpr_queue_ptr 0
		.amdhsa_user_sgpr_kernarg_segment_ptr 1
		.amdhsa_user_sgpr_dispatch_id 0
		.amdhsa_user_sgpr_kernarg_preload_length 0
		.amdhsa_user_sgpr_kernarg_preload_offset 0
		.amdhsa_user_sgpr_private_segment_size 0
		.amdhsa_uses_dynamic_stack 0
		.amdhsa_enable_private_segment 0
		.amdhsa_system_sgpr_workgroup_id_x 1
		.amdhsa_system_sgpr_workgroup_id_y 0
		.amdhsa_system_sgpr_workgroup_id_z 0
		.amdhsa_system_sgpr_workgroup_info 0
		.amdhsa_system_vgpr_workitem_id 1
		.amdhsa_next_free_vgpr 72
		.amdhsa_next_free_sgpr 42
		.amdhsa_accum_offset 72
		.amdhsa_reserve_vcc 1
		.amdhsa_float_round_mode_32 0
		.amdhsa_float_round_mode_16_64 0
		.amdhsa_float_denorm_mode_32 3
		.amdhsa_float_denorm_mode_16_64 3
		.amdhsa_dx10_clamp 1
		.amdhsa_ieee_mode 1
		.amdhsa_fp16_overflow 0
		.amdhsa_tg_split 0
		.amdhsa_exception_fp_ieee_invalid_op 0
		.amdhsa_exception_fp_denorm_src 0
		.amdhsa_exception_fp_ieee_div_zero 0
		.amdhsa_exception_fp_ieee_overflow 0
		.amdhsa_exception_fp_ieee_underflow 0
		.amdhsa_exception_fp_ieee_inexact 0
		.amdhsa_exception_int_div_zero 0
	.end_amdhsa_kernel
	.section	.text._Z13wvSplitKQ_hf_I14__hip_bfloat16N3c1013Float8_e4m3fnELi32ELi2ELi16ELi16ELi1ELi4EEviiiiiiPKT0_S5_PKT_PS6_PKfSB_ii,"axG",@progbits,_Z13wvSplitKQ_hf_I14__hip_bfloat16N3c1013Float8_e4m3fnELi32ELi2ELi16ELi16ELi1ELi4EEviiiiiiPKT0_S5_PKT_PS6_PKfSB_ii,comdat
.Lfunc_end383:
	.size	_Z13wvSplitKQ_hf_I14__hip_bfloat16N3c1013Float8_e4m3fnELi32ELi2ELi16ELi16ELi1ELi4EEviiiiiiPKT0_S5_PKT_PS6_PKfSB_ii, .Lfunc_end383-_Z13wvSplitKQ_hf_I14__hip_bfloat16N3c1013Float8_e4m3fnELi32ELi2ELi16ELi16ELi1ELi4EEviiiiiiPKT0_S5_PKT_PS6_PKfSB_ii
                                        ; -- End function
	.section	.AMDGPU.csdata,"",@progbits
; Kernel info:
; codeLenInByte = 3676
; NumSgprs: 48
; NumVgprs: 72
; NumAgprs: 0
; TotalNumVgprs: 72
; ScratchSize: 0
; MemoryBound: 1
; FloatMode: 240
; IeeeMode: 1
; LDSByteSize: 65536 bytes/workgroup (compile time only)
; SGPRBlocks: 5
; VGPRBlocks: 8
; NumSGPRsForWavesPerEU: 48
; NumVGPRsForWavesPerEU: 72
; AccumOffset: 72
; Occupancy: 2
; WaveLimiterHint : 0
; COMPUTE_PGM_RSRC2:SCRATCH_EN: 0
; COMPUTE_PGM_RSRC2:USER_SGPR: 2
; COMPUTE_PGM_RSRC2:TRAP_HANDLER: 0
; COMPUTE_PGM_RSRC2:TGID_X_EN: 1
; COMPUTE_PGM_RSRC2:TGID_Y_EN: 0
; COMPUTE_PGM_RSRC2:TGID_Z_EN: 0
; COMPUTE_PGM_RSRC2:TIDIG_COMP_CNT: 1
; COMPUTE_PGM_RSRC3_GFX90A:ACCUM_OFFSET: 17
; COMPUTE_PGM_RSRC3_GFX90A:TG_SPLIT: 0
	.section	.text._Z17wvSplitKQ_hf_sml_I14__hip_bfloat16N3c1013Float8_e4m3fnELi64ELi2ELi16ELi16ELi1ELi4EEviiiiiiPKT0_S5_PKT_PS6_PKfSB_ii,"axG",@progbits,_Z17wvSplitKQ_hf_sml_I14__hip_bfloat16N3c1013Float8_e4m3fnELi64ELi2ELi16ELi16ELi1ELi4EEviiiiiiPKT0_S5_PKT_PS6_PKfSB_ii,comdat
	.protected	_Z17wvSplitKQ_hf_sml_I14__hip_bfloat16N3c1013Float8_e4m3fnELi64ELi2ELi16ELi16ELi1ELi4EEviiiiiiPKT0_S5_PKT_PS6_PKfSB_ii ; -- Begin function _Z17wvSplitKQ_hf_sml_I14__hip_bfloat16N3c1013Float8_e4m3fnELi64ELi2ELi16ELi16ELi1ELi4EEviiiiiiPKT0_S5_PKT_PS6_PKfSB_ii
	.globl	_Z17wvSplitKQ_hf_sml_I14__hip_bfloat16N3c1013Float8_e4m3fnELi64ELi2ELi16ELi16ELi1ELi4EEviiiiiiPKT0_S5_PKT_PS6_PKfSB_ii
	.p2align	8
	.type	_Z17wvSplitKQ_hf_sml_I14__hip_bfloat16N3c1013Float8_e4m3fnELi64ELi2ELi16ELi16ELi1ELi4EEviiiiiiPKT0_S5_PKT_PS6_PKfSB_ii,@function
_Z17wvSplitKQ_hf_sml_I14__hip_bfloat16N3c1013Float8_e4m3fnELi64ELi2ELi16ELi16ELi1ELi4EEviiiiiiPKT0_S5_PKT_PS6_PKfSB_ii: ; @_Z17wvSplitKQ_hf_sml_I14__hip_bfloat16N3c1013Float8_e4m3fnELi64ELi2ELi16ELi16ELi1ELi4EEviiiiiiPKT0_S5_PKT_PS6_PKfSB_ii
; %bb.0:
	s_load_dwordx4 s[8:11], s[0:1], 0x0
	s_load_dwordx2 s[12:13], s[0:1], 0x10
	s_load_dwordx4 s[4:7], s[0:1], 0x38
	s_load_dwordx2 s[14:15], s[0:1], 0x28
	v_and_b32_e32 v2, 0x3ff, v0
	v_bfe_u32 v3, v0, 10, 10
	v_lshlrev_b32_e32 v56, 4, v2
	s_waitcnt lgkmcnt(0)
	s_lshl_b32 s3, s9, 2
	v_lshl_add_u32 v4, v3, 10, v56
	s_min_u32 s3, s3, 0x10000
	v_cmp_gt_u32_e32 vcc, s3, v4
	s_and_saveexec_b64 s[16:17], vcc
	s_cbranch_execz .LBB384_3
; %bb.1:
	s_load_dwordx2 s[18:19], s[0:1], 0x20
	v_mov_b32_e32 v1, 0
	v_lshlrev_b32_e32 v0, 10, v3
	v_mov_b32_e32 v57, v1
	v_lshl_add_u64 v[0:1], v[0:1], 0, v[56:57]
	s_waitcnt lgkmcnt(0)
	v_lshl_add_u64 v[0:1], s[18:19], 0, v[0:1]
	s_mov_b64 s[18:19], 0
	s_mov_b64 s[20:21], 0x4000
.LBB384_2:                              ; =>This Inner Loop Header: Depth=1
	global_load_dwordx4 v[6:9], v[0:1], off
	v_lshl_add_u64 v[0:1], v[0:1], 0, s[20:21]
	s_waitcnt vmcnt(0)
	ds_write_b128 v4, v[6:9]
	v_add_u32_e32 v4, 0x4000, v4
	v_cmp_le_u32_e32 vcc, s3, v4
	s_or_b64 s[18:19], vcc, s[18:19]
	s_andn2_b64 exec, exec, s[18:19]
	s_cbranch_execnz .LBB384_2
.LBB384_3:
	s_or_b64 exec, exec, s[16:17]
	s_load_dwordx2 s[20:21], s[0:1], 0x48
	;;#ASMSTART
	s_waitcnt vmcnt(0)
	;;#ASMEND
	s_waitcnt lgkmcnt(0)
	s_barrier
	v_cmp_gt_u32_e32 vcc, s20, v3
	s_and_saveexec_b64 s[16:17], vcc
	s_cbranch_execz .LBB384_55
; %bb.4:
	s_mul_i32 s2, s2, s20
	v_add_lshl_u32 v58, s2, v3, 1
	v_cmp_gt_u32_e32 vcc, s11, v58
	s_and_b64 exec, exec, vcc
	s_cbranch_execz .LBB384_55
; %bb.5:
	v_mbcnt_lo_u32_b32 v0, -1, 0
	v_mbcnt_hi_u32_b32 v0, -1, v0
	s_cmp_lg_u32 s8, 0
	v_and_b32_e32 v1, 63, v0
	s_cselect_b64 s[2:3], -1, 0
	s_add_i32 s30, s8, -16
	s_add_i32 s31, s11, -1
	v_cmp_lt_u32_e32 vcc, 43, v1
	s_load_dword s28, s[4:5], 0x0
	s_load_dword s29, s[6:7], 0x0
	s_load_dwordx2 s[16:17], s[0:1], 0x18
	s_load_dwordx2 s[18:19], s[0:1], 0x30
	s_mul_i32 s4, s20, s21
	v_cndmask_b32_e64 v3, 20, 0, vcc
	v_cmp_lt_u32_e32 vcc, 23, v1
	s_cmp_lg_u64 s[14:15], 0
	s_cselect_b64 s[20:21], -1, 0
	v_cndmask_b32_e64 v1, 40, 0, vcc
	s_lshl_b32 s33, s4, 1
	s_abs_i32 s4, s13
	v_add_lshl_u32 v57, v3, v0, 2
	v_add_lshl_u32 v68, v1, v0, 2
	v_cvt_f32_u32_e32 v0, s12
	v_cvt_f32_u32_e32 v1, s4
	s_sub_i32 s5, 0, s12
	v_cmp_eq_u32_e64 s[0:1], 0, v2
	v_rcp_iflag_f32_e32 v0, v0
	v_rcp_iflag_f32_e32 v1, v1
	s_lshl_b32 s34, s11, 1
	s_mov_b64 s[6:7], 0
	v_mul_f32_e32 v0, 0x4f7ffffe, v0
	v_mul_f32_e32 v1, 0x4f7ffffe, v1
	v_cvt_u32_f32_e32 v0, v0
	v_cvt_u32_f32_e32 v1, v1
	s_mul_i32 s13, s11, 3
	v_mov_b32_e32 v61, 0
	v_mul_lo_u32 v2, s5, v0
	s_sub_i32 s5, 0, s4
	v_readfirstlane_b32 s22, v1
	s_mul_i32 s5, s5, s22
	s_mul_hi_u32 s5, s22, s5
	s_add_i32 s22, s22, s5
	s_sub_i32 s5, 1, s4
	s_cmp_lt_u32 s4, 2
	s_cselect_b32 s5, s5, 1
	s_sub_i32 s23, s5, s4
	s_cmp_ge_u32 s5, s4
	s_cselect_b32 s35, s23, s5
	s_lshr_b32 s5, s22, 31
	s_mul_i32 s5, s5, s4
	s_sub_i32 s5, 2, s5
	s_sub_i32 s23, s5, s4
	s_cmp_ge_u32 s5, s4
	s_cselect_b32 s5, s23, s5
	s_sub_i32 s23, s5, s4
	s_cmp_ge_u32 s5, s4
	s_cselect_b32 s36, s23, s5
	s_mul_hi_u32 s5, s22, 3
	s_mul_i32 s5, s5, s4
	s_sub_i32 s5, 3, s5
	s_sub_i32 s22, s5, s4
	s_cmp_ge_u32 s5, s4
	s_cselect_b32 s5, s22, s5
	s_sub_i32 s22, s5, s4
	v_mul_hi_u32 v2, v0, v2
	s_cmp_ge_u32 s5, s4
	v_add_u32_e32 v69, v0, v2
	s_cselect_b32 s37, s22, s5
	v_mad_u64_u32 v[62:63], s[4:5], s9, 3, v[56:57]
	v_cndmask_b32_e64 v0, 0, 1, s[2:3]
	s_mul_i32 s35, s35, s12
	s_mul_i32 s36, s36, s12
	;; [unrolled: 1-line block ×3, first 2 shown]
	v_lshl_add_u32 v63, s9, 1, v56
	v_add_u32_e32 v70, s9, v56
	v_cmp_ne_u32_e64 s[2:3], 1, v0
	s_mov_b32 s9, 0x7f800000
	s_movk_i32 s38, 0x7fff
	s_branch .LBB384_8
.LBB384_6:                              ;   in Loop: Header=BB384_8 Depth=1
	s_or_b64 exec, exec, s[4:5]
	v_add_u32_e32 v60, s13, v71
	v_lshl_add_u64 v[2:3], v[60:61], 1, s[18:19]
	global_store_short_d16_hi v[2:3], v0, off
.LBB384_7:                              ;   in Loop: Header=BB384_8 Depth=1
	s_or_b64 exec, exec, s[22:23]
	v_add_u32_e32 v58, s33, v58
	v_cmp_le_u32_e32 vcc, s11, v58
	s_or_b64 s[6:7], vcc, s[6:7]
	s_andn2_b64 exec, exec, s[6:7]
	s_cbranch_execz .LBB384_55
.LBB384_8:                              ; =>This Loop Header: Depth=1
                                        ;     Child Loop BB384_11 Depth 2
	s_and_b64 vcc, exec, s[2:3]
	v_or_b32_e32 v71, 1, v58
	v_mov_b32_e32 v31, v61
	v_mov_b32_e32 v30, v61
	;; [unrolled: 1-line block ×9, first 2 shown]
	s_waitcnt lgkmcnt(0)
	v_mov_b32_e32 v22, v61
	v_mov_b32_e32 v21, v61
	;; [unrolled: 1-line block ×20, first 2 shown]
	s_waitcnt vmcnt(4)
	v_mov_b32_e32 v6, v61
	v_mov_b32_e32 v5, v61
	;; [unrolled: 1-line block ×3, first 2 shown]
	s_cbranch_vccnz .LBB384_13
; %bb.9:                                ;   in Loop: Header=BB384_8 Depth=1
	v_min_u32_e32 v0, s31, v58
	v_mul_lo_u32 v64, v0, s10
	v_min_u32_e32 v0, s31, v71
	v_mov_b32_e32 v4, 0
	v_mov_b32_e32 v65, v61
	v_mul_lo_u32 v66, v0, s10
	v_mov_b32_e32 v67, v61
	s_mov_b32 s22, 0
	v_mov_b32_e32 v5, v4
	v_mov_b32_e32 v6, v4
	v_mov_b32_e32 v7, v4
	v_mov_b32_e32 v0, v4
	v_mov_b32_e32 v1, v4
	v_mov_b32_e32 v2, v4
	v_mov_b32_e32 v3, v4
	v_mov_b32_e32 v8, v4
	v_mov_b32_e32 v9, v4
	v_mov_b32_e32 v10, v4
	v_mov_b32_e32 v11, v4
	v_mov_b32_e32 v12, v4
	v_mov_b32_e32 v13, v4
	v_mov_b32_e32 v14, v4
	v_mov_b32_e32 v15, v4
	v_mov_b32_e32 v16, v4
	v_mov_b32_e32 v17, v4
	v_mov_b32_e32 v18, v4
	v_mov_b32_e32 v19, v4
	v_mov_b32_e32 v20, v4
	v_mov_b32_e32 v21, v4
	v_mov_b32_e32 v22, v4
	v_mov_b32_e32 v23, v4
	v_mov_b32_e32 v24, v4
	v_mov_b32_e32 v25, v4
	v_mov_b32_e32 v26, v4
	v_mov_b32_e32 v27, v4
	v_mov_b32_e32 v28, v4
	v_mov_b32_e32 v29, v4
	v_mov_b32_e32 v30, v4
	v_mov_b32_e32 v31, v4
	s_branch .LBB384_11
.LBB384_10:                             ;   in Loop: Header=BB384_11 Depth=2
	s_or_b64 exec, exec, s[4:5]
	s_waitcnt vmcnt(1) lgkmcnt(3)
	v_mfma_f32_16x16x32_fp8_fp8 v[28:31], v[44:45], v[36:37], v[28:31]
	s_addk_i32 s22, 0x400
	s_cmp_ge_u32 s22, s8
	s_waitcnt vmcnt(0)
	v_mfma_f32_16x16x32_fp8_fp8 v[24:27], v[44:45], v[32:33], v[24:27]
	s_waitcnt lgkmcnt(2)
	v_mfma_f32_16x16x32_fp8_fp8 v[20:23], v[48:49], v[36:37], v[20:23]
	v_mfma_f32_16x16x32_fp8_fp8 v[16:19], v[48:49], v[32:33], v[16:19]
	s_waitcnt lgkmcnt(1)
	v_mfma_f32_16x16x32_fp8_fp8 v[12:15], v[52:53], v[36:37], v[12:15]
	;; [unrolled: 3-line block ×3, first 2 shown]
	v_mfma_f32_16x16x32_fp8_fp8 v[4:7], v[40:41], v[32:33], v[4:7]
	v_mfma_f32_16x16x32_fp8_fp8 v[28:31], v[46:47], v[38:39], v[28:31]
	;; [unrolled: 1-line block ×9, first 2 shown]
	s_cbranch_scc1 .LBB384_13
.LBB384_11:                             ;   Parent Loop BB384_8 Depth=1
                                        ; =>  This Inner Loop Header: Depth=2
	v_add_u32_e32 v59, s22, v56
	v_min_u32_e32 v60, s30, v59
	s_waitcnt lgkmcnt(0)
	v_lshl_add_u64 v[32:33], s[16:17], 0, v[60:61]
	v_lshl_add_u64 v[40:41], v[32:33], 0, v[64:65]
	;; [unrolled: 1-line block ×3, first 2 shown]
	global_load_dwordx4 v[36:39], v[40:41], off nt
	global_load_dwordx4 v[32:35], v[42:43], off nt
	v_mov_b64_e32 v[44:45], 0
	v_cmp_gt_u32_e32 vcc, s8, v59
	v_mov_b64_e32 v[46:47], v[44:45]
	v_mov_b64_e32 v[48:49], v[44:45]
	;; [unrolled: 1-line block ×7, first 2 shown]
	s_and_saveexec_b64 s[4:5], vcc
	s_cbranch_execz .LBB384_10
; %bb.12:                               ;   in Loop: Header=BB384_11 Depth=2
	v_add_u32_e32 v40, s22, v70
	ds_read_b128 v[44:47], v59
	ds_read_b128 v[48:51], v40
	v_add_u32_e32 v40, s22, v63
	v_add_u32_e32 v41, s22, v62
	ds_read_b128 v[52:55], v40
	ds_read_b128 v[40:43], v41
	s_branch .LBB384_10
.LBB384_13:                             ;   in Loop: Header=BB384_8 Depth=1
	v_cvt_i32_f32_e32 v29, v29
	v_cvt_i32_f32_e32 v30, v30
	v_cvt_i32_f32_e32 v31, v31
	v_cvt_i32_f32_e32 v25, v25
	v_cvt_f32_i32_dpp v29, v29 row_shl:1 row_mask:0xf bank_mask:0xf bound_ctrl:1
	v_cvt_f32_i32_dpp v30, v30 row_shl:2 row_mask:0xf bank_mask:0xf bound_ctrl:1
	v_cvt_i32_f32_e32 v26, v26
	v_cvt_i32_f32_e32 v27, v27
	v_cvt_f32_i32_dpp v31, v31 row_shl:3 row_mask:0xf bank_mask:0xf bound_ctrl:1
	v_add_f32_e32 v28, v28, v29
	v_add_f32_e32 v28, v28, v30
	v_cvt_f32_i32_dpp v30, v25 row_shl:1 row_mask:0xf bank_mask:0xf bound_ctrl:1
	v_cvt_f32_i32_dpp v26, v26 row_shl:2 row_mask:0xf bank_mask:0xf bound_ctrl:1
	;; [unrolled: 1-line block ×3, first 2 shown]
	v_add_f32_e32 v28, v28, v31
	ds_bpermute_b32 v29, v57, v28
	v_add_f32_e32 v24, v24, v30
	v_add_f32_e32 v24, v24, v26
	v_cvt_i32_f32_e32 v21, v21
	v_add_f32_e32 v24, v24, v27
	v_cvt_i32_f32_e32 v27, v22
	v_cvt_i32_f32_e32 v23, v23
	s_waitcnt lgkmcnt(0)
	v_add_f32_e32 v25, v28, v29
	v_cvt_f32_i32_dpp v28, v21 row_shl:1 row_mask:0xf bank_mask:0xf bound_ctrl:1
	v_cvt_f32_i32_dpp v27, v27 row_shl:2 row_mask:0xf bank_mask:0xf bound_ctrl:1
	;; [unrolled: 1-line block ×3, first 2 shown]
	ds_bpermute_b32 v26, v57, v24
	v_add_f32_e32 v20, v20, v28
	v_add_f32_e32 v20, v20, v27
	v_cvt_i32_f32_e32 v17, v17
	v_cvt_i32_f32_e32 v13, v13
	v_add_f32_e32 v20, v20, v23
	v_cvt_i32_f32_e32 v23, v18
	v_cvt_i32_f32_e32 v14, v14
	;; [unrolled: 1-line block ×4, first 2 shown]
	s_waitcnt lgkmcnt(0)
	v_add_f32_e32 v21, v24, v26
	v_cvt_f32_i32_dpp v26, v17 row_shl:1 row_mask:0xf bank_mask:0xf bound_ctrl:1
	v_cvt_f32_i32_dpp v13, v13 row_shl:1 row_mask:0xf bank_mask:0xf bound_ctrl:1
	;; [unrolled: 1-line block ×4, first 2 shown]
	ds_bpermute_b32 v24, v57, v20
	v_cvt_f32_i32_dpp v19, v19 row_shl:3 row_mask:0xf bank_mask:0xf bound_ctrl:1
	v_cvt_f32_i32_dpp v15, v15 row_shl:3 row_mask:0xf bank_mask:0xf bound_ctrl:1
	v_cvt_i32_f32_e32 v1, v1
	v_cvt_i32_f32_e32 v2, v2
	v_add_f32_e32 v16, v16, v26
	v_add_f32_e32 v12, v12, v13
	;; [unrolled: 1-line block ×6, first 2 shown]
	v_cvt_f32_i32_dpp v1, v1 row_shl:1 row_mask:0xf bank_mask:0xf bound_ctrl:1
	s_waitcnt lgkmcnt(0)
	v_add_f32_e32 v17, v20, v24
	ds_bpermute_b32 v19, v57, v16
	ds_bpermute_b32 v20, v57, v14
	v_cvt_f32_i32_dpp v2, v2 row_shl:2 row_mask:0xf bank_mask:0xf bound_ctrl:1
	v_cvt_i32_f32_e32 v3, v3
	v_cvt_i32_f32_e32 v23, v9
	v_add_f32_e32 v0, v0, v1
	v_add_f32_e32 v0, v0, v2
	v_cvt_f32_i32_dpp v1, v3 row_shl:3 row_mask:0xf bank_mask:0xf bound_ctrl:1
	v_cvt_i32_f32_e32 v2, v5
	s_waitcnt lgkmcnt(1)
	v_add_f32_e32 v12, v16, v19
	s_waitcnt lgkmcnt(0)
	v_add_f32_e32 v9, v14, v20
	v_cvt_f32_i32_dpp v14, v23 row_shl:1 row_mask:0xf bank_mask:0xf bound_ctrl:1
	v_cvt_i32_f32_e32 v16, v10
	v_cvt_i32_f32_e32 v3, v6
	;; [unrolled: 1-line block ×4, first 2 shown]
	v_add_f32_e32 v0, v0, v1
	v_cvt_f32_i32_dpp v1, v2 row_shl:1 row_mask:0xf bank_mask:0xf bound_ctrl:1
	v_add_f32_e32 v8, v8, v14
	v_cvt_f32_i32_dpp v14, v16 row_shl:2 row_mask:0xf bank_mask:0xf bound_ctrl:1
	v_cvt_f32_i32_dpp v2, v3 row_shl:2 row_mask:0xf bank_mask:0xf bound_ctrl:1
	;; [unrolled: 1-line block ×4, first 2 shown]
	v_add_f32_e32 v1, v4, v1
	v_add_f32_e32 v8, v8, v14
	;; [unrolled: 1-line block ×5, first 2 shown]
	ds_bpermute_b32 v11, v57, v8
	ds_bpermute_b32 v5, v57, v0
	;; [unrolled: 1-line block ×5, first 2 shown]
	s_waitcnt lgkmcnt(4)
	v_add_f32_e32 v7, v8, v11
	s_waitcnt lgkmcnt(3)
	v_add_f32_e32 v4, v0, v5
	;; [unrolled: 2-line block ×3, first 2 shown]
	ds_bpermute_b32 v15, v68, v17
	ds_bpermute_b32 v13, v68, v12
	;; [unrolled: 1-line block ×6, first 2 shown]
	s_and_saveexec_b64 s[22:23], s[0:1]
	s_cbranch_execz .LBB384_7
; %bb.14:                               ;   in Loop: Header=BB384_8 Depth=1
	s_andn2_b64 vcc, exec, s[20:21]
	v_mov_b32_e32 v0, 0
	v_mov_b32_e32 v23, 0
	;; [unrolled: 1-line block ×8, first 2 shown]
	s_cbranch_vccnz .LBB384_16
; %bb.15:                               ;   in Loop: Header=BB384_8 Depth=1
	v_mul_hi_u32 v0, v58, v69
	v_mul_lo_u32 v0, v0, s12
	v_sub_u32_e32 v0, v58, v0
	v_subrev_u32_e32 v1, s12, v0
	v_cmp_le_u32_e32 vcc, s12, v0
	v_mov_b32_e32 v31, v61
	v_mov_b32_e32 v33, v61
	v_cndmask_b32_e32 v0, v0, v1, vcc
	v_subrev_u32_e32 v1, s12, v0
	v_cmp_le_u32_e32 vcc, s12, v0
	v_mov_b32_e32 v35, v61
	v_mov_b32_e32 v37, v61
	v_cndmask_b32_e32 v60, v0, v1, vcc
	v_mul_hi_u32 v0, v71, v69
	v_mul_lo_u32 v0, v0, s12
	v_sub_u32_e32 v0, v71, v0
	v_subrev_u32_e32 v1, s12, v0
	v_cmp_le_u32_e32 vcc, s12, v0
	v_lshl_add_u64 v[26:27], v[60:61], 1, s[14:15]
	v_add_u32_e32 v30, s35, v60
	v_cndmask_b32_e32 v0, v0, v1, vcc
	v_subrev_u32_e32 v1, s12, v0
	v_cmp_le_u32_e32 vcc, s12, v0
	v_add_u32_e32 v34, s36, v60
	v_add_u32_e32 v60, s37, v60
	v_cndmask_b32_e32 v0, v0, v1, vcc
	v_mov_b32_e32 v1, v61
	v_add_u32_e32 v32, s35, v0
	v_add_u32_e32 v36, s36, v0
	v_lshl_add_u64 v[38:39], v[60:61], 1, s[14:15]
	v_add_u32_e32 v60, s37, v0
	v_lshl_add_u64 v[28:29], v[0:1], 1, s[14:15]
	v_lshl_add_u64 v[30:31], v[30:31], 1, s[14:15]
	;; [unrolled: 1-line block ×6, first 2 shown]
	global_load_ushort v0, v[26:27], off
	global_load_ushort v23, v[28:29], off
	;; [unrolled: 1-line block ×8, first 2 shown]
.LBB384_16:                             ;   in Loop: Header=BB384_8 Depth=1
	s_waitcnt lgkmcnt(7)
	v_add_f32_e32 v1, v25, v22
	v_mul_f32_e32 v1, s28, v1
	s_waitcnt vmcnt(7)
	v_lshlrev_b32_e32 v0, 16, v0
	v_fmac_f32_e32 v0, s29, v1
	v_and_b32_e32 v1, 0x7f800000, v0
	v_cmp_ne_u32_e32 vcc, s9, v1
                                        ; implicit-def: $vgpr22
	s_and_saveexec_b64 s[4:5], vcc
	s_xor_b64 s[4:5], exec, s[4:5]
; %bb.17:                               ;   in Loop: Header=BB384_8 Depth=1
	v_bfe_u32 v1, v0, 16, 1
	v_add3_u32 v22, v0, v1, s38
                                        ; implicit-def: $vgpr0
; %bb.18:                               ;   in Loop: Header=BB384_8 Depth=1
	s_andn2_saveexec_b64 s[4:5], s[4:5]
; %bb.19:                               ;   in Loop: Header=BB384_8 Depth=1
	v_or_b32_e32 v1, 0x10000, v0
	v_cmp_eq_u32_sdwa vcc, v0, v61 src0_sel:WORD_0 src1_sel:DWORD
	s_nop 1
	v_cndmask_b32_e32 v22, v1, v0, vcc
; %bb.20:                               ;   in Loop: Header=BB384_8 Depth=1
	s_or_b64 exec, exec, s[4:5]
	v_mov_b32_e32 v59, v61
	v_lshl_add_u64 v[0:1], v[58:59], 1, s[18:19]
	v_cmp_gt_u32_e32 vcc, s11, v71
	global_store_short_d16_hi v[0:1], v22, off
	s_and_saveexec_b64 s[24:25], vcc
	s_cbranch_execz .LBB384_26
; %bb.21:                               ;   in Loop: Header=BB384_8 Depth=1
	s_waitcnt lgkmcnt(6)
	v_add_f32_e32 v18, v21, v18
	v_mul_f32_e32 v21, s28, v18
	s_waitcnt vmcnt(7)
	v_lshlrev_b32_e32 v18, 16, v23
	v_fmac_f32_e32 v18, s29, v21
	v_and_b32_e32 v21, 0x7f800000, v18
	v_cmp_ne_u32_e64 s[4:5], s9, v21
                                        ; implicit-def: $vgpr21
	s_and_saveexec_b64 s[26:27], s[4:5]
	s_xor_b64 s[4:5], exec, s[26:27]
; %bb.22:                               ;   in Loop: Header=BB384_8 Depth=1
	v_bfe_u32 v21, v18, 16, 1
	v_add3_u32 v21, v18, v21, s38
                                        ; implicit-def: $vgpr18
; %bb.23:                               ;   in Loop: Header=BB384_8 Depth=1
	s_andn2_saveexec_b64 s[26:27], s[4:5]
; %bb.24:                               ;   in Loop: Header=BB384_8 Depth=1
	v_or_b32_e32 v21, 0x10000, v18
	v_cmp_eq_u32_sdwa s[4:5], v18, v61 src0_sel:WORD_0 src1_sel:DWORD
	s_nop 1
	v_cndmask_b32_e64 v21, v21, v18, s[4:5]
; %bb.25:                               ;   in Loop: Header=BB384_8 Depth=1
	s_or_b64 exec, exec, s[26:27]
	global_store_short_d16_hi v[0:1], v21, off offset:2
.LBB384_26:                             ;   in Loop: Header=BB384_8 Depth=1
	s_or_b64 exec, exec, s[24:25]
	s_waitcnt lgkmcnt(5)
	v_add_f32_e32 v0, v17, v15
	v_mul_f32_e32 v1, s28, v0
	s_waitcnt vmcnt(6)
	v_lshlrev_b32_e32 v0, 16, v20
	v_fmac_f32_e32 v0, s29, v1
	v_and_b32_e32 v1, 0x7f800000, v0
	v_cmp_ne_u32_e64 s[4:5], s9, v1
                                        ; implicit-def: $vgpr1
	s_and_saveexec_b64 s[24:25], s[4:5]
	s_xor_b64 s[4:5], exec, s[24:25]
; %bb.27:                               ;   in Loop: Header=BB384_8 Depth=1
	v_bfe_u32 v1, v0, 16, 1
	v_add3_u32 v1, v0, v1, s38
                                        ; implicit-def: $vgpr0
; %bb.28:                               ;   in Loop: Header=BB384_8 Depth=1
	s_andn2_saveexec_b64 s[24:25], s[4:5]
; %bb.29:                               ;   in Loop: Header=BB384_8 Depth=1
	v_or_b32_e32 v1, 0x10000, v0
	v_cmp_eq_u32_sdwa s[4:5], v0, v61 src0_sel:WORD_0 src1_sel:DWORD
	s_nop 1
	v_cndmask_b32_e64 v1, v1, v0, s[4:5]
; %bb.30:                               ;   in Loop: Header=BB384_8 Depth=1
	s_or_b64 exec, exec, s[24:25]
	v_add_u32_e32 v60, s11, v58
	v_lshl_add_u64 v[20:21], v[60:61], 1, s[18:19]
	global_store_short_d16_hi v[20:21], v1, off
	s_and_saveexec_b64 s[24:25], vcc
	s_cbranch_execz .LBB384_36
; %bb.31:                               ;   in Loop: Header=BB384_8 Depth=1
	s_waitcnt lgkmcnt(4)
	v_add_f32_e32 v0, v12, v13
	v_mul_f32_e32 v0, s28, v0
	s_waitcnt vmcnt(6)
	v_lshlrev_b32_e32 v1, 16, v19
	v_fmac_f32_e32 v1, s29, v0
	v_and_b32_e32 v0, 0x7f800000, v1
	v_cmp_ne_u32_e64 s[4:5], s9, v0
                                        ; implicit-def: $vgpr0
	s_and_saveexec_b64 s[26:27], s[4:5]
	s_xor_b64 s[4:5], exec, s[26:27]
; %bb.32:                               ;   in Loop: Header=BB384_8 Depth=1
	v_bfe_u32 v0, v1, 16, 1
	v_add3_u32 v0, v1, v0, s38
                                        ; implicit-def: $vgpr1
; %bb.33:                               ;   in Loop: Header=BB384_8 Depth=1
	s_andn2_saveexec_b64 s[26:27], s[4:5]
; %bb.34:                               ;   in Loop: Header=BB384_8 Depth=1
	v_or_b32_e32 v0, 0x10000, v1
	v_cmp_eq_u32_sdwa s[4:5], v1, v61 src0_sel:WORD_0 src1_sel:DWORD
	s_nop 1
	v_cndmask_b32_e64 v0, v0, v1, s[4:5]
; %bb.35:                               ;   in Loop: Header=BB384_8 Depth=1
	s_or_b64 exec, exec, s[26:27]
	v_add_u32_e32 v12, s11, v71
	v_mov_b32_e32 v13, v61
	v_lshl_add_u64 v[12:13], v[12:13], 1, s[18:19]
	global_store_short_d16_hi v[12:13], v0, off
.LBB384_36:                             ;   in Loop: Header=BB384_8 Depth=1
	s_or_b64 exec, exec, s[24:25]
	s_waitcnt lgkmcnt(3)
	v_add_f32_e32 v0, v9, v10
	v_mul_f32_e32 v1, s28, v0
	s_waitcnt vmcnt(5)
	v_lshlrev_b32_e32 v0, 16, v16
	v_fmac_f32_e32 v0, s29, v1
	v_and_b32_e32 v1, 0x7f800000, v0
	v_cmp_ne_u32_e64 s[4:5], s9, v1
                                        ; implicit-def: $vgpr1
	s_and_saveexec_b64 s[24:25], s[4:5]
	s_xor_b64 s[4:5], exec, s[24:25]
; %bb.37:                               ;   in Loop: Header=BB384_8 Depth=1
	v_bfe_u32 v1, v0, 16, 1
	v_add3_u32 v1, v0, v1, s38
                                        ; implicit-def: $vgpr0
; %bb.38:                               ;   in Loop: Header=BB384_8 Depth=1
	s_andn2_saveexec_b64 s[24:25], s[4:5]
; %bb.39:                               ;   in Loop: Header=BB384_8 Depth=1
	v_or_b32_e32 v1, 0x10000, v0
	v_cmp_eq_u32_sdwa s[4:5], v0, v61 src0_sel:WORD_0 src1_sel:DWORD
	s_nop 1
	v_cndmask_b32_e64 v1, v1, v0, s[4:5]
; %bb.40:                               ;   in Loop: Header=BB384_8 Depth=1
	s_or_b64 exec, exec, s[24:25]
	v_add_u32_e32 v60, s11, v60
	v_lshl_add_u64 v[12:13], v[60:61], 1, s[18:19]
	global_store_short_d16_hi v[12:13], v1, off
	s_and_saveexec_b64 s[24:25], vcc
	s_cbranch_execz .LBB384_46
; %bb.41:                               ;   in Loop: Header=BB384_8 Depth=1
	s_waitcnt lgkmcnt(2)
	v_add_f32_e32 v0, v7, v8
	v_mul_f32_e32 v0, s28, v0
	s_waitcnt vmcnt(5)
	v_lshlrev_b32_e32 v1, 16, v14
	v_fmac_f32_e32 v1, s29, v0
	v_and_b32_e32 v0, 0x7f800000, v1
	v_cmp_ne_u32_e64 s[4:5], s9, v0
                                        ; implicit-def: $vgpr0
	s_and_saveexec_b64 s[26:27], s[4:5]
	s_xor_b64 s[4:5], exec, s[26:27]
; %bb.42:                               ;   in Loop: Header=BB384_8 Depth=1
	v_bfe_u32 v0, v1, 16, 1
	v_add3_u32 v0, v1, v0, s38
                                        ; implicit-def: $vgpr1
; %bb.43:                               ;   in Loop: Header=BB384_8 Depth=1
	s_andn2_saveexec_b64 s[26:27], s[4:5]
; %bb.44:                               ;   in Loop: Header=BB384_8 Depth=1
	v_or_b32_e32 v0, 0x10000, v1
	v_cmp_eq_u32_sdwa s[4:5], v1, v61 src0_sel:WORD_0 src1_sel:DWORD
	s_nop 1
	v_cndmask_b32_e64 v0, v0, v1, s[4:5]
; %bb.45:                               ;   in Loop: Header=BB384_8 Depth=1
	s_or_b64 exec, exec, s[26:27]
	v_add_u32_e32 v8, s34, v71
	v_mov_b32_e32 v9, v61
	v_lshl_add_u64 v[8:9], v[8:9], 1, s[18:19]
	global_store_short_d16_hi v[8:9], v0, off
.LBB384_46:                             ;   in Loop: Header=BB384_8 Depth=1
	s_or_b64 exec, exec, s[24:25]
	s_waitcnt lgkmcnt(1)
	v_add_f32_e32 v0, v4, v5
	v_mul_f32_e32 v1, s28, v0
	s_waitcnt vmcnt(4)
	v_lshlrev_b32_e32 v0, 16, v11
	v_fmac_f32_e32 v0, s29, v1
	v_and_b32_e32 v1, 0x7f800000, v0
	v_cmp_ne_u32_e64 s[4:5], s9, v1
                                        ; implicit-def: $vgpr1
	s_and_saveexec_b64 s[24:25], s[4:5]
	s_xor_b64 s[4:5], exec, s[24:25]
; %bb.47:                               ;   in Loop: Header=BB384_8 Depth=1
	v_bfe_u32 v1, v0, 16, 1
	v_add3_u32 v1, v0, v1, s38
                                        ; implicit-def: $vgpr0
; %bb.48:                               ;   in Loop: Header=BB384_8 Depth=1
	s_andn2_saveexec_b64 s[24:25], s[4:5]
; %bb.49:                               ;   in Loop: Header=BB384_8 Depth=1
	v_or_b32_e32 v1, 0x10000, v0
	v_cmp_eq_u32_sdwa s[4:5], v0, v61 src0_sel:WORD_0 src1_sel:DWORD
	s_nop 1
	v_cndmask_b32_e64 v1, v1, v0, s[4:5]
; %bb.50:                               ;   in Loop: Header=BB384_8 Depth=1
	s_or_b64 exec, exec, s[24:25]
	v_add_u32_e32 v60, s11, v60
	v_lshl_add_u64 v[4:5], v[60:61], 1, s[18:19]
	global_store_short_d16_hi v[4:5], v1, off
	s_and_b64 exec, exec, vcc
	s_cbranch_execz .LBB384_7
; %bb.51:                               ;   in Loop: Header=BB384_8 Depth=1
	s_waitcnt lgkmcnt(0)
	v_add_f32_e32 v0, v2, v3
	v_mul_f32_e32 v0, s28, v0
	s_waitcnt vmcnt(4)
	v_lshlrev_b32_e32 v1, 16, v6
	v_fmac_f32_e32 v1, s29, v0
	v_and_b32_e32 v0, 0x7f800000, v1
	v_cmp_ne_u32_e32 vcc, s9, v0
                                        ; implicit-def: $vgpr0
	s_and_saveexec_b64 s[4:5], vcc
	s_xor_b64 s[4:5], exec, s[4:5]
; %bb.52:                               ;   in Loop: Header=BB384_8 Depth=1
	v_bfe_u32 v0, v1, 16, 1
	v_add3_u32 v0, v1, v0, s38
                                        ; implicit-def: $vgpr1
; %bb.53:                               ;   in Loop: Header=BB384_8 Depth=1
	s_andn2_saveexec_b64 s[4:5], s[4:5]
	s_cbranch_execz .LBB384_6
; %bb.54:                               ;   in Loop: Header=BB384_8 Depth=1
	v_or_b32_e32 v0, 0x10000, v1
	v_cmp_eq_u32_sdwa vcc, v1, v61 src0_sel:WORD_0 src1_sel:DWORD
	s_nop 1
	v_cndmask_b32_e32 v0, v0, v1, vcc
	s_branch .LBB384_6
.LBB384_55:
	s_endpgm
	.section	.rodata,"a",@progbits
	.p2align	6, 0x0
	.amdhsa_kernel _Z17wvSplitKQ_hf_sml_I14__hip_bfloat16N3c1013Float8_e4m3fnELi64ELi2ELi16ELi16ELi1ELi4EEviiiiiiPKT0_S5_PKT_PS6_PKfSB_ii
		.amdhsa_group_segment_fixed_size 65536
		.amdhsa_private_segment_fixed_size 0
		.amdhsa_kernarg_size 80
		.amdhsa_user_sgpr_count 2
		.amdhsa_user_sgpr_dispatch_ptr 0
		.amdhsa_user_sgpr_queue_ptr 0
		.amdhsa_user_sgpr_kernarg_segment_ptr 1
		.amdhsa_user_sgpr_dispatch_id 0
		.amdhsa_user_sgpr_kernarg_preload_length 0
		.amdhsa_user_sgpr_kernarg_preload_offset 0
		.amdhsa_user_sgpr_private_segment_size 0
		.amdhsa_uses_dynamic_stack 0
		.amdhsa_enable_private_segment 0
		.amdhsa_system_sgpr_workgroup_id_x 1
		.amdhsa_system_sgpr_workgroup_id_y 0
		.amdhsa_system_sgpr_workgroup_id_z 0
		.amdhsa_system_sgpr_workgroup_info 0
		.amdhsa_system_vgpr_workitem_id 1
		.amdhsa_next_free_vgpr 72
		.amdhsa_next_free_sgpr 39
		.amdhsa_accum_offset 72
		.amdhsa_reserve_vcc 1
		.amdhsa_float_round_mode_32 0
		.amdhsa_float_round_mode_16_64 0
		.amdhsa_float_denorm_mode_32 3
		.amdhsa_float_denorm_mode_16_64 3
		.amdhsa_dx10_clamp 1
		.amdhsa_ieee_mode 1
		.amdhsa_fp16_overflow 0
		.amdhsa_tg_split 0
		.amdhsa_exception_fp_ieee_invalid_op 0
		.amdhsa_exception_fp_denorm_src 0
		.amdhsa_exception_fp_ieee_div_zero 0
		.amdhsa_exception_fp_ieee_overflow 0
		.amdhsa_exception_fp_ieee_underflow 0
		.amdhsa_exception_fp_ieee_inexact 0
		.amdhsa_exception_int_div_zero 0
	.end_amdhsa_kernel
	.section	.text._Z17wvSplitKQ_hf_sml_I14__hip_bfloat16N3c1013Float8_e4m3fnELi64ELi2ELi16ELi16ELi1ELi4EEviiiiiiPKT0_S5_PKT_PS6_PKfSB_ii,"axG",@progbits,_Z17wvSplitKQ_hf_sml_I14__hip_bfloat16N3c1013Float8_e4m3fnELi64ELi2ELi16ELi16ELi1ELi4EEviiiiiiPKT0_S5_PKT_PS6_PKfSB_ii,comdat
.Lfunc_end384:
	.size	_Z17wvSplitKQ_hf_sml_I14__hip_bfloat16N3c1013Float8_e4m3fnELi64ELi2ELi16ELi16ELi1ELi4EEviiiiiiPKT0_S5_PKT_PS6_PKfSB_ii, .Lfunc_end384-_Z17wvSplitKQ_hf_sml_I14__hip_bfloat16N3c1013Float8_e4m3fnELi64ELi2ELi16ELi16ELi1ELi4EEviiiiiiPKT0_S5_PKT_PS6_PKfSB_ii
                                        ; -- End function
	.section	.AMDGPU.csdata,"",@progbits
; Kernel info:
; codeLenInByte = 3184
; NumSgprs: 45
; NumVgprs: 72
; NumAgprs: 0
; TotalNumVgprs: 72
; ScratchSize: 0
; MemoryBound: 0
; FloatMode: 240
; IeeeMode: 1
; LDSByteSize: 65536 bytes/workgroup (compile time only)
; SGPRBlocks: 5
; VGPRBlocks: 8
; NumSGPRsForWavesPerEU: 45
; NumVGPRsForWavesPerEU: 72
; AccumOffset: 72
; Occupancy: 4
; WaveLimiterHint : 0
; COMPUTE_PGM_RSRC2:SCRATCH_EN: 0
; COMPUTE_PGM_RSRC2:USER_SGPR: 2
; COMPUTE_PGM_RSRC2:TRAP_HANDLER: 0
; COMPUTE_PGM_RSRC2:TGID_X_EN: 1
; COMPUTE_PGM_RSRC2:TGID_Y_EN: 0
; COMPUTE_PGM_RSRC2:TGID_Z_EN: 0
; COMPUTE_PGM_RSRC2:TIDIG_COMP_CNT: 1
; COMPUTE_PGM_RSRC3_GFX90A:ACCUM_OFFSET: 17
; COMPUTE_PGM_RSRC3_GFX90A:TG_SPLIT: 0
	.section	.text._Z13wvSplitKQ_hf_I14__hip_bfloat16N3c1013Float8_e4m3fnELi64ELi2ELi16ELi16ELi1ELi4EEviiiiiiPKT0_S5_PKT_PS6_PKfSB_ii,"axG",@progbits,_Z13wvSplitKQ_hf_I14__hip_bfloat16N3c1013Float8_e4m3fnELi64ELi2ELi16ELi16ELi1ELi4EEviiiiiiPKT0_S5_PKT_PS6_PKfSB_ii,comdat
	.protected	_Z13wvSplitKQ_hf_I14__hip_bfloat16N3c1013Float8_e4m3fnELi64ELi2ELi16ELi16ELi1ELi4EEviiiiiiPKT0_S5_PKT_PS6_PKfSB_ii ; -- Begin function _Z13wvSplitKQ_hf_I14__hip_bfloat16N3c1013Float8_e4m3fnELi64ELi2ELi16ELi16ELi1ELi4EEviiiiiiPKT0_S5_PKT_PS6_PKfSB_ii
	.globl	_Z13wvSplitKQ_hf_I14__hip_bfloat16N3c1013Float8_e4m3fnELi64ELi2ELi16ELi16ELi1ELi4EEviiiiiiPKT0_S5_PKT_PS6_PKfSB_ii
	.p2align	8
	.type	_Z13wvSplitKQ_hf_I14__hip_bfloat16N3c1013Float8_e4m3fnELi64ELi2ELi16ELi16ELi1ELi4EEviiiiiiPKT0_S5_PKT_PS6_PKfSB_ii,@function
_Z13wvSplitKQ_hf_I14__hip_bfloat16N3c1013Float8_e4m3fnELi64ELi2ELi16ELi16ELi1ELi4EEviiiiiiPKT0_S5_PKT_PS6_PKfSB_ii: ; @_Z13wvSplitKQ_hf_I14__hip_bfloat16N3c1013Float8_e4m3fnELi64ELi2ELi16ELi16ELi1ELi4EEviiiiiiPKT0_S5_PKT_PS6_PKfSB_ii
; %bb.0:
	s_load_dwordx4 s[8:11], s[0:1], 0x0
	s_load_dwordx2 s[16:17], s[0:1], 0x10
	s_load_dwordx4 s[4:7], s[0:1], 0x38
	s_load_dwordx4 s[12:15], s[0:1], 0x20
	v_and_b32_e32 v2, 0x3ff, v0
	v_bfe_u32 v3, v0, 10, 10
	v_lshlrev_b32_e32 v56, 4, v2
	s_waitcnt lgkmcnt(0)
	s_lshl_b32 s3, s9, 2
	v_lshl_add_u32 v4, v3, 10, v56
	s_min_u32 s3, s3, 0x10000
	v_cmp_gt_u32_e32 vcc, s3, v4
	s_and_saveexec_b64 s[18:19], vcc
	s_cbranch_execz .LBB385_3
; %bb.1:
	v_mov_b32_e32 v1, 0
	v_lshlrev_b32_e32 v0, 10, v3
	v_mov_b32_e32 v57, v1
	v_lshl_add_u64 v[0:1], v[0:1], 0, v[56:57]
	v_lshl_add_u64 v[0:1], s[12:13], 0, v[0:1]
	s_mov_b64 s[20:21], 0
	s_mov_b64 s[22:23], 0x4000
.LBB385_2:                              ; =>This Inner Loop Header: Depth=1
	global_load_dwordx4 v[6:9], v[0:1], off
	v_lshl_add_u64 v[0:1], v[0:1], 0, s[22:23]
	s_waitcnt vmcnt(0)
	ds_write_b128 v4, v[6:9]
	v_add_u32_e32 v4, 0x4000, v4
	v_cmp_le_u32_e32 vcc, s3, v4
	s_or_b64 s[20:21], vcc, s[20:21]
	s_andn2_b64 exec, exec, s[20:21]
	s_cbranch_execnz .LBB385_2
.LBB385_3:
	s_or_b64 exec, exec, s[18:19]
	s_load_dwordx2 s[22:23], s[0:1], 0x48
	;;#ASMSTART
	s_waitcnt vmcnt(0)
	;;#ASMEND
	s_waitcnt lgkmcnt(0)
	s_barrier
	v_cmp_gt_u32_e32 vcc, s22, v3
	s_and_saveexec_b64 s[18:19], vcc
	s_cbranch_execz .LBB385_71
; %bb.4:
	s_mul_i32 s2, s2, s22
	v_add_lshl_u32 v58, s2, v3, 1
	v_cmp_gt_u32_e32 vcc, s11, v58
	s_and_b64 exec, exec, vcc
	s_cbranch_execz .LBB385_71
; %bb.5:
	v_mbcnt_lo_u32_b32 v0, -1, 0
	v_mbcnt_hi_u32_b32 v0, -1, v0
	s_cmp_lg_u32 s8, 0
	v_and_b32_e32 v1, 63, v0
	s_cselect_b64 s[2:3], -1, 0
	s_add_i32 s33, s8, -16
	s_add_i32 s34, s11, -1
	v_cmp_lt_u32_e32 vcc, 43, v1
	s_load_dword s30, s[4:5], 0x0
	s_load_dword s31, s[6:7], 0x0
	s_load_dwordx2 s[18:19], s[0:1], 0x18
	s_load_dwordx2 s[20:21], s[0:1], 0x30
	s_mul_i32 s4, s22, s23
	v_cndmask_b32_e64 v3, 20, 0, vcc
	v_cmp_lt_u32_e32 vcc, 23, v1
	s_cmp_lg_u64 s[14:15], 0
	s_cselect_b64 s[22:23], -1, 0
	v_cndmask_b32_e64 v1, 40, 0, vcc
	s_lshl_b32 s35, s4, 1
	s_abs_i32 s4, s17
	v_add_lshl_u32 v57, v3, v0, 2
	v_add_lshl_u32 v68, v1, v0, 2
	v_cvt_f32_u32_e32 v0, s16
	v_cvt_f32_u32_e32 v1, s4
	s_sub_i32 s5, 0, s16
	v_cmp_eq_u32_e64 s[0:1], 0, v2
	v_rcp_iflag_f32_e32 v0, v0
	v_rcp_iflag_f32_e32 v1, v1
	s_lshl_b32 s36, s11, 1
	s_mov_b64 s[6:7], 0
	v_mul_f32_e32 v0, 0x4f7ffffe, v0
	v_mul_f32_e32 v1, 0x4f7ffffe, v1
	v_cvt_u32_f32_e32 v0, v0
	v_cvt_u32_f32_e32 v1, v1
	s_mul_i32 s17, s11, 3
	v_mov_b32_e32 v61, 0
	v_mul_lo_u32 v2, s5, v0
	s_sub_i32 s5, 0, s4
	v_readfirstlane_b32 s24, v1
	s_mul_i32 s5, s5, s24
	s_mul_hi_u32 s5, s24, s5
	s_add_i32 s24, s24, s5
	s_sub_i32 s5, 1, s4
	s_cmp_lt_u32 s4, 2
	s_cselect_b32 s5, s5, 1
	s_sub_i32 s25, s5, s4
	s_cmp_ge_u32 s5, s4
	s_cselect_b32 s37, s25, s5
	s_lshr_b32 s5, s24, 31
	s_mul_i32 s5, s5, s4
	s_sub_i32 s5, 2, s5
	s_sub_i32 s25, s5, s4
	s_cmp_ge_u32 s5, s4
	s_cselect_b32 s5, s25, s5
	s_sub_i32 s25, s5, s4
	s_cmp_ge_u32 s5, s4
	s_cselect_b32 s38, s25, s5
	s_mul_hi_u32 s5, s24, 3
	s_mul_i32 s5, s5, s4
	s_sub_i32 s5, 3, s5
	s_sub_i32 s24, s5, s4
	s_cmp_ge_u32 s5, s4
	s_cselect_b32 s5, s24, s5
	s_sub_i32 s24, s5, s4
	v_mul_hi_u32 v2, v0, v2
	s_cmp_ge_u32 s5, s4
	v_add_u32_e32 v69, v0, v2
	s_cselect_b32 s39, s24, s5
	v_mad_u64_u32 v[62:63], s[4:5], s9, 3, v[56:57]
	v_cndmask_b32_e64 v0, 0, 1, s[2:3]
	s_mul_i32 s37, s37, s16
	s_mul_i32 s38, s38, s16
	;; [unrolled: 1-line block ×3, first 2 shown]
	v_lshl_add_u32 v70, s9, 1, v56
	v_add_u32_e32 v63, s9, v56
	v_cmp_ne_u32_e64 s[2:3], 1, v0
	s_mov_b32 s9, 0xffff
	s_mov_b32 s40, 0x7f800000
	s_movk_i32 s41, 0x7fff
	s_branch .LBB385_8
.LBB385_6:                              ;   in Loop: Header=BB385_8 Depth=1
	s_or_b64 exec, exec, s[4:5]
	v_add_u32_e32 v60, s17, v71
	v_lshl_add_u64 v[2:3], v[60:61], 1, s[20:21]
	global_store_short_d16_hi v[2:3], v0, off
.LBB385_7:                              ;   in Loop: Header=BB385_8 Depth=1
	s_or_b64 exec, exec, s[24:25]
	v_add_u32_e32 v58, s35, v58
	v_cmp_le_u32_e32 vcc, s11, v58
	s_or_b64 s[6:7], vcc, s[6:7]
	s_andn2_b64 exec, exec, s[6:7]
	s_cbranch_execz .LBB385_71
.LBB385_8:                              ; =>This Loop Header: Depth=1
                                        ;     Child Loop BB385_12 Depth 2
	s_and_b64 vcc, exec, s[2:3]
	v_or_b32_e32 v71, 1, v58
	v_mov_b32_e32 v31, v61
	v_mov_b32_e32 v30, v61
	v_mov_b32_e32 v29, v61
	v_mov_b32_e32 v28, v61
	v_mov_b32_e32 v27, v61
	v_mov_b32_e32 v26, v61
	v_mov_b32_e32 v25, v61
	v_mov_b32_e32 v24, v61
	v_mov_b32_e32 v23, v61
	s_waitcnt lgkmcnt(0)
	v_mov_b32_e32 v22, v61
	v_mov_b32_e32 v21, v61
	;; [unrolled: 1-line block ×20, first 2 shown]
	s_waitcnt vmcnt(4)
	v_mov_b32_e32 v6, v61
	v_mov_b32_e32 v5, v61
	;; [unrolled: 1-line block ×3, first 2 shown]
	s_cbranch_vccnz .LBB385_29
; %bb.9:                                ;   in Loop: Header=BB385_8 Depth=1
	v_min_u32_e32 v0, s34, v58
	v_mul_lo_u32 v64, v0, s10
	v_min_u32_e32 v0, s34, v71
	v_mov_b32_e32 v4, 0
	v_mov_b32_e32 v65, v61
	v_mul_lo_u32 v66, v0, s10
	v_mov_b32_e32 v67, v61
	s_mov_b32 s26, 0
	v_mov_b32_e32 v5, v4
	v_mov_b32_e32 v6, v4
	;; [unrolled: 1-line block ×31, first 2 shown]
	s_branch .LBB385_12
.LBB385_10:                             ;   in Loop: Header=BB385_12 Depth=2
	s_or_b64 exec, exec, s[24:25]
.LBB385_11:                             ;   in Loop: Header=BB385_12 Depth=2
	s_or_b64 exec, exec, s[4:5]
	s_waitcnt vmcnt(0) lgkmcnt(0)
	v_mfma_f32_16x16x32_fp8_fp8 v[28:31], v[40:41], v[36:37], v[28:31]
	s_addk_i32 s26, 0x400
	s_cmp_ge_u32 s26, s8
	v_mfma_f32_16x16x32_fp8_fp8 v[24:27], v[40:41], v[32:33], v[24:27]
	v_mfma_f32_16x16x32_fp8_fp8 v[20:23], v[44:45], v[36:37], v[20:23]
	v_mfma_f32_16x16x32_fp8_fp8 v[16:19], v[44:45], v[32:33], v[16:19]
	v_mfma_f32_16x16x32_fp8_fp8 v[12:15], v[48:49], v[36:37], v[12:15]
	v_mfma_f32_16x16x32_fp8_fp8 v[8:11], v[48:49], v[32:33], v[8:11]
	v_mfma_f32_16x16x32_fp8_fp8 v[0:3], v[52:53], v[36:37], v[0:3]
	v_mfma_f32_16x16x32_fp8_fp8 v[4:7], v[52:53], v[32:33], v[4:7]
	v_mfma_f32_16x16x32_fp8_fp8 v[28:31], v[42:43], v[38:39], v[28:31]
	v_mfma_f32_16x16x32_fp8_fp8 v[24:27], v[42:43], v[34:35], v[24:27]
	v_mfma_f32_16x16x32_fp8_fp8 v[20:23], v[46:47], v[38:39], v[20:23]
	v_mfma_f32_16x16x32_fp8_fp8 v[16:19], v[46:47], v[34:35], v[16:19]
	v_mfma_f32_16x16x32_fp8_fp8 v[12:15], v[50:51], v[38:39], v[12:15]
	v_mfma_f32_16x16x32_fp8_fp8 v[8:11], v[50:51], v[34:35], v[8:11]
	v_mfma_f32_16x16x32_fp8_fp8 v[0:3], v[54:55], v[38:39], v[0:3]
	v_mfma_f32_16x16x32_fp8_fp8 v[4:7], v[54:55], v[34:35], v[4:7]
	s_cbranch_scc1 .LBB385_29
.LBB385_12:                             ;   Parent Loop BB385_8 Depth=1
                                        ; =>  This Inner Loop Header: Depth=2
	v_add_u32_e32 v59, s26, v56
	v_min_u32_e32 v60, s33, v59
	s_waitcnt lgkmcnt(0)
	v_lshl_add_u64 v[32:33], s[18:19], 0, v[60:61]
	v_lshl_add_u64 v[40:41], v[32:33], 0, v[64:65]
	;; [unrolled: 1-line block ×3, first 2 shown]
	global_load_dwordx4 v[36:39], v[40:41], off nt
	global_load_dwordx4 v[32:35], v[42:43], off nt
	v_mov_b64_e32 v[54:55], 0
	v_cmp_gt_u32_e32 vcc, s8, v59
	v_mov_b64_e32 v[52:53], v[54:55]
	v_mov_b64_e32 v[50:51], v[54:55]
	;; [unrolled: 1-line block ×7, first 2 shown]
	s_and_saveexec_b64 s[4:5], vcc
	s_cbranch_execz .LBB385_11
; %bb.13:                               ;   in Loop: Header=BB385_12 Depth=2
	v_cmp_lt_u32_e32 vcc, s9, v59
                                        ; implicit-def: $vgpr42_vgpr43
	s_and_saveexec_b64 s[24:25], vcc
	s_xor_b64 s[24:25], exec, s[24:25]
	s_cbranch_execz .LBB385_15
; %bb.14:                               ;   in Loop: Header=BB385_12 Depth=2
	global_load_dwordx4 v[40:43], v59, s[12:13]
                                        ; implicit-def: $vgpr59
.LBB385_15:                             ;   in Loop: Header=BB385_12 Depth=2
	s_andn2_saveexec_b64 s[24:25], s[24:25]
	s_cbranch_execz .LBB385_17
; %bb.16:                               ;   in Loop: Header=BB385_12 Depth=2
	s_waitcnt vmcnt(0)
	ds_read_b128 v[40:43], v59
.LBB385_17:                             ;   in Loop: Header=BB385_12 Depth=2
	s_or_b64 exec, exec, s[24:25]
	v_add_u32_e32 v48, s26, v63
	v_cmp_lt_u32_e32 vcc, s9, v48
                                        ; implicit-def: $vgpr46_vgpr47
	s_and_saveexec_b64 s[24:25], vcc
	s_xor_b64 s[24:25], exec, s[24:25]
	s_cbranch_execz .LBB385_19
; %bb.18:                               ;   in Loop: Header=BB385_12 Depth=2
	global_load_dwordx4 v[44:47], v48, s[12:13]
                                        ; implicit-def: $vgpr48
.LBB385_19:                             ;   in Loop: Header=BB385_12 Depth=2
	s_andn2_saveexec_b64 s[24:25], s[24:25]
	s_cbranch_execz .LBB385_21
; %bb.20:                               ;   in Loop: Header=BB385_12 Depth=2
	s_waitcnt vmcnt(0)
	ds_read_b128 v[44:47], v48
.LBB385_21:                             ;   in Loop: Header=BB385_12 Depth=2
	s_or_b64 exec, exec, s[24:25]
	v_add_u32_e32 v52, s26, v70
	v_cmp_lt_u32_e32 vcc, s9, v52
                                        ; implicit-def: $vgpr50_vgpr51
	s_and_saveexec_b64 s[24:25], vcc
	s_xor_b64 s[24:25], exec, s[24:25]
	s_cbranch_execz .LBB385_23
; %bb.22:                               ;   in Loop: Header=BB385_12 Depth=2
	global_load_dwordx4 v[48:51], v52, s[12:13]
                                        ; implicit-def: $vgpr52
.LBB385_23:                             ;   in Loop: Header=BB385_12 Depth=2
	s_andn2_saveexec_b64 s[24:25], s[24:25]
	s_cbranch_execz .LBB385_25
; %bb.24:                               ;   in Loop: Header=BB385_12 Depth=2
	s_waitcnt vmcnt(0)
	ds_read_b128 v[48:51], v52
.LBB385_25:                             ;   in Loop: Header=BB385_12 Depth=2
	s_or_b64 exec, exec, s[24:25]
	v_add_u32_e32 v59, s26, v62
	v_cmp_lt_u32_e32 vcc, s9, v59
                                        ; implicit-def: $vgpr54_vgpr55
	s_and_saveexec_b64 s[24:25], vcc
	s_xor_b64 s[24:25], exec, s[24:25]
	s_cbranch_execz .LBB385_27
; %bb.26:                               ;   in Loop: Header=BB385_12 Depth=2
	global_load_dwordx4 v[52:55], v59, s[12:13]
                                        ; implicit-def: $vgpr59
.LBB385_27:                             ;   in Loop: Header=BB385_12 Depth=2
	s_andn2_saveexec_b64 s[24:25], s[24:25]
	s_cbranch_execz .LBB385_10
; %bb.28:                               ;   in Loop: Header=BB385_12 Depth=2
	s_waitcnt vmcnt(0)
	ds_read_b128 v[52:55], v59
	s_branch .LBB385_10
.LBB385_29:                             ;   in Loop: Header=BB385_8 Depth=1
	v_cvt_i32_f32_e32 v29, v29
	v_cvt_i32_f32_e32 v30, v30
	;; [unrolled: 1-line block ×4, first 2 shown]
	v_cvt_f32_i32_dpp v29, v29 row_shl:1 row_mask:0xf bank_mask:0xf bound_ctrl:1
	v_cvt_f32_i32_dpp v30, v30 row_shl:2 row_mask:0xf bank_mask:0xf bound_ctrl:1
	v_cvt_i32_f32_e32 v26, v26
	v_cvt_i32_f32_e32 v27, v27
	v_cvt_f32_i32_dpp v31, v31 row_shl:3 row_mask:0xf bank_mask:0xf bound_ctrl:1
	v_add_f32_e32 v28, v28, v29
	v_add_f32_e32 v28, v28, v30
	v_cvt_f32_i32_dpp v30, v25 row_shl:1 row_mask:0xf bank_mask:0xf bound_ctrl:1
	v_cvt_f32_i32_dpp v26, v26 row_shl:2 row_mask:0xf bank_mask:0xf bound_ctrl:1
	;; [unrolled: 1-line block ×3, first 2 shown]
	v_add_f32_e32 v28, v28, v31
	ds_bpermute_b32 v29, v57, v28
	v_add_f32_e32 v24, v24, v30
	v_add_f32_e32 v24, v24, v26
	v_cvt_i32_f32_e32 v21, v21
	v_add_f32_e32 v24, v24, v27
	v_cvt_i32_f32_e32 v27, v22
	v_cvt_i32_f32_e32 v23, v23
	s_waitcnt lgkmcnt(0)
	v_add_f32_e32 v25, v28, v29
	v_cvt_f32_i32_dpp v28, v21 row_shl:1 row_mask:0xf bank_mask:0xf bound_ctrl:1
	v_cvt_f32_i32_dpp v27, v27 row_shl:2 row_mask:0xf bank_mask:0xf bound_ctrl:1
	;; [unrolled: 1-line block ×3, first 2 shown]
	ds_bpermute_b32 v26, v57, v24
	v_add_f32_e32 v20, v20, v28
	v_add_f32_e32 v20, v20, v27
	v_cvt_i32_f32_e32 v17, v17
	v_cvt_i32_f32_e32 v13, v13
	v_add_f32_e32 v20, v20, v23
	v_cvt_i32_f32_e32 v23, v18
	v_cvt_i32_f32_e32 v14, v14
	;; [unrolled: 1-line block ×4, first 2 shown]
	s_waitcnt lgkmcnt(0)
	v_add_f32_e32 v21, v24, v26
	v_cvt_f32_i32_dpp v26, v17 row_shl:1 row_mask:0xf bank_mask:0xf bound_ctrl:1
	v_cvt_f32_i32_dpp v13, v13 row_shl:1 row_mask:0xf bank_mask:0xf bound_ctrl:1
	v_cvt_f32_i32_dpp v23, v23 row_shl:2 row_mask:0xf bank_mask:0xf bound_ctrl:1
	v_cvt_f32_i32_dpp v14, v14 row_shl:2 row_mask:0xf bank_mask:0xf bound_ctrl:1
	ds_bpermute_b32 v24, v57, v20
	v_cvt_f32_i32_dpp v19, v19 row_shl:3 row_mask:0xf bank_mask:0xf bound_ctrl:1
	v_cvt_f32_i32_dpp v15, v15 row_shl:3 row_mask:0xf bank_mask:0xf bound_ctrl:1
	v_cvt_i32_f32_e32 v1, v1
	v_cvt_i32_f32_e32 v2, v2
	v_add_f32_e32 v16, v16, v26
	v_add_f32_e32 v12, v12, v13
	;; [unrolled: 1-line block ×6, first 2 shown]
	v_cvt_f32_i32_dpp v1, v1 row_shl:1 row_mask:0xf bank_mask:0xf bound_ctrl:1
	s_waitcnt lgkmcnt(0)
	v_add_f32_e32 v17, v20, v24
	ds_bpermute_b32 v19, v57, v16
	ds_bpermute_b32 v20, v57, v14
	v_cvt_f32_i32_dpp v2, v2 row_shl:2 row_mask:0xf bank_mask:0xf bound_ctrl:1
	v_cvt_i32_f32_e32 v3, v3
	v_cvt_i32_f32_e32 v23, v9
	v_add_f32_e32 v0, v0, v1
	v_add_f32_e32 v0, v0, v2
	v_cvt_f32_i32_dpp v1, v3 row_shl:3 row_mask:0xf bank_mask:0xf bound_ctrl:1
	v_cvt_i32_f32_e32 v2, v5
	s_waitcnt lgkmcnt(1)
	v_add_f32_e32 v12, v16, v19
	s_waitcnt lgkmcnt(0)
	v_add_f32_e32 v9, v14, v20
	v_cvt_f32_i32_dpp v14, v23 row_shl:1 row_mask:0xf bank_mask:0xf bound_ctrl:1
	v_cvt_i32_f32_e32 v16, v10
	v_cvt_i32_f32_e32 v3, v6
	;; [unrolled: 1-line block ×4, first 2 shown]
	v_add_f32_e32 v0, v0, v1
	v_cvt_f32_i32_dpp v1, v2 row_shl:1 row_mask:0xf bank_mask:0xf bound_ctrl:1
	v_add_f32_e32 v8, v8, v14
	v_cvt_f32_i32_dpp v14, v16 row_shl:2 row_mask:0xf bank_mask:0xf bound_ctrl:1
	v_cvt_f32_i32_dpp v2, v3 row_shl:2 row_mask:0xf bank_mask:0xf bound_ctrl:1
	;; [unrolled: 1-line block ×4, first 2 shown]
	v_add_f32_e32 v1, v4, v1
	v_add_f32_e32 v8, v8, v14
	;; [unrolled: 1-line block ×5, first 2 shown]
	ds_bpermute_b32 v11, v57, v8
	ds_bpermute_b32 v5, v57, v0
	;; [unrolled: 1-line block ×5, first 2 shown]
	s_waitcnt lgkmcnt(4)
	v_add_f32_e32 v7, v8, v11
	s_waitcnt lgkmcnt(3)
	v_add_f32_e32 v4, v0, v5
	;; [unrolled: 2-line block ×3, first 2 shown]
	ds_bpermute_b32 v15, v68, v17
	ds_bpermute_b32 v13, v68, v12
	ds_bpermute_b32 v10, v68, v9
	ds_bpermute_b32 v8, v68, v7
	ds_bpermute_b32 v5, v68, v4
	ds_bpermute_b32 v3, v68, v2
	s_and_saveexec_b64 s[24:25], s[0:1]
	s_cbranch_execz .LBB385_7
; %bb.30:                               ;   in Loop: Header=BB385_8 Depth=1
	s_andn2_b64 vcc, exec, s[22:23]
	v_mov_b32_e32 v0, 0
	v_mov_b32_e32 v23, 0
	;; [unrolled: 1-line block ×8, first 2 shown]
	s_cbranch_vccnz .LBB385_32
; %bb.31:                               ;   in Loop: Header=BB385_8 Depth=1
	v_mul_hi_u32 v0, v58, v69
	v_mul_lo_u32 v0, v0, s16
	v_sub_u32_e32 v0, v58, v0
	v_subrev_u32_e32 v1, s16, v0
	v_cmp_le_u32_e32 vcc, s16, v0
	v_mov_b32_e32 v31, v61
	v_mov_b32_e32 v33, v61
	v_cndmask_b32_e32 v0, v0, v1, vcc
	v_subrev_u32_e32 v1, s16, v0
	v_cmp_le_u32_e32 vcc, s16, v0
	v_mov_b32_e32 v35, v61
	v_mov_b32_e32 v37, v61
	v_cndmask_b32_e32 v60, v0, v1, vcc
	v_mul_hi_u32 v0, v71, v69
	v_mul_lo_u32 v0, v0, s16
	v_sub_u32_e32 v0, v71, v0
	v_subrev_u32_e32 v1, s16, v0
	v_cmp_le_u32_e32 vcc, s16, v0
	v_lshl_add_u64 v[26:27], v[60:61], 1, s[14:15]
	v_add_u32_e32 v30, s37, v60
	v_cndmask_b32_e32 v0, v0, v1, vcc
	v_subrev_u32_e32 v1, s16, v0
	v_cmp_le_u32_e32 vcc, s16, v0
	v_add_u32_e32 v34, s38, v60
	v_add_u32_e32 v60, s39, v60
	v_cndmask_b32_e32 v0, v0, v1, vcc
	v_mov_b32_e32 v1, v61
	v_add_u32_e32 v32, s37, v0
	v_add_u32_e32 v36, s38, v0
	v_lshl_add_u64 v[38:39], v[60:61], 1, s[14:15]
	v_add_u32_e32 v60, s39, v0
	v_lshl_add_u64 v[28:29], v[0:1], 1, s[14:15]
	v_lshl_add_u64 v[30:31], v[30:31], 1, s[14:15]
	;; [unrolled: 1-line block ×6, first 2 shown]
	global_load_ushort v0, v[26:27], off
	global_load_ushort v23, v[28:29], off
	;; [unrolled: 1-line block ×8, first 2 shown]
.LBB385_32:                             ;   in Loop: Header=BB385_8 Depth=1
	s_waitcnt lgkmcnt(7)
	v_add_f32_e32 v1, v25, v22
	v_mul_f32_e32 v1, s30, v1
	s_waitcnt vmcnt(7)
	v_lshlrev_b32_e32 v0, 16, v0
	v_fmac_f32_e32 v0, s31, v1
	v_and_b32_e32 v1, 0x7f800000, v0
	v_cmp_ne_u32_e32 vcc, s40, v1
                                        ; implicit-def: $vgpr22
	s_and_saveexec_b64 s[4:5], vcc
	s_xor_b64 s[4:5], exec, s[4:5]
; %bb.33:                               ;   in Loop: Header=BB385_8 Depth=1
	v_bfe_u32 v1, v0, 16, 1
	v_add3_u32 v22, v0, v1, s41
                                        ; implicit-def: $vgpr0
; %bb.34:                               ;   in Loop: Header=BB385_8 Depth=1
	s_andn2_saveexec_b64 s[4:5], s[4:5]
; %bb.35:                               ;   in Loop: Header=BB385_8 Depth=1
	v_or_b32_e32 v1, 0x10000, v0
	v_cmp_eq_u32_sdwa vcc, v0, v61 src0_sel:WORD_0 src1_sel:DWORD
	s_nop 1
	v_cndmask_b32_e32 v22, v1, v0, vcc
; %bb.36:                               ;   in Loop: Header=BB385_8 Depth=1
	s_or_b64 exec, exec, s[4:5]
	v_mov_b32_e32 v59, v61
	v_lshl_add_u64 v[0:1], v[58:59], 1, s[20:21]
	v_cmp_gt_u32_e32 vcc, s11, v71
	global_store_short_d16_hi v[0:1], v22, off
	s_and_saveexec_b64 s[26:27], vcc
	s_cbranch_execz .LBB385_42
; %bb.37:                               ;   in Loop: Header=BB385_8 Depth=1
	s_waitcnt lgkmcnt(6)
	v_add_f32_e32 v18, v21, v18
	v_mul_f32_e32 v21, s30, v18
	s_waitcnt vmcnt(7)
	v_lshlrev_b32_e32 v18, 16, v23
	v_fmac_f32_e32 v18, s31, v21
	v_and_b32_e32 v21, 0x7f800000, v18
	v_cmp_ne_u32_e64 s[4:5], s40, v21
                                        ; implicit-def: $vgpr21
	s_and_saveexec_b64 s[28:29], s[4:5]
	s_xor_b64 s[4:5], exec, s[28:29]
; %bb.38:                               ;   in Loop: Header=BB385_8 Depth=1
	v_bfe_u32 v21, v18, 16, 1
	v_add3_u32 v21, v18, v21, s41
                                        ; implicit-def: $vgpr18
; %bb.39:                               ;   in Loop: Header=BB385_8 Depth=1
	s_andn2_saveexec_b64 s[28:29], s[4:5]
; %bb.40:                               ;   in Loop: Header=BB385_8 Depth=1
	v_or_b32_e32 v21, 0x10000, v18
	v_cmp_eq_u32_sdwa s[4:5], v18, v61 src0_sel:WORD_0 src1_sel:DWORD
	s_nop 1
	v_cndmask_b32_e64 v21, v21, v18, s[4:5]
; %bb.41:                               ;   in Loop: Header=BB385_8 Depth=1
	s_or_b64 exec, exec, s[28:29]
	global_store_short_d16_hi v[0:1], v21, off offset:2
.LBB385_42:                             ;   in Loop: Header=BB385_8 Depth=1
	s_or_b64 exec, exec, s[26:27]
	s_waitcnt lgkmcnt(5)
	v_add_f32_e32 v0, v17, v15
	v_mul_f32_e32 v1, s30, v0
	s_waitcnt vmcnt(6)
	v_lshlrev_b32_e32 v0, 16, v20
	v_fmac_f32_e32 v0, s31, v1
	v_and_b32_e32 v1, 0x7f800000, v0
	v_cmp_ne_u32_e64 s[4:5], s40, v1
                                        ; implicit-def: $vgpr1
	s_and_saveexec_b64 s[26:27], s[4:5]
	s_xor_b64 s[4:5], exec, s[26:27]
; %bb.43:                               ;   in Loop: Header=BB385_8 Depth=1
	v_bfe_u32 v1, v0, 16, 1
	v_add3_u32 v1, v0, v1, s41
                                        ; implicit-def: $vgpr0
; %bb.44:                               ;   in Loop: Header=BB385_8 Depth=1
	s_andn2_saveexec_b64 s[26:27], s[4:5]
; %bb.45:                               ;   in Loop: Header=BB385_8 Depth=1
	v_or_b32_e32 v1, 0x10000, v0
	v_cmp_eq_u32_sdwa s[4:5], v0, v61 src0_sel:WORD_0 src1_sel:DWORD
	s_nop 1
	v_cndmask_b32_e64 v1, v1, v0, s[4:5]
; %bb.46:                               ;   in Loop: Header=BB385_8 Depth=1
	s_or_b64 exec, exec, s[26:27]
	v_add_u32_e32 v60, s11, v58
	v_lshl_add_u64 v[20:21], v[60:61], 1, s[20:21]
	global_store_short_d16_hi v[20:21], v1, off
	s_and_saveexec_b64 s[26:27], vcc
	s_cbranch_execz .LBB385_52
; %bb.47:                               ;   in Loop: Header=BB385_8 Depth=1
	s_waitcnt lgkmcnt(4)
	v_add_f32_e32 v0, v12, v13
	v_mul_f32_e32 v0, s30, v0
	s_waitcnt vmcnt(6)
	v_lshlrev_b32_e32 v1, 16, v19
	v_fmac_f32_e32 v1, s31, v0
	v_and_b32_e32 v0, 0x7f800000, v1
	v_cmp_ne_u32_e64 s[4:5], s40, v0
                                        ; implicit-def: $vgpr0
	s_and_saveexec_b64 s[28:29], s[4:5]
	s_xor_b64 s[4:5], exec, s[28:29]
; %bb.48:                               ;   in Loop: Header=BB385_8 Depth=1
	v_bfe_u32 v0, v1, 16, 1
	v_add3_u32 v0, v1, v0, s41
                                        ; implicit-def: $vgpr1
; %bb.49:                               ;   in Loop: Header=BB385_8 Depth=1
	s_andn2_saveexec_b64 s[28:29], s[4:5]
; %bb.50:                               ;   in Loop: Header=BB385_8 Depth=1
	v_or_b32_e32 v0, 0x10000, v1
	v_cmp_eq_u32_sdwa s[4:5], v1, v61 src0_sel:WORD_0 src1_sel:DWORD
	s_nop 1
	v_cndmask_b32_e64 v0, v0, v1, s[4:5]
; %bb.51:                               ;   in Loop: Header=BB385_8 Depth=1
	s_or_b64 exec, exec, s[28:29]
	v_add_u32_e32 v12, s11, v71
	v_mov_b32_e32 v13, v61
	v_lshl_add_u64 v[12:13], v[12:13], 1, s[20:21]
	global_store_short_d16_hi v[12:13], v0, off
.LBB385_52:                             ;   in Loop: Header=BB385_8 Depth=1
	s_or_b64 exec, exec, s[26:27]
	s_waitcnt lgkmcnt(3)
	v_add_f32_e32 v0, v9, v10
	v_mul_f32_e32 v1, s30, v0
	s_waitcnt vmcnt(5)
	v_lshlrev_b32_e32 v0, 16, v16
	v_fmac_f32_e32 v0, s31, v1
	v_and_b32_e32 v1, 0x7f800000, v0
	v_cmp_ne_u32_e64 s[4:5], s40, v1
                                        ; implicit-def: $vgpr1
	s_and_saveexec_b64 s[26:27], s[4:5]
	s_xor_b64 s[4:5], exec, s[26:27]
; %bb.53:                               ;   in Loop: Header=BB385_8 Depth=1
	v_bfe_u32 v1, v0, 16, 1
	v_add3_u32 v1, v0, v1, s41
                                        ; implicit-def: $vgpr0
; %bb.54:                               ;   in Loop: Header=BB385_8 Depth=1
	s_andn2_saveexec_b64 s[26:27], s[4:5]
; %bb.55:                               ;   in Loop: Header=BB385_8 Depth=1
	v_or_b32_e32 v1, 0x10000, v0
	v_cmp_eq_u32_sdwa s[4:5], v0, v61 src0_sel:WORD_0 src1_sel:DWORD
	s_nop 1
	v_cndmask_b32_e64 v1, v1, v0, s[4:5]
; %bb.56:                               ;   in Loop: Header=BB385_8 Depth=1
	s_or_b64 exec, exec, s[26:27]
	v_add_u32_e32 v60, s11, v60
	v_lshl_add_u64 v[12:13], v[60:61], 1, s[20:21]
	global_store_short_d16_hi v[12:13], v1, off
	s_and_saveexec_b64 s[26:27], vcc
	s_cbranch_execz .LBB385_62
; %bb.57:                               ;   in Loop: Header=BB385_8 Depth=1
	s_waitcnt lgkmcnt(2)
	v_add_f32_e32 v0, v7, v8
	v_mul_f32_e32 v0, s30, v0
	s_waitcnt vmcnt(5)
	v_lshlrev_b32_e32 v1, 16, v14
	v_fmac_f32_e32 v1, s31, v0
	v_and_b32_e32 v0, 0x7f800000, v1
	v_cmp_ne_u32_e64 s[4:5], s40, v0
                                        ; implicit-def: $vgpr0
	s_and_saveexec_b64 s[28:29], s[4:5]
	s_xor_b64 s[4:5], exec, s[28:29]
; %bb.58:                               ;   in Loop: Header=BB385_8 Depth=1
	v_bfe_u32 v0, v1, 16, 1
	v_add3_u32 v0, v1, v0, s41
                                        ; implicit-def: $vgpr1
; %bb.59:                               ;   in Loop: Header=BB385_8 Depth=1
	s_andn2_saveexec_b64 s[28:29], s[4:5]
; %bb.60:                               ;   in Loop: Header=BB385_8 Depth=1
	v_or_b32_e32 v0, 0x10000, v1
	v_cmp_eq_u32_sdwa s[4:5], v1, v61 src0_sel:WORD_0 src1_sel:DWORD
	s_nop 1
	v_cndmask_b32_e64 v0, v0, v1, s[4:5]
; %bb.61:                               ;   in Loop: Header=BB385_8 Depth=1
	s_or_b64 exec, exec, s[28:29]
	v_add_u32_e32 v8, s36, v71
	v_mov_b32_e32 v9, v61
	v_lshl_add_u64 v[8:9], v[8:9], 1, s[20:21]
	global_store_short_d16_hi v[8:9], v0, off
.LBB385_62:                             ;   in Loop: Header=BB385_8 Depth=1
	s_or_b64 exec, exec, s[26:27]
	s_waitcnt lgkmcnt(1)
	v_add_f32_e32 v0, v4, v5
	v_mul_f32_e32 v1, s30, v0
	s_waitcnt vmcnt(4)
	v_lshlrev_b32_e32 v0, 16, v11
	v_fmac_f32_e32 v0, s31, v1
	v_and_b32_e32 v1, 0x7f800000, v0
	v_cmp_ne_u32_e64 s[4:5], s40, v1
                                        ; implicit-def: $vgpr1
	s_and_saveexec_b64 s[26:27], s[4:5]
	s_xor_b64 s[4:5], exec, s[26:27]
; %bb.63:                               ;   in Loop: Header=BB385_8 Depth=1
	v_bfe_u32 v1, v0, 16, 1
	v_add3_u32 v1, v0, v1, s41
                                        ; implicit-def: $vgpr0
; %bb.64:                               ;   in Loop: Header=BB385_8 Depth=1
	s_andn2_saveexec_b64 s[26:27], s[4:5]
; %bb.65:                               ;   in Loop: Header=BB385_8 Depth=1
	v_or_b32_e32 v1, 0x10000, v0
	v_cmp_eq_u32_sdwa s[4:5], v0, v61 src0_sel:WORD_0 src1_sel:DWORD
	s_nop 1
	v_cndmask_b32_e64 v1, v1, v0, s[4:5]
; %bb.66:                               ;   in Loop: Header=BB385_8 Depth=1
	s_or_b64 exec, exec, s[26:27]
	v_add_u32_e32 v60, s11, v60
	v_lshl_add_u64 v[4:5], v[60:61], 1, s[20:21]
	global_store_short_d16_hi v[4:5], v1, off
	s_and_b64 exec, exec, vcc
	s_cbranch_execz .LBB385_7
; %bb.67:                               ;   in Loop: Header=BB385_8 Depth=1
	s_waitcnt lgkmcnt(0)
	v_add_f32_e32 v0, v2, v3
	v_mul_f32_e32 v0, s30, v0
	s_waitcnt vmcnt(4)
	v_lshlrev_b32_e32 v1, 16, v6
	v_fmac_f32_e32 v1, s31, v0
	v_and_b32_e32 v0, 0x7f800000, v1
	v_cmp_ne_u32_e32 vcc, s40, v0
                                        ; implicit-def: $vgpr0
	s_and_saveexec_b64 s[4:5], vcc
	s_xor_b64 s[4:5], exec, s[4:5]
; %bb.68:                               ;   in Loop: Header=BB385_8 Depth=1
	v_bfe_u32 v0, v1, 16, 1
	v_add3_u32 v0, v1, v0, s41
                                        ; implicit-def: $vgpr1
; %bb.69:                               ;   in Loop: Header=BB385_8 Depth=1
	s_andn2_saveexec_b64 s[4:5], s[4:5]
	s_cbranch_execz .LBB385_6
; %bb.70:                               ;   in Loop: Header=BB385_8 Depth=1
	v_or_b32_e32 v0, 0x10000, v1
	v_cmp_eq_u32_sdwa vcc, v1, v61 src0_sel:WORD_0 src1_sel:DWORD
	s_nop 1
	v_cndmask_b32_e32 v0, v0, v1, vcc
	s_branch .LBB385_6
.LBB385_71:
	s_endpgm
	.section	.rodata,"a",@progbits
	.p2align	6, 0x0
	.amdhsa_kernel _Z13wvSplitKQ_hf_I14__hip_bfloat16N3c1013Float8_e4m3fnELi64ELi2ELi16ELi16ELi1ELi4EEviiiiiiPKT0_S5_PKT_PS6_PKfSB_ii
		.amdhsa_group_segment_fixed_size 65536
		.amdhsa_private_segment_fixed_size 0
		.amdhsa_kernarg_size 80
		.amdhsa_user_sgpr_count 2
		.amdhsa_user_sgpr_dispatch_ptr 0
		.amdhsa_user_sgpr_queue_ptr 0
		.amdhsa_user_sgpr_kernarg_segment_ptr 1
		.amdhsa_user_sgpr_dispatch_id 0
		.amdhsa_user_sgpr_kernarg_preload_length 0
		.amdhsa_user_sgpr_kernarg_preload_offset 0
		.amdhsa_user_sgpr_private_segment_size 0
		.amdhsa_uses_dynamic_stack 0
		.amdhsa_enable_private_segment 0
		.amdhsa_system_sgpr_workgroup_id_x 1
		.amdhsa_system_sgpr_workgroup_id_y 0
		.amdhsa_system_sgpr_workgroup_id_z 0
		.amdhsa_system_sgpr_workgroup_info 0
		.amdhsa_system_vgpr_workitem_id 1
		.amdhsa_next_free_vgpr 72
		.amdhsa_next_free_sgpr 42
		.amdhsa_accum_offset 72
		.amdhsa_reserve_vcc 1
		.amdhsa_float_round_mode_32 0
		.amdhsa_float_round_mode_16_64 0
		.amdhsa_float_denorm_mode_32 3
		.amdhsa_float_denorm_mode_16_64 3
		.amdhsa_dx10_clamp 1
		.amdhsa_ieee_mode 1
		.amdhsa_fp16_overflow 0
		.amdhsa_tg_split 0
		.amdhsa_exception_fp_ieee_invalid_op 0
		.amdhsa_exception_fp_denorm_src 0
		.amdhsa_exception_fp_ieee_div_zero 0
		.amdhsa_exception_fp_ieee_overflow 0
		.amdhsa_exception_fp_ieee_underflow 0
		.amdhsa_exception_fp_ieee_inexact 0
		.amdhsa_exception_int_div_zero 0
	.end_amdhsa_kernel
	.section	.text._Z13wvSplitKQ_hf_I14__hip_bfloat16N3c1013Float8_e4m3fnELi64ELi2ELi16ELi16ELi1ELi4EEviiiiiiPKT0_S5_PKT_PS6_PKfSB_ii,"axG",@progbits,_Z13wvSplitKQ_hf_I14__hip_bfloat16N3c1013Float8_e4m3fnELi64ELi2ELi16ELi16ELi1ELi4EEviiiiiiPKT0_S5_PKT_PS6_PKfSB_ii,comdat
.Lfunc_end385:
	.size	_Z13wvSplitKQ_hf_I14__hip_bfloat16N3c1013Float8_e4m3fnELi64ELi2ELi16ELi16ELi1ELi4EEviiiiiiPKT0_S5_PKT_PS6_PKfSB_ii, .Lfunc_end385-_Z13wvSplitKQ_hf_I14__hip_bfloat16N3c1013Float8_e4m3fnELi64ELi2ELi16ELi16ELi1ELi4EEviiiiiiPKT0_S5_PKT_PS6_PKfSB_ii
                                        ; -- End function
	.section	.AMDGPU.csdata,"",@progbits
; Kernel info:
; codeLenInByte = 3324
; NumSgprs: 48
; NumVgprs: 72
; NumAgprs: 0
; TotalNumVgprs: 72
; ScratchSize: 0
; MemoryBound: 1
; FloatMode: 240
; IeeeMode: 1
; LDSByteSize: 65536 bytes/workgroup (compile time only)
; SGPRBlocks: 5
; VGPRBlocks: 8
; NumSGPRsForWavesPerEU: 48
; NumVGPRsForWavesPerEU: 72
; AccumOffset: 72
; Occupancy: 4
; WaveLimiterHint : 0
; COMPUTE_PGM_RSRC2:SCRATCH_EN: 0
; COMPUTE_PGM_RSRC2:USER_SGPR: 2
; COMPUTE_PGM_RSRC2:TRAP_HANDLER: 0
; COMPUTE_PGM_RSRC2:TGID_X_EN: 1
; COMPUTE_PGM_RSRC2:TGID_Y_EN: 0
; COMPUTE_PGM_RSRC2:TGID_Z_EN: 0
; COMPUTE_PGM_RSRC2:TIDIG_COMP_CNT: 1
; COMPUTE_PGM_RSRC3_GFX90A:ACCUM_OFFSET: 17
; COMPUTE_PGM_RSRC3_GFX90A:TG_SPLIT: 0
	.section	.text._Z17wvSplitKQ_hf_sml_I14__hip_bfloat16N3c1015Float8_e4m3fnuzELi32ELi2ELi16ELi16ELi2ELi1EEviiiiiiPKT0_S5_PKT_PS6_PKfSB_ii,"axG",@progbits,_Z17wvSplitKQ_hf_sml_I14__hip_bfloat16N3c1015Float8_e4m3fnuzELi32ELi2ELi16ELi16ELi2ELi1EEviiiiiiPKT0_S5_PKT_PS6_PKfSB_ii,comdat
	.protected	_Z17wvSplitKQ_hf_sml_I14__hip_bfloat16N3c1015Float8_e4m3fnuzELi32ELi2ELi16ELi16ELi2ELi1EEviiiiiiPKT0_S5_PKT_PS6_PKfSB_ii ; -- Begin function _Z17wvSplitKQ_hf_sml_I14__hip_bfloat16N3c1015Float8_e4m3fnuzELi32ELi2ELi16ELi16ELi2ELi1EEviiiiiiPKT0_S5_PKT_PS6_PKfSB_ii
	.globl	_Z17wvSplitKQ_hf_sml_I14__hip_bfloat16N3c1015Float8_e4m3fnuzELi32ELi2ELi16ELi16ELi2ELi1EEviiiiiiPKT0_S5_PKT_PS6_PKfSB_ii
	.p2align	8
	.type	_Z17wvSplitKQ_hf_sml_I14__hip_bfloat16N3c1015Float8_e4m3fnuzELi32ELi2ELi16ELi16ELi2ELi1EEviiiiiiPKT0_S5_PKT_PS6_PKfSB_ii,@function
_Z17wvSplitKQ_hf_sml_I14__hip_bfloat16N3c1015Float8_e4m3fnuzELi32ELi2ELi16ELi16ELi2ELi1EEviiiiiiPKT0_S5_PKT_PS6_PKfSB_ii: ; @_Z17wvSplitKQ_hf_sml_I14__hip_bfloat16N3c1015Float8_e4m3fnuzELi32ELi2ELi16ELi16ELi2ELi1EEviiiiiiPKT0_S5_PKT_PS6_PKfSB_ii
; %bb.0:
	s_load_dwordx4 s[16:19], s[0:1], 0x0
	v_and_b32_e32 v4, 0x3ff, v0
	v_bfe_u32 v5, v0, 10, 10
	v_lshlrev_b32_e32 v40, 4, v4
	v_lshl_add_u32 v0, v5, 9, v40
	s_waitcnt lgkmcnt(0)
	s_min_u32 s3, s17, 0x10000
	v_cmp_gt_u32_e32 vcc, s3, v0
	s_and_saveexec_b64 s[4:5], vcc
	s_cbranch_execz .LBB386_9
; %bb.1:
	s_load_dwordx2 s[6:7], s[0:1], 0x20
	v_add_u32_e32 v1, 0x2000, v0
	v_cmp_gt_u32_e32 vcc, s3, v1
	s_waitcnt lgkmcnt(0)
	global_load_dwordx4 v[6:9], v0, s[6:7]
	s_waitcnt vmcnt(0)
	ds_write_b128 v0, v[6:9]
	s_and_saveexec_b64 s[8:9], vcc
	s_xor_b64 s[8:9], exec, s[8:9]
	s_cbranch_execz .LBB386_9
; %bb.2:
	v_mov_b32_e32 v1, 0
	v_lshl_add_u64 v[2:3], s[6:7], 0, v[0:1]
	v_add_co_u32_e32 v6, vcc, 0x2000, v2
	v_add_u32_e32 v1, 0x4000, v0
	s_nop 0
	v_addc_co_u32_e32 v7, vcc, 0, v3, vcc
	global_load_dwordx4 v[6:9], v[6:7], off
	v_cmp_gt_u32_e32 vcc, s3, v1
	s_waitcnt vmcnt(0)
	ds_write_b128 v0, v[6:9] offset:8192
	s_and_saveexec_b64 s[6:7], vcc
	s_xor_b64 s[6:7], exec, s[6:7]
	s_cbranch_execz .LBB386_9
; %bb.3:
	v_add_co_u32_e32 v6, vcc, 0x4000, v2
	v_add_u32_e32 v1, 0x6000, v0
	s_nop 0
	v_addc_co_u32_e32 v7, vcc, 0, v3, vcc
	global_load_dwordx4 v[6:9], v[6:7], off
	v_cmp_gt_u32_e32 vcc, s3, v1
	s_waitcnt vmcnt(0)
	ds_write_b128 v0, v[6:9] offset:16384
	s_and_saveexec_b64 s[6:7], vcc
	s_xor_b64 s[6:7], exec, s[6:7]
	s_cbranch_execz .LBB386_9
; %bb.4:
	;; [unrolled: 12-line block ×6, first 2 shown]
	v_add_co_u32_e32 v2, vcc, 0xe000, v2
	s_nop 1
	v_addc_co_u32_e32 v3, vcc, 0, v3, vcc
	global_load_dwordx4 v[6:9], v[2:3], off
	s_waitcnt vmcnt(0)
	ds_write_b128 v0, v[6:9] offset:57344
.LBB386_9:
	s_or_b64 exec, exec, s[4:5]
	s_load_dwordx2 s[4:5], s[0:1], 0x48
	;;#ASMSTART
	s_waitcnt vmcnt(0)
	;;#ASMEND
	s_waitcnt lgkmcnt(0)
	s_barrier
	v_cmp_gt_u32_e32 vcc, s4, v5
	s_and_saveexec_b64 s[6:7], vcc
	s_cbranch_execz .LBB386_33
; %bb.10:
	s_load_dword s17, s[0:1], 0x10
	s_mul_i32 s2, s2, s4
	v_add_lshl_u32 v32, s2, v5, 1
	v_cmp_gt_u32_e32 vcc, s19, v32
	s_and_b64 exec, exec, vcc
	s_cbranch_execz .LBB386_33
; %bb.11:
	v_mbcnt_lo_u32_b32 v0, -1, 0
	v_mbcnt_hi_u32_b32 v0, -1, v0
	v_and_b32_e32 v1, 63, v0
	v_cmp_lt_u32_e32 vcc, 43, v1
	s_load_dwordx8 s[8:15], s[0:1], 0x28
	s_load_dwordx2 s[6:7], s[0:1], 0x18
	v_cndmask_b32_e64 v2, 20, 0, vcc
	v_add_lshl_u32 v41, v2, v0, 2
	s_waitcnt lgkmcnt(0)
	v_cvt_f32_u32_e32 v2, s17
	v_cmp_lt_u32_e32 vcc, 23, v1
	s_cmp_lg_u32 s16, 0
	s_cselect_b64 s[2:3], -1, 0
	v_cndmask_b32_e64 v1, 40, 0, vcc
	v_add_lshl_u32 v42, v1, v0, 2
	v_rcp_iflag_f32_e32 v0, v2
	s_add_i32 s24, s16, -16
	s_add_i32 s25, s19, -1
	s_cmp_lg_u64 s[8:9], 0
	v_mul_f32_e32 v0, 0x4f7ffffe, v0
	v_cvt_u32_f32_e32 v0, v0
	s_mul_i32 s20, s4, s5
	s_load_dword s22, s[12:13], 0x0
	s_load_dword s23, s[14:15], 0x0
	s_cselect_b64 s[4:5], -1, 0
	s_sub_i32 s14, 0, s17
	v_mul_lo_u32 v1, s14, v0
	v_mul_hi_u32 v1, v0, v1
	v_add_u32_e32 v43, v0, v1
	v_cndmask_b32_e64 v0, 0, 1, s[2:3]
	v_cmp_ne_u32_e64 s[2:3], 1, v0
	v_cndmask_b32_e64 v0, 0, 1, s[4:5]
	v_cmp_eq_u32_e64 s[0:1], 0, v4
	s_mov_b64 s[12:13], 0
	s_lshl_b32 s26, s20, 1
	v_mov_b32_e32 v35, 0
	v_cmp_ne_u32_e64 s[4:5], 1, v0
	s_mov_b32 s27, 0x7f800000
	s_movk_i32 s28, 0x7fff
	s_branch .LBB386_14
.LBB386_12:                             ;   in Loop: Header=BB386_14 Depth=1
	s_or_b64 exec, exec, s[20:21]
	global_store_short_d16_hi v[0:1], v3, off offset:2
.LBB386_13:                             ;   in Loop: Header=BB386_14 Depth=1
	s_or_b64 exec, exec, s[14:15]
	v_add_u32_e32 v32, s26, v32
	v_cmp_le_u32_e32 vcc, s19, v32
	s_or_b64 s[12:13], vcc, s[12:13]
	s_andn2_b64 exec, exec, s[12:13]
	s_cbranch_execz .LBB386_33
.LBB386_14:                             ; =>This Loop Header: Depth=1
                                        ;     Child Loop BB386_18 Depth 2
	s_and_b64 vcc, exec, s[2:3]
	v_or_b32_e32 v44, 1, v32
	v_mov_b32_e32 v7, v35
	v_mov_b32_e32 v6, v35
	;; [unrolled: 1-line block ×3, first 2 shown]
	s_waitcnt vmcnt(1)
	v_mov_b32_e32 v4, v35
	s_waitcnt lgkmcnt(0)
	v_mov_b32_e32 v3, v35
	v_mov_b32_e32 v2, v35
	;; [unrolled: 1-line block ×4, first 2 shown]
	s_cbranch_vccnz .LBB386_21
; %bb.15:                               ;   in Loop: Header=BB386_14 Depth=1
	v_min_u32_e32 v0, s25, v32
	v_mul_lo_u32 v36, v0, s18
	v_min_u32_e32 v0, s25, v44
	v_mul_lo_u32 v38, v0, s18
	v_mov_b32_e32 v0, 0
	v_mov_b32_e32 v37, v35
	;; [unrolled: 1-line block ×3, first 2 shown]
	s_mov_b32 s29, 0
	v_mov_b32_e32 v1, v0
	v_mov_b32_e32 v2, v0
	;; [unrolled: 1-line block ×7, first 2 shown]
	s_branch .LBB386_18
.LBB386_16:                             ;   in Loop: Header=BB386_18 Depth=2
	s_or_b64 exec, exec, s[20:21]
.LBB386_17:                             ;   in Loop: Header=BB386_18 Depth=2
	s_or_b64 exec, exec, s[14:15]
	s_waitcnt vmcnt(3) lgkmcnt(0)
	v_mfma_f32_16x16x32_fp8_fp8 v[4:7], v[28:29], v[24:25], v[4:7]
	s_addk_i32 s29, 0x400
	s_cmp_ge_u32 s29, s16
	s_waitcnt vmcnt(2)
	v_mfma_f32_16x16x32_fp8_fp8 v[0:3], v[28:29], v[20:21], v[0:3]
	v_mfma_f32_16x16x32_fp8_fp8 v[4:7], v[30:31], v[26:27], v[4:7]
	;; [unrolled: 1-line block ×3, first 2 shown]
	s_waitcnt vmcnt(1)
	v_mfma_f32_16x16x32_fp8_fp8 v[4:7], v[12:13], v[16:17], v[4:7]
	s_waitcnt vmcnt(0)
	v_mfma_f32_16x16x32_fp8_fp8 v[0:3], v[12:13], v[8:9], v[0:3]
	v_mfma_f32_16x16x32_fp8_fp8 v[4:7], v[14:15], v[18:19], v[4:7]
	;; [unrolled: 1-line block ×3, first 2 shown]
	s_cbranch_scc1 .LBB386_21
.LBB386_18:                             ;   Parent Loop BB386_14 Depth=1
                                        ; =>  This Inner Loop Header: Depth=2
	v_add_u32_e32 v33, s29, v40
	v_min_u32_e32 v34, s24, v33
	v_lshl_add_u64 v[8:9], s[6:7], 0, v[34:35]
	v_add_u32_e32 v45, 0x200, v33
	v_lshl_add_u64 v[10:11], v[8:9], 0, v[36:37]
	v_lshl_add_u64 v[8:9], v[8:9], 0, v[38:39]
	v_min_u32_e32 v34, s24, v45
	global_load_dwordx4 v[24:27], v[10:11], off nt
	global_load_dwordx4 v[20:23], v[8:9], off nt
	v_lshl_add_u64 v[8:9], s[6:7], 0, v[34:35]
	v_lshl_add_u64 v[12:13], v[8:9], 0, v[36:37]
	;; [unrolled: 1-line block ×3, first 2 shown]
	global_load_dwordx4 v[16:19], v[12:13], off nt
	global_load_dwordx4 v[8:11], v[14:15], off nt
	v_mov_b64_e32 v[28:29], 0
	v_cmp_gt_u32_e32 vcc, s16, v33
	v_mov_b64_e32 v[30:31], v[28:29]
	v_mov_b64_e32 v[12:13], v[28:29]
	v_mov_b64_e32 v[14:15], v[28:29]
	s_and_saveexec_b64 s[14:15], vcc
	s_cbranch_execz .LBB386_17
; %bb.19:                               ;   in Loop: Header=BB386_18 Depth=2
	ds_read_b128 v[28:31], v33
	v_mov_b64_e32 v[14:15], 0
	v_cmp_gt_u32_e32 vcc, s16, v45
	v_mov_b64_e32 v[12:13], v[14:15]
	s_and_saveexec_b64 s[20:21], vcc
	s_cbranch_execz .LBB386_16
; %bb.20:                               ;   in Loop: Header=BB386_18 Depth=2
	ds_read_b128 v[12:15], v33 offset:512
	s_branch .LBB386_16
.LBB386_21:                             ;   in Loop: Header=BB386_14 Depth=1
	s_nop 4
	v_cvt_i32_f32_e32 v5, v5
	v_cvt_i32_f32_e32 v1, v1
	;; [unrolled: 1-line block ×6, first 2 shown]
	v_cvt_f32_i32_dpp v5, v5 row_shl:1 row_mask:0xf bank_mask:0xf bound_ctrl:1
	v_cvt_f32_i32_dpp v1, v1 row_shl:1 row_mask:0xf bank_mask:0xf bound_ctrl:1
	;; [unrolled: 1-line block ×6, first 2 shown]
	v_add_f32_e32 v4, v4, v5
	v_add_f32_e32 v0, v0, v1
	;; [unrolled: 1-line block ×6, first 2 shown]
	ds_bpermute_b32 v5, v41, v4
	ds_bpermute_b32 v3, v41, v2
	s_waitcnt lgkmcnt(0)
	v_add_f32_e32 v0, v4, v5
	v_add_f32_e32 v2, v2, v3
	ds_bpermute_b32 v1, v42, v0
	ds_bpermute_b32 v3, v42, v2
	s_and_saveexec_b64 s[14:15], s[0:1]
	s_cbranch_execz .LBB386_13
; %bb.22:                               ;   in Loop: Header=BB386_14 Depth=1
	s_and_b64 vcc, exec, s[4:5]
	v_mov_b32_e32 v4, 0
	v_mov_b32_e32 v5, 0
	s_cbranch_vccnz .LBB386_24
; %bb.23:                               ;   in Loop: Header=BB386_14 Depth=1
	v_mul_hi_u32 v4, v32, v43
	v_mul_lo_u32 v4, v4, s17
	v_sub_u32_e32 v4, v32, v4
	v_subrev_u32_e32 v5, s17, v4
	v_cmp_le_u32_e32 vcc, s17, v4
	s_nop 1
	v_cndmask_b32_e32 v4, v4, v5, vcc
	v_subrev_u32_e32 v5, s17, v4
	v_cmp_le_u32_e32 vcc, s17, v4
	s_nop 1
	v_cndmask_b32_e32 v34, v4, v5, vcc
	v_mul_hi_u32 v4, v44, v43
	v_mul_lo_u32 v4, v4, s17
	v_sub_u32_e32 v4, v44, v4
	v_subrev_u32_e32 v5, s17, v4
	v_cmp_le_u32_e32 vcc, s17, v4
	v_lshl_add_u64 v[6:7], v[34:35], 1, s[8:9]
	s_nop 0
	v_cndmask_b32_e32 v4, v4, v5, vcc
	v_subrev_u32_e32 v5, s17, v4
	v_cmp_le_u32_e32 vcc, s17, v4
	s_nop 1
	v_cndmask_b32_e32 v34, v4, v5, vcc
	v_lshl_add_u64 v[8:9], v[34:35], 1, s[8:9]
	global_load_ushort v5, v[6:7], off
	global_load_ushort v4, v[8:9], off
.LBB386_24:                             ;   in Loop: Header=BB386_14 Depth=1
	s_waitcnt lgkmcnt(1)
	v_add_f32_e32 v0, v0, v1
	v_mul_f32_e32 v1, s22, v0
	s_waitcnt vmcnt(1)
	v_lshlrev_b32_e32 v0, 16, v5
	v_fmac_f32_e32 v0, s23, v1
	v_and_b32_e32 v1, 0x7f800000, v0
	v_cmp_ne_u32_e32 vcc, s27, v1
                                        ; implicit-def: $vgpr5
	s_and_saveexec_b64 s[20:21], vcc
	s_xor_b64 s[20:21], exec, s[20:21]
; %bb.25:                               ;   in Loop: Header=BB386_14 Depth=1
	v_bfe_u32 v1, v0, 16, 1
	v_add3_u32 v5, v0, v1, s28
                                        ; implicit-def: $vgpr0
; %bb.26:                               ;   in Loop: Header=BB386_14 Depth=1
	s_andn2_saveexec_b64 s[20:21], s[20:21]
; %bb.27:                               ;   in Loop: Header=BB386_14 Depth=1
	v_or_b32_e32 v1, 0x10000, v0
	v_cmp_eq_u32_sdwa vcc, v0, v35 src0_sel:WORD_0 src1_sel:DWORD
	s_nop 1
	v_cndmask_b32_e32 v5, v1, v0, vcc
; %bb.28:                               ;   in Loop: Header=BB386_14 Depth=1
	s_or_b64 exec, exec, s[20:21]
	v_mov_b32_e32 v33, v35
	v_lshl_add_u64 v[0:1], v[32:33], 1, s[10:11]
	v_cmp_gt_u32_e32 vcc, s19, v44
	global_store_short_d16_hi v[0:1], v5, off
	s_and_b64 exec, exec, vcc
	s_cbranch_execz .LBB386_13
; %bb.29:                               ;   in Loop: Header=BB386_14 Depth=1
	s_waitcnt lgkmcnt(0)
	v_add_f32_e32 v2, v2, v3
	v_mul_f32_e32 v3, s22, v2
	s_waitcnt vmcnt(1)
	v_lshlrev_b32_e32 v2, 16, v4
	v_fmac_f32_e32 v2, s23, v3
	v_and_b32_e32 v3, 0x7f800000, v2
	v_cmp_ne_u32_e32 vcc, s27, v3
                                        ; implicit-def: $vgpr3
	s_and_saveexec_b64 s[20:21], vcc
	s_xor_b64 s[20:21], exec, s[20:21]
; %bb.30:                               ;   in Loop: Header=BB386_14 Depth=1
	v_bfe_u32 v3, v2, 16, 1
	v_add3_u32 v3, v2, v3, s28
                                        ; implicit-def: $vgpr2
; %bb.31:                               ;   in Loop: Header=BB386_14 Depth=1
	s_andn2_saveexec_b64 s[20:21], s[20:21]
	s_cbranch_execz .LBB386_12
; %bb.32:                               ;   in Loop: Header=BB386_14 Depth=1
	v_or_b32_e32 v3, 0x10000, v2
	v_cmp_eq_u32_sdwa vcc, v2, v35 src0_sel:WORD_0 src1_sel:DWORD
	s_nop 1
	v_cndmask_b32_e32 v3, v3, v2, vcc
	s_branch .LBB386_12
.LBB386_33:
	s_endpgm
	.section	.rodata,"a",@progbits
	.p2align	6, 0x0
	.amdhsa_kernel _Z17wvSplitKQ_hf_sml_I14__hip_bfloat16N3c1015Float8_e4m3fnuzELi32ELi2ELi16ELi16ELi2ELi1EEviiiiiiPKT0_S5_PKT_PS6_PKfSB_ii
		.amdhsa_group_segment_fixed_size 65536
		.amdhsa_private_segment_fixed_size 0
		.amdhsa_kernarg_size 80
		.amdhsa_user_sgpr_count 2
		.amdhsa_user_sgpr_dispatch_ptr 0
		.amdhsa_user_sgpr_queue_ptr 0
		.amdhsa_user_sgpr_kernarg_segment_ptr 1
		.amdhsa_user_sgpr_dispatch_id 0
		.amdhsa_user_sgpr_kernarg_preload_length 0
		.amdhsa_user_sgpr_kernarg_preload_offset 0
		.amdhsa_user_sgpr_private_segment_size 0
		.amdhsa_uses_dynamic_stack 0
		.amdhsa_enable_private_segment 0
		.amdhsa_system_sgpr_workgroup_id_x 1
		.amdhsa_system_sgpr_workgroup_id_y 0
		.amdhsa_system_sgpr_workgroup_id_z 0
		.amdhsa_system_sgpr_workgroup_info 0
		.amdhsa_system_vgpr_workitem_id 1
		.amdhsa_next_free_vgpr 46
		.amdhsa_next_free_sgpr 30
		.amdhsa_accum_offset 48
		.amdhsa_reserve_vcc 1
		.amdhsa_float_round_mode_32 0
		.amdhsa_float_round_mode_16_64 0
		.amdhsa_float_denorm_mode_32 3
		.amdhsa_float_denorm_mode_16_64 3
		.amdhsa_dx10_clamp 1
		.amdhsa_ieee_mode 1
		.amdhsa_fp16_overflow 0
		.amdhsa_tg_split 0
		.amdhsa_exception_fp_ieee_invalid_op 0
		.amdhsa_exception_fp_denorm_src 0
		.amdhsa_exception_fp_ieee_div_zero 0
		.amdhsa_exception_fp_ieee_overflow 0
		.amdhsa_exception_fp_ieee_underflow 0
		.amdhsa_exception_fp_ieee_inexact 0
		.amdhsa_exception_int_div_zero 0
	.end_amdhsa_kernel
	.section	.text._Z17wvSplitKQ_hf_sml_I14__hip_bfloat16N3c1015Float8_e4m3fnuzELi32ELi2ELi16ELi16ELi2ELi1EEviiiiiiPKT0_S5_PKT_PS6_PKfSB_ii,"axG",@progbits,_Z17wvSplitKQ_hf_sml_I14__hip_bfloat16N3c1015Float8_e4m3fnuzELi32ELi2ELi16ELi16ELi2ELi1EEviiiiiiPKT0_S5_PKT_PS6_PKfSB_ii,comdat
.Lfunc_end386:
	.size	_Z17wvSplitKQ_hf_sml_I14__hip_bfloat16N3c1015Float8_e4m3fnuzELi32ELi2ELi16ELi16ELi2ELi1EEviiiiiiPKT0_S5_PKT_PS6_PKfSB_ii, .Lfunc_end386-_Z17wvSplitKQ_hf_sml_I14__hip_bfloat16N3c1015Float8_e4m3fnuzELi32ELi2ELi16ELi16ELi2ELi1EEviiiiiiPKT0_S5_PKT_PS6_PKfSB_ii
                                        ; -- End function
	.section	.AMDGPU.csdata,"",@progbits
; Kernel info:
; codeLenInByte = 1788
; NumSgprs: 36
; NumVgprs: 46
; NumAgprs: 0
; TotalNumVgprs: 46
; ScratchSize: 0
; MemoryBound: 0
; FloatMode: 240
; IeeeMode: 1
; LDSByteSize: 65536 bytes/workgroup (compile time only)
; SGPRBlocks: 4
; VGPRBlocks: 5
; NumSGPRsForWavesPerEU: 36
; NumVGPRsForWavesPerEU: 46
; AccumOffset: 48
; Occupancy: 2
; WaveLimiterHint : 0
; COMPUTE_PGM_RSRC2:SCRATCH_EN: 0
; COMPUTE_PGM_RSRC2:USER_SGPR: 2
; COMPUTE_PGM_RSRC2:TRAP_HANDLER: 0
; COMPUTE_PGM_RSRC2:TGID_X_EN: 1
; COMPUTE_PGM_RSRC2:TGID_Y_EN: 0
; COMPUTE_PGM_RSRC2:TGID_Z_EN: 0
; COMPUTE_PGM_RSRC2:TIDIG_COMP_CNT: 1
; COMPUTE_PGM_RSRC3_GFX90A:ACCUM_OFFSET: 11
; COMPUTE_PGM_RSRC3_GFX90A:TG_SPLIT: 0
	.section	.text._Z13wvSplitKQ_hf_I14__hip_bfloat16N3c1015Float8_e4m3fnuzELi32ELi2ELi16ELi16ELi2ELi1EEviiiiiiPKT0_S5_PKT_PS6_PKfSB_ii,"axG",@progbits,_Z13wvSplitKQ_hf_I14__hip_bfloat16N3c1015Float8_e4m3fnuzELi32ELi2ELi16ELi16ELi2ELi1EEviiiiiiPKT0_S5_PKT_PS6_PKfSB_ii,comdat
	.protected	_Z13wvSplitKQ_hf_I14__hip_bfloat16N3c1015Float8_e4m3fnuzELi32ELi2ELi16ELi16ELi2ELi1EEviiiiiiPKT0_S5_PKT_PS6_PKfSB_ii ; -- Begin function _Z13wvSplitKQ_hf_I14__hip_bfloat16N3c1015Float8_e4m3fnuzELi32ELi2ELi16ELi16ELi2ELi1EEviiiiiiPKT0_S5_PKT_PS6_PKfSB_ii
	.globl	_Z13wvSplitKQ_hf_I14__hip_bfloat16N3c1015Float8_e4m3fnuzELi32ELi2ELi16ELi16ELi2ELi1EEviiiiiiPKT0_S5_PKT_PS6_PKfSB_ii
	.p2align	8
	.type	_Z13wvSplitKQ_hf_I14__hip_bfloat16N3c1015Float8_e4m3fnuzELi32ELi2ELi16ELi16ELi2ELi1EEviiiiiiPKT0_S5_PKT_PS6_PKfSB_ii,@function
_Z13wvSplitKQ_hf_I14__hip_bfloat16N3c1015Float8_e4m3fnuzELi32ELi2ELi16ELi16ELi2ELi1EEviiiiiiPKT0_S5_PKT_PS6_PKfSB_ii: ; @_Z13wvSplitKQ_hf_I14__hip_bfloat16N3c1015Float8_e4m3fnuzELi32ELi2ELi16ELi16ELi2ELi1EEviiiiiiPKT0_S5_PKT_PS6_PKfSB_ii
; %bb.0:
	s_load_dwordx4 s[16:19], s[0:1], 0x0
	s_load_dwordx2 s[6:7], s[0:1], 0x20
	v_and_b32_e32 v4, 0x3ff, v0
	v_bfe_u32 v5, v0, 10, 10
	v_lshlrev_b32_e32 v40, 4, v4
	v_lshl_add_u32 v0, v5, 9, v40
	s_waitcnt lgkmcnt(0)
	s_min_u32 s3, s17, 0x10000
	v_cmp_gt_u32_e32 vcc, s3, v0
	s_and_saveexec_b64 s[4:5], vcc
	s_cbranch_execz .LBB387_9
; %bb.1:
	global_load_dwordx4 v[6:9], v0, s[6:7]
	v_add_u32_e32 v1, 0x2000, v0
	v_cmp_gt_u32_e32 vcc, s3, v1
	s_waitcnt vmcnt(0)
	ds_write_b128 v0, v[6:9]
	s_and_saveexec_b64 s[8:9], vcc
	s_xor_b64 s[8:9], exec, s[8:9]
	s_cbranch_execz .LBB387_9
; %bb.2:
	v_mov_b32_e32 v1, 0
	v_lshl_add_u64 v[2:3], s[6:7], 0, v[0:1]
	v_add_co_u32_e32 v6, vcc, 0x2000, v2
	v_add_u32_e32 v1, 0x4000, v0
	s_nop 0
	v_addc_co_u32_e32 v7, vcc, 0, v3, vcc
	global_load_dwordx4 v[6:9], v[6:7], off
	v_cmp_gt_u32_e32 vcc, s3, v1
	s_waitcnt vmcnt(0)
	ds_write_b128 v0, v[6:9] offset:8192
	s_and_saveexec_b64 s[8:9], vcc
	s_xor_b64 s[8:9], exec, s[8:9]
	s_cbranch_execz .LBB387_9
; %bb.3:
	v_add_co_u32_e32 v6, vcc, 0x4000, v2
	v_add_u32_e32 v1, 0x6000, v0
	s_nop 0
	v_addc_co_u32_e32 v7, vcc, 0, v3, vcc
	global_load_dwordx4 v[6:9], v[6:7], off
	v_cmp_gt_u32_e32 vcc, s3, v1
	s_waitcnt vmcnt(0)
	ds_write_b128 v0, v[6:9] offset:16384
	s_and_saveexec_b64 s[8:9], vcc
	s_xor_b64 s[8:9], exec, s[8:9]
	s_cbranch_execz .LBB387_9
; %bb.4:
	;; [unrolled: 12-line block ×6, first 2 shown]
	v_add_co_u32_e32 v2, vcc, 0xe000, v2
	s_nop 1
	v_addc_co_u32_e32 v3, vcc, 0, v3, vcc
	global_load_dwordx4 v[6:9], v[2:3], off
	s_waitcnt vmcnt(0)
	ds_write_b128 v0, v[6:9] offset:57344
.LBB387_9:
	s_or_b64 exec, exec, s[4:5]
	s_load_dwordx2 s[4:5], s[0:1], 0x48
	;;#ASMSTART
	s_waitcnt vmcnt(0)
	;;#ASMEND
	s_waitcnt lgkmcnt(0)
	s_barrier
	v_cmp_gt_u32_e32 vcc, s4, v5
	s_and_saveexec_b64 s[8:9], vcc
	s_cbranch_execz .LBB387_41
; %bb.10:
	s_load_dword s17, s[0:1], 0x10
	s_mul_i32 s2, s2, s4
	v_add_lshl_u32 v32, s2, v5, 1
	v_cmp_gt_u32_e32 vcc, s19, v32
	s_and_b64 exec, exec, vcc
	s_cbranch_execz .LBB387_41
; %bb.11:
	v_mbcnt_lo_u32_b32 v0, -1, 0
	v_mbcnt_hi_u32_b32 v0, -1, v0
	v_and_b32_e32 v1, 63, v0
	v_cmp_lt_u32_e32 vcc, 43, v1
	s_load_dwordx8 s[8:15], s[0:1], 0x28
	s_load_dwordx2 s[20:21], s[0:1], 0x18
	v_cndmask_b32_e64 v2, 20, 0, vcc
	v_add_lshl_u32 v41, v2, v0, 2
	s_waitcnt lgkmcnt(0)
	v_cvt_f32_u32_e32 v2, s17
	v_cmp_lt_u32_e32 vcc, 23, v1
	s_cmp_lg_u32 s16, 0
	s_cselect_b64 s[2:3], -1, 0
	v_cndmask_b32_e64 v1, 40, 0, vcc
	v_add_lshl_u32 v42, v1, v0, 2
	v_rcp_iflag_f32_e32 v0, v2
	s_add_i32 s28, s16, -16
	s_add_i32 s29, s19, -1
	s_cmp_lg_u64 s[8:9], 0
	v_mul_f32_e32 v0, 0x4f7ffffe, v0
	v_cvt_u32_f32_e32 v0, v0
	s_mul_i32 s22, s4, s5
	s_load_dword s26, s[12:13], 0x0
	s_load_dword s27, s[14:15], 0x0
	s_cselect_b64 s[4:5], -1, 0
	s_sub_i32 s14, 0, s17
	v_mul_lo_u32 v1, s14, v0
	v_mul_hi_u32 v1, v0, v1
	v_add_u32_e32 v43, v0, v1
	v_cndmask_b32_e64 v0, 0, 1, s[2:3]
	v_cmp_ne_u32_e64 s[2:3], 1, v0
	v_cndmask_b32_e64 v0, 0, 1, s[4:5]
	v_cmp_eq_u32_e64 s[0:1], 0, v4
	s_mov_b64 s[12:13], 0
	s_lshl_b32 s30, s22, 1
	v_mov_b32_e32 v35, 0
	s_mov_b32 s31, 0xffff
	v_cmp_ne_u32_e64 s[4:5], 1, v0
	s_mov_b32 s33, 0x7f800000
	s_movk_i32 s34, 0x7fff
	s_branch .LBB387_14
.LBB387_12:                             ;   in Loop: Header=BB387_14 Depth=1
	s_or_b64 exec, exec, s[22:23]
	global_store_short_d16_hi v[0:1], v3, off offset:2
.LBB387_13:                             ;   in Loop: Header=BB387_14 Depth=1
	s_or_b64 exec, exec, s[14:15]
	v_add_u32_e32 v32, s30, v32
	v_cmp_le_u32_e32 vcc, s19, v32
	s_or_b64 s[12:13], vcc, s[12:13]
	s_andn2_b64 exec, exec, s[12:13]
	s_cbranch_execz .LBB387_41
.LBB387_14:                             ; =>This Loop Header: Depth=1
                                        ;     Child Loop BB387_19 Depth 2
	s_and_b64 vcc, exec, s[2:3]
	v_or_b32_e32 v44, 1, v32
	v_mov_b32_e32 v7, v35
	v_mov_b32_e32 v6, v35
	;; [unrolled: 1-line block ×3, first 2 shown]
	s_waitcnt vmcnt(1)
	v_mov_b32_e32 v4, v35
	s_waitcnt lgkmcnt(0)
	v_mov_b32_e32 v3, v35
	v_mov_b32_e32 v2, v35
	;; [unrolled: 1-line block ×4, first 2 shown]
	s_cbranch_vccnz .LBB387_29
; %bb.15:                               ;   in Loop: Header=BB387_14 Depth=1
	v_min_u32_e32 v0, s29, v32
	v_mul_lo_u32 v36, v0, s18
	v_min_u32_e32 v0, s29, v44
	v_mul_lo_u32 v38, v0, s18
	v_mov_b32_e32 v0, 0
	v_mov_b32_e32 v37, v35
	;; [unrolled: 1-line block ×3, first 2 shown]
	s_mov_b32 s35, 0
	v_mov_b32_e32 v1, v0
	v_mov_b32_e32 v2, v0
	;; [unrolled: 1-line block ×7, first 2 shown]
	s_branch .LBB387_19
.LBB387_16:                             ;   in Loop: Header=BB387_19 Depth=2
	s_or_b64 exec, exec, s[24:25]
.LBB387_17:                             ;   in Loop: Header=BB387_19 Depth=2
	s_or_b64 exec, exec, s[22:23]
.LBB387_18:                             ;   in Loop: Header=BB387_19 Depth=2
	s_or_b64 exec, exec, s[14:15]
	s_waitcnt vmcnt(0) lgkmcnt(0)
	v_mfma_f32_16x16x32_fp8_fp8 v[4:7], v[24:25], v[20:21], v[4:7]
	s_addk_i32 s35, 0x400
	s_cmp_ge_u32 s35, s16
	v_mfma_f32_16x16x32_fp8_fp8 v[0:3], v[24:25], v[16:17], v[0:3]
	v_mfma_f32_16x16x32_fp8_fp8 v[4:7], v[26:27], v[22:23], v[4:7]
	;; [unrolled: 1-line block ×7, first 2 shown]
	s_cbranch_scc1 .LBB387_29
.LBB387_19:                             ;   Parent Loop BB387_14 Depth=1
                                        ; =>  This Inner Loop Header: Depth=2
	v_add_u32_e32 v33, s35, v40
	v_min_u32_e32 v34, s28, v33
	v_lshl_add_u64 v[8:9], s[20:21], 0, v[34:35]
	v_add_u32_e32 v45, 0x200, v33
	v_lshl_add_u64 v[10:11], v[8:9], 0, v[36:37]
	v_lshl_add_u64 v[8:9], v[8:9], 0, v[38:39]
	v_min_u32_e32 v34, s28, v45
	global_load_dwordx4 v[20:23], v[10:11], off nt
	global_load_dwordx4 v[16:19], v[8:9], off nt
	v_lshl_add_u64 v[8:9], s[20:21], 0, v[34:35]
	v_lshl_add_u64 v[24:25], v[8:9], 0, v[36:37]
	;; [unrolled: 1-line block ×3, first 2 shown]
	global_load_dwordx4 v[12:15], v[24:25], off nt
	global_load_dwordx4 v[8:11], v[26:27], off nt
	v_mov_b64_e32 v[30:31], 0
	v_cmp_gt_u32_e32 vcc, s16, v33
	v_mov_b64_e32 v[28:29], v[30:31]
	v_mov_b64_e32 v[26:27], v[30:31]
	v_mov_b64_e32 v[24:25], v[30:31]
	s_and_saveexec_b64 s[14:15], vcc
	s_cbranch_execz .LBB387_18
; %bb.20:                               ;   in Loop: Header=BB387_19 Depth=2
	v_cmp_lt_u32_e32 vcc, s31, v33
                                        ; implicit-def: $vgpr26_vgpr27
	s_and_saveexec_b64 s[22:23], vcc
	s_xor_b64 s[22:23], exec, s[22:23]
	s_cbranch_execz .LBB387_22
; %bb.21:                               ;   in Loop: Header=BB387_19 Depth=2
	global_load_dwordx4 v[24:27], v33, s[6:7]
.LBB387_22:                             ;   in Loop: Header=BB387_19 Depth=2
	s_andn2_saveexec_b64 s[22:23], s[22:23]
	s_cbranch_execz .LBB387_24
; %bb.23:                               ;   in Loop: Header=BB387_19 Depth=2
	s_waitcnt vmcnt(0)
	ds_read_b128 v[24:27], v33
.LBB387_24:                             ;   in Loop: Header=BB387_19 Depth=2
	s_or_b64 exec, exec, s[22:23]
	v_mov_b64_e32 v[30:31], 0
	v_cmp_gt_u32_e32 vcc, s16, v45
	v_mov_b64_e32 v[28:29], v[30:31]
	s_and_saveexec_b64 s[22:23], vcc
	s_cbranch_execz .LBB387_17
; %bb.25:                               ;   in Loop: Header=BB387_19 Depth=2
	v_cmp_lt_u32_e32 vcc, s31, v45
                                        ; implicit-def: $vgpr30_vgpr31
	s_and_saveexec_b64 s[24:25], vcc
	s_xor_b64 s[24:25], exec, s[24:25]
	s_cbranch_execz .LBB387_27
; %bb.26:                               ;   in Loop: Header=BB387_19 Depth=2
	global_load_dwordx4 v[28:31], v45, s[6:7]
                                        ; implicit-def: $vgpr33
.LBB387_27:                             ;   in Loop: Header=BB387_19 Depth=2
	s_andn2_saveexec_b64 s[24:25], s[24:25]
	s_cbranch_execz .LBB387_16
; %bb.28:                               ;   in Loop: Header=BB387_19 Depth=2
	s_waitcnt vmcnt(0)
	ds_read_b128 v[28:31], v33 offset:512
	s_branch .LBB387_16
.LBB387_29:                             ;   in Loop: Header=BB387_14 Depth=1
	s_nop 4
	v_cvt_i32_f32_e32 v5, v5
	v_cvt_i32_f32_e32 v1, v1
	v_cvt_i32_f32_e32 v6, v6
	v_cvt_i32_f32_e32 v2, v2
	v_cvt_i32_f32_e32 v7, v7
	v_cvt_i32_f32_e32 v3, v3
	v_cvt_f32_i32_dpp v5, v5 row_shl:1 row_mask:0xf bank_mask:0xf bound_ctrl:1
	v_cvt_f32_i32_dpp v1, v1 row_shl:1 row_mask:0xf bank_mask:0xf bound_ctrl:1
	;; [unrolled: 1-line block ×6, first 2 shown]
	v_add_f32_e32 v4, v4, v5
	v_add_f32_e32 v0, v0, v1
	;; [unrolled: 1-line block ×6, first 2 shown]
	ds_bpermute_b32 v5, v41, v4
	ds_bpermute_b32 v3, v41, v2
	s_waitcnt lgkmcnt(0)
	v_add_f32_e32 v0, v4, v5
	v_add_f32_e32 v2, v2, v3
	ds_bpermute_b32 v1, v42, v0
	ds_bpermute_b32 v3, v42, v2
	s_and_saveexec_b64 s[14:15], s[0:1]
	s_cbranch_execz .LBB387_13
; %bb.30:                               ;   in Loop: Header=BB387_14 Depth=1
	s_and_b64 vcc, exec, s[4:5]
	v_mov_b32_e32 v4, 0
	v_mov_b32_e32 v5, 0
	s_cbranch_vccnz .LBB387_32
; %bb.31:                               ;   in Loop: Header=BB387_14 Depth=1
	v_mul_hi_u32 v4, v32, v43
	v_mul_lo_u32 v4, v4, s17
	v_sub_u32_e32 v4, v32, v4
	v_subrev_u32_e32 v5, s17, v4
	v_cmp_le_u32_e32 vcc, s17, v4
	s_nop 1
	v_cndmask_b32_e32 v4, v4, v5, vcc
	v_subrev_u32_e32 v5, s17, v4
	v_cmp_le_u32_e32 vcc, s17, v4
	s_nop 1
	v_cndmask_b32_e32 v34, v4, v5, vcc
	v_mul_hi_u32 v4, v44, v43
	v_mul_lo_u32 v4, v4, s17
	v_sub_u32_e32 v4, v44, v4
	v_subrev_u32_e32 v5, s17, v4
	v_cmp_le_u32_e32 vcc, s17, v4
	v_lshl_add_u64 v[6:7], v[34:35], 1, s[8:9]
	s_nop 0
	v_cndmask_b32_e32 v4, v4, v5, vcc
	v_subrev_u32_e32 v5, s17, v4
	v_cmp_le_u32_e32 vcc, s17, v4
	s_nop 1
	v_cndmask_b32_e32 v34, v4, v5, vcc
	v_lshl_add_u64 v[8:9], v[34:35], 1, s[8:9]
	global_load_ushort v5, v[6:7], off
	global_load_ushort v4, v[8:9], off
.LBB387_32:                             ;   in Loop: Header=BB387_14 Depth=1
	s_waitcnt lgkmcnt(1)
	v_add_f32_e32 v0, v0, v1
	v_mul_f32_e32 v1, s26, v0
	s_waitcnt vmcnt(1)
	v_lshlrev_b32_e32 v0, 16, v5
	v_fmac_f32_e32 v0, s27, v1
	v_and_b32_e32 v1, 0x7f800000, v0
	v_cmp_ne_u32_e32 vcc, s33, v1
                                        ; implicit-def: $vgpr5
	s_and_saveexec_b64 s[22:23], vcc
	s_xor_b64 s[22:23], exec, s[22:23]
; %bb.33:                               ;   in Loop: Header=BB387_14 Depth=1
	v_bfe_u32 v1, v0, 16, 1
	v_add3_u32 v5, v0, v1, s34
                                        ; implicit-def: $vgpr0
; %bb.34:                               ;   in Loop: Header=BB387_14 Depth=1
	s_andn2_saveexec_b64 s[22:23], s[22:23]
; %bb.35:                               ;   in Loop: Header=BB387_14 Depth=1
	v_or_b32_e32 v1, 0x10000, v0
	v_cmp_eq_u32_sdwa vcc, v0, v35 src0_sel:WORD_0 src1_sel:DWORD
	s_nop 1
	v_cndmask_b32_e32 v5, v1, v0, vcc
; %bb.36:                               ;   in Loop: Header=BB387_14 Depth=1
	s_or_b64 exec, exec, s[22:23]
	v_mov_b32_e32 v33, v35
	v_lshl_add_u64 v[0:1], v[32:33], 1, s[10:11]
	v_cmp_gt_u32_e32 vcc, s19, v44
	global_store_short_d16_hi v[0:1], v5, off
	s_and_b64 exec, exec, vcc
	s_cbranch_execz .LBB387_13
; %bb.37:                               ;   in Loop: Header=BB387_14 Depth=1
	s_waitcnt lgkmcnt(0)
	v_add_f32_e32 v2, v2, v3
	v_mul_f32_e32 v3, s26, v2
	s_waitcnt vmcnt(1)
	v_lshlrev_b32_e32 v2, 16, v4
	v_fmac_f32_e32 v2, s27, v3
	v_and_b32_e32 v3, 0x7f800000, v2
	v_cmp_ne_u32_e32 vcc, s33, v3
                                        ; implicit-def: $vgpr3
	s_and_saveexec_b64 s[22:23], vcc
	s_xor_b64 s[22:23], exec, s[22:23]
; %bb.38:                               ;   in Loop: Header=BB387_14 Depth=1
	v_bfe_u32 v3, v2, 16, 1
	v_add3_u32 v3, v2, v3, s34
                                        ; implicit-def: $vgpr2
; %bb.39:                               ;   in Loop: Header=BB387_14 Depth=1
	s_andn2_saveexec_b64 s[22:23], s[22:23]
	s_cbranch_execz .LBB387_12
; %bb.40:                               ;   in Loop: Header=BB387_14 Depth=1
	v_or_b32_e32 v3, 0x10000, v2
	v_cmp_eq_u32_sdwa vcc, v2, v35 src0_sel:WORD_0 src1_sel:DWORD
	s_nop 1
	v_cndmask_b32_e32 v3, v3, v2, vcc
	s_branch .LBB387_12
.LBB387_41:
	s_endpgm
	.section	.rodata,"a",@progbits
	.p2align	6, 0x0
	.amdhsa_kernel _Z13wvSplitKQ_hf_I14__hip_bfloat16N3c1015Float8_e4m3fnuzELi32ELi2ELi16ELi16ELi2ELi1EEviiiiiiPKT0_S5_PKT_PS6_PKfSB_ii
		.amdhsa_group_segment_fixed_size 65536
		.amdhsa_private_segment_fixed_size 0
		.amdhsa_kernarg_size 80
		.amdhsa_user_sgpr_count 2
		.amdhsa_user_sgpr_dispatch_ptr 0
		.amdhsa_user_sgpr_queue_ptr 0
		.amdhsa_user_sgpr_kernarg_segment_ptr 1
		.amdhsa_user_sgpr_dispatch_id 0
		.amdhsa_user_sgpr_kernarg_preload_length 0
		.amdhsa_user_sgpr_kernarg_preload_offset 0
		.amdhsa_user_sgpr_private_segment_size 0
		.amdhsa_uses_dynamic_stack 0
		.amdhsa_enable_private_segment 0
		.amdhsa_system_sgpr_workgroup_id_x 1
		.amdhsa_system_sgpr_workgroup_id_y 0
		.amdhsa_system_sgpr_workgroup_id_z 0
		.amdhsa_system_sgpr_workgroup_info 0
		.amdhsa_system_vgpr_workitem_id 1
		.amdhsa_next_free_vgpr 46
		.amdhsa_next_free_sgpr 36
		.amdhsa_accum_offset 48
		.amdhsa_reserve_vcc 1
		.amdhsa_float_round_mode_32 0
		.amdhsa_float_round_mode_16_64 0
		.amdhsa_float_denorm_mode_32 3
		.amdhsa_float_denorm_mode_16_64 3
		.amdhsa_dx10_clamp 1
		.amdhsa_ieee_mode 1
		.amdhsa_fp16_overflow 0
		.amdhsa_tg_split 0
		.amdhsa_exception_fp_ieee_invalid_op 0
		.amdhsa_exception_fp_denorm_src 0
		.amdhsa_exception_fp_ieee_div_zero 0
		.amdhsa_exception_fp_ieee_overflow 0
		.amdhsa_exception_fp_ieee_underflow 0
		.amdhsa_exception_fp_ieee_inexact 0
		.amdhsa_exception_int_div_zero 0
	.end_amdhsa_kernel
	.section	.text._Z13wvSplitKQ_hf_I14__hip_bfloat16N3c1015Float8_e4m3fnuzELi32ELi2ELi16ELi16ELi2ELi1EEviiiiiiPKT0_S5_PKT_PS6_PKfSB_ii,"axG",@progbits,_Z13wvSplitKQ_hf_I14__hip_bfloat16N3c1015Float8_e4m3fnuzELi32ELi2ELi16ELi16ELi2ELi1EEviiiiiiPKT0_S5_PKT_PS6_PKfSB_ii,comdat
.Lfunc_end387:
	.size	_Z13wvSplitKQ_hf_I14__hip_bfloat16N3c1015Float8_e4m3fnuzELi32ELi2ELi16ELi16ELi2ELi1EEviiiiiiPKT0_S5_PKT_PS6_PKfSB_ii, .Lfunc_end387-_Z13wvSplitKQ_hf_I14__hip_bfloat16N3c1015Float8_e4m3fnuzELi32ELi2ELi16ELi16ELi2ELi1EEviiiiiiPKT0_S5_PKT_PS6_PKfSB_ii
                                        ; -- End function
	.section	.AMDGPU.csdata,"",@progbits
; Kernel info:
; codeLenInByte = 1860
; NumSgprs: 42
; NumVgprs: 46
; NumAgprs: 0
; TotalNumVgprs: 46
; ScratchSize: 0
; MemoryBound: 1
; FloatMode: 240
; IeeeMode: 1
; LDSByteSize: 65536 bytes/workgroup (compile time only)
; SGPRBlocks: 5
; VGPRBlocks: 5
; NumSGPRsForWavesPerEU: 42
; NumVGPRsForWavesPerEU: 46
; AccumOffset: 48
; Occupancy: 2
; WaveLimiterHint : 0
; COMPUTE_PGM_RSRC2:SCRATCH_EN: 0
; COMPUTE_PGM_RSRC2:USER_SGPR: 2
; COMPUTE_PGM_RSRC2:TRAP_HANDLER: 0
; COMPUTE_PGM_RSRC2:TGID_X_EN: 1
; COMPUTE_PGM_RSRC2:TGID_Y_EN: 0
; COMPUTE_PGM_RSRC2:TGID_Z_EN: 0
; COMPUTE_PGM_RSRC2:TIDIG_COMP_CNT: 1
; COMPUTE_PGM_RSRC3_GFX90A:ACCUM_OFFSET: 11
; COMPUTE_PGM_RSRC3_GFX90A:TG_SPLIT: 0
	.section	.text._Z17wvSplitKQ_hf_sml_I14__hip_bfloat16N3c1015Float8_e4m3fnuzELi64ELi2ELi16ELi16ELi2ELi1EEviiiiiiPKT0_S5_PKT_PS6_PKfSB_ii,"axG",@progbits,_Z17wvSplitKQ_hf_sml_I14__hip_bfloat16N3c1015Float8_e4m3fnuzELi64ELi2ELi16ELi16ELi2ELi1EEviiiiiiPKT0_S5_PKT_PS6_PKfSB_ii,comdat
	.protected	_Z17wvSplitKQ_hf_sml_I14__hip_bfloat16N3c1015Float8_e4m3fnuzELi64ELi2ELi16ELi16ELi2ELi1EEviiiiiiPKT0_S5_PKT_PS6_PKfSB_ii ; -- Begin function _Z17wvSplitKQ_hf_sml_I14__hip_bfloat16N3c1015Float8_e4m3fnuzELi64ELi2ELi16ELi16ELi2ELi1EEviiiiiiPKT0_S5_PKT_PS6_PKfSB_ii
	.globl	_Z17wvSplitKQ_hf_sml_I14__hip_bfloat16N3c1015Float8_e4m3fnuzELi64ELi2ELi16ELi16ELi2ELi1EEviiiiiiPKT0_S5_PKT_PS6_PKfSB_ii
	.p2align	8
	.type	_Z17wvSplitKQ_hf_sml_I14__hip_bfloat16N3c1015Float8_e4m3fnuzELi64ELi2ELi16ELi16ELi2ELi1EEviiiiiiPKT0_S5_PKT_PS6_PKfSB_ii,@function
_Z17wvSplitKQ_hf_sml_I14__hip_bfloat16N3c1015Float8_e4m3fnuzELi64ELi2ELi16ELi16ELi2ELi1EEviiiiiiPKT0_S5_PKT_PS6_PKfSB_ii: ; @_Z17wvSplitKQ_hf_sml_I14__hip_bfloat16N3c1015Float8_e4m3fnuzELi64ELi2ELi16ELi16ELi2ELi1EEviiiiiiPKT0_S5_PKT_PS6_PKfSB_ii
; %bb.0:
	s_load_dwordx4 s[8:11], s[0:1], 0x0
	s_load_dword s22, s[0:1], 0x10
	s_load_dwordx4 s[4:7], s[0:1], 0x38
	s_load_dwordx2 s[12:13], s[0:1], 0x28
	v_and_b32_e32 v2, 0x3ff, v0
	v_bfe_u32 v3, v0, 10, 10
	v_lshlrev_b32_e32 v32, 4, v2
	v_lshl_add_u32 v4, v3, 10, v32
	s_waitcnt lgkmcnt(0)
	s_min_u32 s3, s9, 0x10000
	v_cmp_gt_u32_e32 vcc, s3, v4
	s_and_saveexec_b64 s[14:15], vcc
	s_cbranch_execz .LBB388_3
; %bb.1:
	s_load_dwordx2 s[16:17], s[0:1], 0x20
	v_mov_b32_e32 v1, 0
	v_lshlrev_b32_e32 v0, 10, v3
	v_mov_b32_e32 v33, v1
	v_lshl_add_u64 v[0:1], v[0:1], 0, v[32:33]
	s_waitcnt lgkmcnt(0)
	v_lshl_add_u64 v[0:1], s[16:17], 0, v[0:1]
	s_mov_b64 s[16:17], 0
	s_mov_b64 s[18:19], 0x4000
.LBB388_2:                              ; =>This Inner Loop Header: Depth=1
	global_load_dwordx4 v[6:9], v[0:1], off
	v_lshl_add_u64 v[0:1], v[0:1], 0, s[18:19]
	s_waitcnt vmcnt(0)
	ds_write_b128 v4, v[6:9]
	v_add_u32_e32 v4, 0x4000, v4
	v_cmp_le_u32_e32 vcc, s3, v4
	s_or_b64 s[16:17], vcc, s[16:17]
	s_andn2_b64 exec, exec, s[16:17]
	s_cbranch_execnz .LBB388_2
.LBB388_3:
	s_or_b64 exec, exec, s[14:15]
	s_load_dwordx2 s[18:19], s[0:1], 0x48
	;;#ASMSTART
	s_waitcnt vmcnt(0)
	;;#ASMEND
	s_waitcnt lgkmcnt(0)
	s_barrier
	v_cmp_gt_u32_e32 vcc, s18, v3
	s_and_saveexec_b64 s[14:15], vcc
	s_cbranch_execz .LBB388_27
; %bb.4:
	s_mul_i32 s2, s2, s18
	v_add_lshl_u32 v34, s2, v3, 1
	v_cmp_gt_u32_e32 vcc, s11, v34
	s_and_b64 exec, exec, vcc
	s_cbranch_execz .LBB388_27
; %bb.5:
	v_mbcnt_lo_u32_b32 v0, -1, 0
	v_mbcnt_hi_u32_b32 v0, -1, v0
	v_and_b32_e32 v1, 63, v0
	v_cmp_lt_u32_e32 vcc, 43, v1
	s_cmp_lg_u32 s8, 0
	s_cselect_b64 s[2:3], -1, 0
	v_cndmask_b32_e64 v3, 20, 0, vcc
	v_add_lshl_u32 v33, v3, v0, 2
	v_cvt_f32_u32_e32 v3, s22
	v_cmp_lt_u32_e32 vcc, 23, v1
	s_add_i32 s24, s8, -16
	s_add_i32 s25, s11, -1
	v_cndmask_b32_e64 v1, 40, 0, vcc
	v_add_lshl_u32 v42, v1, v0, 2
	v_rcp_iflag_f32_e32 v0, v3
	s_load_dword s9, s[4:5], 0x0
	s_load_dword s23, s[6:7], 0x0
	s_load_dwordx2 s[14:15], s[0:1], 0x18
	s_load_dwordx2 s[16:17], s[0:1], 0x30
	s_mul_i32 s18, s18, s19
	s_cmp_lg_u64 s[12:13], 0
	v_mul_f32_e32 v0, 0x4f7ffffe, v0
	v_cvt_u32_f32_e32 v0, v0
	s_cselect_b64 s[4:5], -1, 0
	s_lshl_b32 s26, s18, 1
	s_sub_i32 s18, 0, s22
	v_mul_lo_u32 v1, s18, v0
	v_mul_hi_u32 v1, v0, v1
	v_add_u32_e32 v43, v0, v1
	v_cndmask_b32_e64 v0, 0, 1, s[2:3]
	v_cmp_ne_u32_e64 s[2:3], 1, v0
	v_cndmask_b32_e64 v0, 0, 1, s[4:5]
	v_cmp_eq_u32_e64 s[0:1], 0, v2
	s_mov_b64 s[6:7], 0
	v_mov_b32_e32 v37, 0
	s_mov_b32 s27, 0x7f800000
	s_movk_i32 s28, 0x7fff
	v_cmp_ne_u32_e64 s[4:5], 1, v0
	s_branch .LBB388_8
.LBB388_6:                              ;   in Loop: Header=BB388_8 Depth=1
	s_or_b64 exec, exec, s[20:21]
	global_store_short_d16_hi v[0:1], v3, off offset:2
.LBB388_7:                              ;   in Loop: Header=BB388_8 Depth=1
	s_or_b64 exec, exec, s[18:19]
	v_add_u32_e32 v34, s26, v34
	v_cmp_le_u32_e32 vcc, s11, v34
	s_or_b64 s[6:7], vcc, s[6:7]
	s_andn2_b64 exec, exec, s[6:7]
	s_cbranch_execz .LBB388_27
.LBB388_8:                              ; =>This Loop Header: Depth=1
                                        ;     Child Loop BB388_12 Depth 2
	s_and_b64 vcc, exec, s[2:3]
	v_or_b32_e32 v44, 1, v34
	v_mov_b32_e32 v7, v37
	v_mov_b32_e32 v6, v37
	v_mov_b32_e32 v5, v37
	s_waitcnt vmcnt(1)
	v_mov_b32_e32 v4, v37
	s_waitcnt lgkmcnt(0)
	v_mov_b32_e32 v3, v37
	v_mov_b32_e32 v2, v37
	;; [unrolled: 1-line block ×4, first 2 shown]
	s_cbranch_vccnz .LBB388_15
; %bb.9:                                ;   in Loop: Header=BB388_8 Depth=1
	v_min_u32_e32 v0, s25, v34
	v_mul_lo_u32 v38, v0, s10
	v_min_u32_e32 v0, s25, v44
	v_mul_lo_u32 v40, v0, s10
	v_mov_b32_e32 v0, 0
	v_mov_b32_e32 v39, v37
	;; [unrolled: 1-line block ×3, first 2 shown]
	s_mov_b32 s29, 0
	v_mov_b32_e32 v1, v0
	v_mov_b32_e32 v2, v0
	;; [unrolled: 1-line block ×7, first 2 shown]
	s_branch .LBB388_12
.LBB388_10:                             ;   in Loop: Header=BB388_12 Depth=2
	s_or_b64 exec, exec, s[20:21]
.LBB388_11:                             ;   in Loop: Header=BB388_12 Depth=2
	s_or_b64 exec, exec, s[18:19]
	s_waitcnt vmcnt(3) lgkmcnt(0)
	v_mfma_f32_16x16x32_fp8_fp8 v[4:7], v[28:29], v[24:25], v[4:7]
	s_addk_i32 s29, 0x800
	s_cmp_ge_u32 s29, s8
	s_waitcnt vmcnt(2)
	v_mfma_f32_16x16x32_fp8_fp8 v[0:3], v[28:29], v[20:21], v[0:3]
	v_mfma_f32_16x16x32_fp8_fp8 v[4:7], v[30:31], v[26:27], v[4:7]
	;; [unrolled: 1-line block ×3, first 2 shown]
	s_waitcnt vmcnt(1)
	v_mfma_f32_16x16x32_fp8_fp8 v[4:7], v[12:13], v[16:17], v[4:7]
	s_waitcnt vmcnt(0)
	v_mfma_f32_16x16x32_fp8_fp8 v[0:3], v[12:13], v[8:9], v[0:3]
	v_mfma_f32_16x16x32_fp8_fp8 v[4:7], v[14:15], v[18:19], v[4:7]
	;; [unrolled: 1-line block ×3, first 2 shown]
	s_cbranch_scc1 .LBB388_15
.LBB388_12:                             ;   Parent Loop BB388_8 Depth=1
                                        ; =>  This Inner Loop Header: Depth=2
	v_add_u32_e32 v35, s29, v32
	v_min_u32_e32 v36, s24, v35
	s_waitcnt lgkmcnt(0)
	v_lshl_add_u64 v[8:9], s[14:15], 0, v[36:37]
	v_add_u32_e32 v45, 0x400, v35
	v_lshl_add_u64 v[10:11], v[8:9], 0, v[38:39]
	v_lshl_add_u64 v[8:9], v[8:9], 0, v[40:41]
	v_min_u32_e32 v36, s24, v45
	global_load_dwordx4 v[24:27], v[10:11], off nt
	global_load_dwordx4 v[20:23], v[8:9], off nt
	v_lshl_add_u64 v[8:9], s[14:15], 0, v[36:37]
	v_lshl_add_u64 v[12:13], v[8:9], 0, v[38:39]
	;; [unrolled: 1-line block ×3, first 2 shown]
	global_load_dwordx4 v[16:19], v[12:13], off nt
	global_load_dwordx4 v[8:11], v[14:15], off nt
	v_mov_b64_e32 v[28:29], 0
	v_cmp_gt_u32_e32 vcc, s8, v35
	v_mov_b64_e32 v[30:31], v[28:29]
	v_mov_b64_e32 v[12:13], v[28:29]
	;; [unrolled: 1-line block ×3, first 2 shown]
	s_and_saveexec_b64 s[18:19], vcc
	s_cbranch_execz .LBB388_11
; %bb.13:                               ;   in Loop: Header=BB388_12 Depth=2
	ds_read_b128 v[28:31], v35
	v_mov_b64_e32 v[14:15], 0
	v_cmp_gt_u32_e32 vcc, s8, v45
	v_mov_b64_e32 v[12:13], v[14:15]
	s_and_saveexec_b64 s[20:21], vcc
	s_cbranch_execz .LBB388_10
; %bb.14:                               ;   in Loop: Header=BB388_12 Depth=2
	ds_read_b128 v[12:15], v35 offset:1024
	s_branch .LBB388_10
.LBB388_15:                             ;   in Loop: Header=BB388_8 Depth=1
	s_nop 4
	v_cvt_i32_f32_e32 v5, v5
	v_cvt_i32_f32_e32 v1, v1
	;; [unrolled: 1-line block ×6, first 2 shown]
	v_cvt_f32_i32_dpp v5, v5 row_shl:1 row_mask:0xf bank_mask:0xf bound_ctrl:1
	v_cvt_f32_i32_dpp v1, v1 row_shl:1 row_mask:0xf bank_mask:0xf bound_ctrl:1
	v_cvt_f32_i32_dpp v6, v6 row_shl:2 row_mask:0xf bank_mask:0xf bound_ctrl:1
	v_cvt_f32_i32_dpp v2, v2 row_shl:2 row_mask:0xf bank_mask:0xf bound_ctrl:1
	v_cvt_f32_i32_dpp v7, v7 row_shl:3 row_mask:0xf bank_mask:0xf bound_ctrl:1
	v_cvt_f32_i32_dpp v3, v3 row_shl:3 row_mask:0xf bank_mask:0xf bound_ctrl:1
	v_add_f32_e32 v4, v4, v5
	v_add_f32_e32 v0, v0, v1
	;; [unrolled: 1-line block ×6, first 2 shown]
	ds_bpermute_b32 v5, v33, v4
	ds_bpermute_b32 v3, v33, v2
	s_waitcnt lgkmcnt(0)
	v_add_f32_e32 v0, v4, v5
	v_add_f32_e32 v2, v2, v3
	ds_bpermute_b32 v1, v42, v0
	ds_bpermute_b32 v3, v42, v2
	s_and_saveexec_b64 s[18:19], s[0:1]
	s_cbranch_execz .LBB388_7
; %bb.16:                               ;   in Loop: Header=BB388_8 Depth=1
	s_and_b64 vcc, exec, s[4:5]
	v_mov_b32_e32 v4, 0
	v_mov_b32_e32 v5, 0
	s_cbranch_vccnz .LBB388_18
; %bb.17:                               ;   in Loop: Header=BB388_8 Depth=1
	v_mul_hi_u32 v4, v34, v43
	v_mul_lo_u32 v4, v4, s22
	v_sub_u32_e32 v4, v34, v4
	v_subrev_u32_e32 v5, s22, v4
	v_cmp_le_u32_e32 vcc, s22, v4
	s_nop 1
	v_cndmask_b32_e32 v4, v4, v5, vcc
	v_subrev_u32_e32 v5, s22, v4
	v_cmp_le_u32_e32 vcc, s22, v4
	s_nop 1
	v_cndmask_b32_e32 v36, v4, v5, vcc
	v_mul_hi_u32 v4, v44, v43
	v_mul_lo_u32 v4, v4, s22
	v_sub_u32_e32 v4, v44, v4
	v_subrev_u32_e32 v5, s22, v4
	v_cmp_le_u32_e32 vcc, s22, v4
	v_lshl_add_u64 v[6:7], v[36:37], 1, s[12:13]
	s_nop 0
	v_cndmask_b32_e32 v4, v4, v5, vcc
	v_subrev_u32_e32 v5, s22, v4
	v_cmp_le_u32_e32 vcc, s22, v4
	s_nop 1
	v_cndmask_b32_e32 v36, v4, v5, vcc
	v_lshl_add_u64 v[8:9], v[36:37], 1, s[12:13]
	global_load_ushort v5, v[6:7], off
	global_load_ushort v4, v[8:9], off
.LBB388_18:                             ;   in Loop: Header=BB388_8 Depth=1
	s_waitcnt lgkmcnt(1)
	v_add_f32_e32 v0, v0, v1
	v_mul_f32_e32 v1, s9, v0
	s_waitcnt vmcnt(1)
	v_lshlrev_b32_e32 v0, 16, v5
	v_fmac_f32_e32 v0, s23, v1
	v_and_b32_e32 v1, 0x7f800000, v0
	v_cmp_ne_u32_e32 vcc, s27, v1
                                        ; implicit-def: $vgpr5
	s_and_saveexec_b64 s[20:21], vcc
	s_xor_b64 s[20:21], exec, s[20:21]
; %bb.19:                               ;   in Loop: Header=BB388_8 Depth=1
	v_bfe_u32 v1, v0, 16, 1
	v_add3_u32 v5, v0, v1, s28
                                        ; implicit-def: $vgpr0
; %bb.20:                               ;   in Loop: Header=BB388_8 Depth=1
	s_andn2_saveexec_b64 s[20:21], s[20:21]
; %bb.21:                               ;   in Loop: Header=BB388_8 Depth=1
	v_or_b32_e32 v1, 0x10000, v0
	v_cmp_eq_u32_sdwa vcc, v0, v37 src0_sel:WORD_0 src1_sel:DWORD
	s_nop 1
	v_cndmask_b32_e32 v5, v1, v0, vcc
; %bb.22:                               ;   in Loop: Header=BB388_8 Depth=1
	s_or_b64 exec, exec, s[20:21]
	v_mov_b32_e32 v35, v37
	v_lshl_add_u64 v[0:1], v[34:35], 1, s[16:17]
	v_cmp_gt_u32_e32 vcc, s11, v44
	global_store_short_d16_hi v[0:1], v5, off
	s_and_b64 exec, exec, vcc
	s_cbranch_execz .LBB388_7
; %bb.23:                               ;   in Loop: Header=BB388_8 Depth=1
	s_waitcnt lgkmcnt(0)
	v_add_f32_e32 v2, v2, v3
	v_mul_f32_e32 v3, s9, v2
	s_waitcnt vmcnt(1)
	v_lshlrev_b32_e32 v2, 16, v4
	v_fmac_f32_e32 v2, s23, v3
	v_and_b32_e32 v3, 0x7f800000, v2
	v_cmp_ne_u32_e32 vcc, s27, v3
                                        ; implicit-def: $vgpr3
	s_and_saveexec_b64 s[20:21], vcc
	s_xor_b64 s[20:21], exec, s[20:21]
; %bb.24:                               ;   in Loop: Header=BB388_8 Depth=1
	v_bfe_u32 v3, v2, 16, 1
	v_add3_u32 v3, v2, v3, s28
                                        ; implicit-def: $vgpr2
; %bb.25:                               ;   in Loop: Header=BB388_8 Depth=1
	s_andn2_saveexec_b64 s[20:21], s[20:21]
	s_cbranch_execz .LBB388_6
; %bb.26:                               ;   in Loop: Header=BB388_8 Depth=1
	v_or_b32_e32 v3, 0x10000, v2
	v_cmp_eq_u32_sdwa vcc, v2, v37 src0_sel:WORD_0 src1_sel:DWORD
	s_nop 1
	v_cndmask_b32_e32 v3, v3, v2, vcc
	s_branch .LBB388_6
.LBB388_27:
	s_endpgm
	.section	.rodata,"a",@progbits
	.p2align	6, 0x0
	.amdhsa_kernel _Z17wvSplitKQ_hf_sml_I14__hip_bfloat16N3c1015Float8_e4m3fnuzELi64ELi2ELi16ELi16ELi2ELi1EEviiiiiiPKT0_S5_PKT_PS6_PKfSB_ii
		.amdhsa_group_segment_fixed_size 65536
		.amdhsa_private_segment_fixed_size 0
		.amdhsa_kernarg_size 80
		.amdhsa_user_sgpr_count 2
		.amdhsa_user_sgpr_dispatch_ptr 0
		.amdhsa_user_sgpr_queue_ptr 0
		.amdhsa_user_sgpr_kernarg_segment_ptr 1
		.amdhsa_user_sgpr_dispatch_id 0
		.amdhsa_user_sgpr_kernarg_preload_length 0
		.amdhsa_user_sgpr_kernarg_preload_offset 0
		.amdhsa_user_sgpr_private_segment_size 0
		.amdhsa_uses_dynamic_stack 0
		.amdhsa_enable_private_segment 0
		.amdhsa_system_sgpr_workgroup_id_x 1
		.amdhsa_system_sgpr_workgroup_id_y 0
		.amdhsa_system_sgpr_workgroup_id_z 0
		.amdhsa_system_sgpr_workgroup_info 0
		.amdhsa_system_vgpr_workitem_id 1
		.amdhsa_next_free_vgpr 46
		.amdhsa_next_free_sgpr 30
		.amdhsa_accum_offset 48
		.amdhsa_reserve_vcc 1
		.amdhsa_float_round_mode_32 0
		.amdhsa_float_round_mode_16_64 0
		.amdhsa_float_denorm_mode_32 3
		.amdhsa_float_denorm_mode_16_64 3
		.amdhsa_dx10_clamp 1
		.amdhsa_ieee_mode 1
		.amdhsa_fp16_overflow 0
		.amdhsa_tg_split 0
		.amdhsa_exception_fp_ieee_invalid_op 0
		.amdhsa_exception_fp_denorm_src 0
		.amdhsa_exception_fp_ieee_div_zero 0
		.amdhsa_exception_fp_ieee_overflow 0
		.amdhsa_exception_fp_ieee_underflow 0
		.amdhsa_exception_fp_ieee_inexact 0
		.amdhsa_exception_int_div_zero 0
	.end_amdhsa_kernel
	.section	.text._Z17wvSplitKQ_hf_sml_I14__hip_bfloat16N3c1015Float8_e4m3fnuzELi64ELi2ELi16ELi16ELi2ELi1EEviiiiiiPKT0_S5_PKT_PS6_PKfSB_ii,"axG",@progbits,_Z17wvSplitKQ_hf_sml_I14__hip_bfloat16N3c1015Float8_e4m3fnuzELi64ELi2ELi16ELi16ELi2ELi1EEviiiiiiPKT0_S5_PKT_PS6_PKfSB_ii,comdat
.Lfunc_end388:
	.size	_Z17wvSplitKQ_hf_sml_I14__hip_bfloat16N3c1015Float8_e4m3fnuzELi64ELi2ELi16ELi16ELi2ELi1EEviiiiiiPKT0_S5_PKT_PS6_PKfSB_ii, .Lfunc_end388-_Z17wvSplitKQ_hf_sml_I14__hip_bfloat16N3c1015Float8_e4m3fnuzELi64ELi2ELi16ELi16ELi2ELi1EEviiiiiiPKT0_S5_PKT_PS6_PKfSB_ii
                                        ; -- End function
	.section	.AMDGPU.csdata,"",@progbits
; Kernel info:
; codeLenInByte = 1444
; NumSgprs: 36
; NumVgprs: 46
; NumAgprs: 0
; TotalNumVgprs: 46
; ScratchSize: 0
; MemoryBound: 0
; FloatMode: 240
; IeeeMode: 1
; LDSByteSize: 65536 bytes/workgroup (compile time only)
; SGPRBlocks: 4
; VGPRBlocks: 5
; NumSGPRsForWavesPerEU: 36
; NumVGPRsForWavesPerEU: 46
; AccumOffset: 48
; Occupancy: 4
; WaveLimiterHint : 0
; COMPUTE_PGM_RSRC2:SCRATCH_EN: 0
; COMPUTE_PGM_RSRC2:USER_SGPR: 2
; COMPUTE_PGM_RSRC2:TRAP_HANDLER: 0
; COMPUTE_PGM_RSRC2:TGID_X_EN: 1
; COMPUTE_PGM_RSRC2:TGID_Y_EN: 0
; COMPUTE_PGM_RSRC2:TGID_Z_EN: 0
; COMPUTE_PGM_RSRC2:TIDIG_COMP_CNT: 1
; COMPUTE_PGM_RSRC3_GFX90A:ACCUM_OFFSET: 11
; COMPUTE_PGM_RSRC3_GFX90A:TG_SPLIT: 0
	.section	.text._Z13wvSplitKQ_hf_I14__hip_bfloat16N3c1015Float8_e4m3fnuzELi64ELi2ELi16ELi16ELi2ELi1EEviiiiiiPKT0_S5_PKT_PS6_PKfSB_ii,"axG",@progbits,_Z13wvSplitKQ_hf_I14__hip_bfloat16N3c1015Float8_e4m3fnuzELi64ELi2ELi16ELi16ELi2ELi1EEviiiiiiPKT0_S5_PKT_PS6_PKfSB_ii,comdat
	.protected	_Z13wvSplitKQ_hf_I14__hip_bfloat16N3c1015Float8_e4m3fnuzELi64ELi2ELi16ELi16ELi2ELi1EEviiiiiiPKT0_S5_PKT_PS6_PKfSB_ii ; -- Begin function _Z13wvSplitKQ_hf_I14__hip_bfloat16N3c1015Float8_e4m3fnuzELi64ELi2ELi16ELi16ELi2ELi1EEviiiiiiPKT0_S5_PKT_PS6_PKfSB_ii
	.globl	_Z13wvSplitKQ_hf_I14__hip_bfloat16N3c1015Float8_e4m3fnuzELi64ELi2ELi16ELi16ELi2ELi1EEviiiiiiPKT0_S5_PKT_PS6_PKfSB_ii
	.p2align	8
	.type	_Z13wvSplitKQ_hf_I14__hip_bfloat16N3c1015Float8_e4m3fnuzELi64ELi2ELi16ELi16ELi2ELi1EEviiiiiiPKT0_S5_PKT_PS6_PKfSB_ii,@function
_Z13wvSplitKQ_hf_I14__hip_bfloat16N3c1015Float8_e4m3fnuzELi64ELi2ELi16ELi16ELi2ELi1EEviiiiiiPKT0_S5_PKT_PS6_PKfSB_ii: ; @_Z13wvSplitKQ_hf_I14__hip_bfloat16N3c1015Float8_e4m3fnuzELi64ELi2ELi16ELi16ELi2ELi1EEviiiiiiPKT0_S5_PKT_PS6_PKfSB_ii
; %bb.0:
	s_load_dwordx4 s[4:7], s[0:1], 0x0
	s_load_dword s26, s[0:1], 0x10
	s_load_dwordx4 s[12:15], s[0:1], 0x38
	s_load_dwordx4 s[8:11], s[0:1], 0x20
	v_and_b32_e32 v2, 0x3ff, v0
	v_bfe_u32 v3, v0, 10, 10
	v_lshlrev_b32_e32 v32, 4, v2
	v_lshl_add_u32 v4, v3, 10, v32
	s_waitcnt lgkmcnt(0)
	s_min_u32 s3, s5, 0x10000
	v_cmp_gt_u32_e32 vcc, s3, v4
	s_and_saveexec_b64 s[16:17], vcc
	s_cbranch_execz .LBB389_3
; %bb.1:
	v_mov_b32_e32 v1, 0
	v_lshlrev_b32_e32 v0, 10, v3
	v_mov_b32_e32 v33, v1
	v_lshl_add_u64 v[0:1], v[0:1], 0, v[32:33]
	v_lshl_add_u64 v[0:1], s[8:9], 0, v[0:1]
	s_mov_b64 s[18:19], 0
	s_mov_b64 s[20:21], 0x4000
.LBB389_2:                              ; =>This Inner Loop Header: Depth=1
	global_load_dwordx4 v[6:9], v[0:1], off
	v_lshl_add_u64 v[0:1], v[0:1], 0, s[20:21]
	s_waitcnt vmcnt(0)
	ds_write_b128 v4, v[6:9]
	v_add_u32_e32 v4, 0x4000, v4
	v_cmp_le_u32_e32 vcc, s3, v4
	s_or_b64 s[18:19], vcc, s[18:19]
	s_andn2_b64 exec, exec, s[18:19]
	s_cbranch_execnz .LBB389_2
.LBB389_3:
	s_or_b64 exec, exec, s[16:17]
	s_load_dwordx2 s[20:21], s[0:1], 0x48
	;;#ASMSTART
	s_waitcnt vmcnt(0)
	;;#ASMEND
	s_waitcnt lgkmcnt(0)
	s_barrier
	v_cmp_gt_u32_e32 vcc, s20, v3
	s_and_saveexec_b64 s[16:17], vcc
	s_cbranch_execz .LBB389_35
; %bb.4:
	s_mul_i32 s2, s2, s20
	v_add_lshl_u32 v34, s2, v3, 1
	v_cmp_gt_u32_e32 vcc, s7, v34
	s_and_b64 exec, exec, vcc
	s_cbranch_execz .LBB389_35
; %bb.5:
	v_mbcnt_lo_u32_b32 v0, -1, 0
	v_mbcnt_hi_u32_b32 v0, -1, v0
	v_and_b32_e32 v1, 63, v0
	v_cmp_lt_u32_e32 vcc, 43, v1
	s_cmp_lg_u32 s4, 0
	s_load_dword s5, s[12:13], 0x0
	s_load_dword s27, s[14:15], 0x0
	s_load_dwordx2 s[16:17], s[0:1], 0x18
	s_load_dwordx2 s[18:19], s[0:1], 0x30
	v_cndmask_b32_e64 v3, 20, 0, vcc
	v_add_lshl_u32 v33, v3, v0, 2
	v_cvt_f32_u32_e32 v3, s26
	v_cmp_lt_u32_e32 vcc, 23, v1
	s_cselect_b64 s[2:3], -1, 0
	s_add_i32 s28, s4, -16
	v_cndmask_b32_e64 v1, 40, 0, vcc
	v_add_lshl_u32 v42, v1, v0, 2
	v_rcp_iflag_f32_e32 v0, v3
	s_add_i32 s29, s7, -1
	s_mul_i32 s20, s20, s21
	s_cmp_lg_u64 s[10:11], 0
	v_mul_f32_e32 v0, 0x4f7ffffe, v0
	v_cvt_u32_f32_e32 v0, v0
	s_cselect_b64 s[14:15], -1, 0
	s_lshl_b32 s30, s20, 1
	s_sub_i32 s20, 0, s26
	v_mul_lo_u32 v1, s20, v0
	v_mul_hi_u32 v1, v0, v1
	v_add_u32_e32 v43, v0, v1
	v_cndmask_b32_e64 v0, 0, 1, s[2:3]
	v_cmp_eq_u32_e64 s[0:1], 0, v2
	s_mov_b64 s[12:13], 0
	v_mov_b32_e32 v37, 0
	v_cmp_ne_u32_e64 s[2:3], 1, v0
	s_mov_b32 s31, 0xffff
	s_mov_b32 s33, 0x7f800000
	s_movk_i32 s34, 0x7fff
	s_branch .LBB389_8
.LBB389_6:                              ;   in Loop: Header=BB389_8 Depth=1
	s_or_b64 exec, exec, s[22:23]
	global_store_short_d16_hi v[0:1], v3, off offset:2
.LBB389_7:                              ;   in Loop: Header=BB389_8 Depth=1
	s_or_b64 exec, exec, s[20:21]
	v_add_u32_e32 v34, s30, v34
	v_cmp_le_u32_e32 vcc, s7, v34
	s_or_b64 s[12:13], vcc, s[12:13]
	s_andn2_b64 exec, exec, s[12:13]
	s_cbranch_execz .LBB389_35
.LBB389_8:                              ; =>This Loop Header: Depth=1
                                        ;     Child Loop BB389_13 Depth 2
	s_and_b64 vcc, exec, s[2:3]
	v_or_b32_e32 v44, 1, v34
	v_mov_b32_e32 v7, v37
	v_mov_b32_e32 v6, v37
	;; [unrolled: 1-line block ×3, first 2 shown]
	s_waitcnt vmcnt(1)
	v_mov_b32_e32 v4, v37
	s_waitcnt lgkmcnt(0)
	v_mov_b32_e32 v3, v37
	v_mov_b32_e32 v2, v37
	;; [unrolled: 1-line block ×4, first 2 shown]
	s_cbranch_vccnz .LBB389_23
; %bb.9:                                ;   in Loop: Header=BB389_8 Depth=1
	v_min_u32_e32 v0, s29, v34
	v_mul_lo_u32 v38, v0, s6
	v_min_u32_e32 v0, s29, v44
	v_mul_lo_u32 v40, v0, s6
	v_mov_b32_e32 v0, 0
	v_mov_b32_e32 v39, v37
	;; [unrolled: 1-line block ×3, first 2 shown]
	s_mov_b32 s35, 0
	v_mov_b32_e32 v1, v0
	v_mov_b32_e32 v2, v0
	;; [unrolled: 1-line block ×7, first 2 shown]
	s_branch .LBB389_13
.LBB389_10:                             ;   in Loop: Header=BB389_13 Depth=2
	s_or_b64 exec, exec, s[24:25]
.LBB389_11:                             ;   in Loop: Header=BB389_13 Depth=2
	s_or_b64 exec, exec, s[22:23]
.LBB389_12:                             ;   in Loop: Header=BB389_13 Depth=2
	s_or_b64 exec, exec, s[20:21]
	s_waitcnt vmcnt(0) lgkmcnt(0)
	v_mfma_f32_16x16x32_fp8_fp8 v[4:7], v[24:25], v[20:21], v[4:7]
	s_addk_i32 s35, 0x800
	s_cmp_ge_u32 s35, s4
	v_mfma_f32_16x16x32_fp8_fp8 v[0:3], v[24:25], v[16:17], v[0:3]
	v_mfma_f32_16x16x32_fp8_fp8 v[4:7], v[26:27], v[22:23], v[4:7]
	;; [unrolled: 1-line block ×7, first 2 shown]
	s_cbranch_scc1 .LBB389_23
.LBB389_13:                             ;   Parent Loop BB389_8 Depth=1
                                        ; =>  This Inner Loop Header: Depth=2
	v_add_u32_e32 v35, s35, v32
	v_min_u32_e32 v36, s28, v35
	s_waitcnt lgkmcnt(0)
	v_lshl_add_u64 v[8:9], s[16:17], 0, v[36:37]
	v_add_u32_e32 v45, 0x400, v35
	v_lshl_add_u64 v[10:11], v[8:9], 0, v[38:39]
	v_lshl_add_u64 v[8:9], v[8:9], 0, v[40:41]
	v_min_u32_e32 v36, s28, v45
	global_load_dwordx4 v[20:23], v[10:11], off nt
	global_load_dwordx4 v[16:19], v[8:9], off nt
	v_lshl_add_u64 v[8:9], s[16:17], 0, v[36:37]
	v_lshl_add_u64 v[24:25], v[8:9], 0, v[38:39]
	;; [unrolled: 1-line block ×3, first 2 shown]
	global_load_dwordx4 v[12:15], v[24:25], off nt
	global_load_dwordx4 v[8:11], v[26:27], off nt
	v_mov_b64_e32 v[30:31], 0
	v_cmp_gt_u32_e32 vcc, s4, v35
	v_mov_b64_e32 v[28:29], v[30:31]
	v_mov_b64_e32 v[26:27], v[30:31]
	;; [unrolled: 1-line block ×3, first 2 shown]
	s_and_saveexec_b64 s[20:21], vcc
	s_cbranch_execz .LBB389_12
; %bb.14:                               ;   in Loop: Header=BB389_13 Depth=2
	v_cmp_lt_u32_e32 vcc, s31, v35
                                        ; implicit-def: $vgpr26_vgpr27
	s_and_saveexec_b64 s[22:23], vcc
	s_xor_b64 s[22:23], exec, s[22:23]
	s_cbranch_execz .LBB389_16
; %bb.15:                               ;   in Loop: Header=BB389_13 Depth=2
	global_load_dwordx4 v[24:27], v35, s[8:9]
.LBB389_16:                             ;   in Loop: Header=BB389_13 Depth=2
	s_andn2_saveexec_b64 s[22:23], s[22:23]
	s_cbranch_execz .LBB389_18
; %bb.17:                               ;   in Loop: Header=BB389_13 Depth=2
	s_waitcnt vmcnt(0)
	ds_read_b128 v[24:27], v35
.LBB389_18:                             ;   in Loop: Header=BB389_13 Depth=2
	s_or_b64 exec, exec, s[22:23]
	v_mov_b64_e32 v[30:31], 0
	v_cmp_gt_u32_e32 vcc, s4, v45
	v_mov_b64_e32 v[28:29], v[30:31]
	s_and_saveexec_b64 s[22:23], vcc
	s_cbranch_execz .LBB389_11
; %bb.19:                               ;   in Loop: Header=BB389_13 Depth=2
	v_cmp_lt_u32_e32 vcc, s31, v45
                                        ; implicit-def: $vgpr30_vgpr31
	s_and_saveexec_b64 s[24:25], vcc
	s_xor_b64 s[24:25], exec, s[24:25]
	s_cbranch_execz .LBB389_21
; %bb.20:                               ;   in Loop: Header=BB389_13 Depth=2
	global_load_dwordx4 v[28:31], v45, s[8:9]
                                        ; implicit-def: $vgpr35
.LBB389_21:                             ;   in Loop: Header=BB389_13 Depth=2
	s_andn2_saveexec_b64 s[24:25], s[24:25]
	s_cbranch_execz .LBB389_10
; %bb.22:                               ;   in Loop: Header=BB389_13 Depth=2
	s_waitcnt vmcnt(0)
	ds_read_b128 v[28:31], v35 offset:1024
	s_branch .LBB389_10
.LBB389_23:                             ;   in Loop: Header=BB389_8 Depth=1
	s_nop 4
	v_cvt_i32_f32_e32 v5, v5
	v_cvt_i32_f32_e32 v1, v1
	;; [unrolled: 1-line block ×6, first 2 shown]
	v_cvt_f32_i32_dpp v5, v5 row_shl:1 row_mask:0xf bank_mask:0xf bound_ctrl:1
	v_cvt_f32_i32_dpp v1, v1 row_shl:1 row_mask:0xf bank_mask:0xf bound_ctrl:1
	;; [unrolled: 1-line block ×6, first 2 shown]
	v_add_f32_e32 v4, v4, v5
	v_add_f32_e32 v0, v0, v1
	;; [unrolled: 1-line block ×6, first 2 shown]
	ds_bpermute_b32 v5, v33, v4
	ds_bpermute_b32 v3, v33, v2
	s_waitcnt lgkmcnt(0)
	v_add_f32_e32 v0, v4, v5
	v_add_f32_e32 v2, v2, v3
	ds_bpermute_b32 v1, v42, v0
	ds_bpermute_b32 v3, v42, v2
	s_and_saveexec_b64 s[20:21], s[0:1]
	s_cbranch_execz .LBB389_7
; %bb.24:                               ;   in Loop: Header=BB389_8 Depth=1
	s_andn2_b64 vcc, exec, s[14:15]
	v_mov_b32_e32 v4, 0
	v_mov_b32_e32 v5, 0
	s_cbranch_vccnz .LBB389_26
; %bb.25:                               ;   in Loop: Header=BB389_8 Depth=1
	v_mul_hi_u32 v4, v34, v43
	v_mul_lo_u32 v4, v4, s26
	v_sub_u32_e32 v4, v34, v4
	v_subrev_u32_e32 v5, s26, v4
	v_cmp_le_u32_e32 vcc, s26, v4
	s_nop 1
	v_cndmask_b32_e32 v4, v4, v5, vcc
	v_subrev_u32_e32 v5, s26, v4
	v_cmp_le_u32_e32 vcc, s26, v4
	s_nop 1
	v_cndmask_b32_e32 v36, v4, v5, vcc
	v_mul_hi_u32 v4, v44, v43
	v_mul_lo_u32 v4, v4, s26
	v_sub_u32_e32 v4, v44, v4
	v_subrev_u32_e32 v5, s26, v4
	v_cmp_le_u32_e32 vcc, s26, v4
	v_lshl_add_u64 v[6:7], v[36:37], 1, s[10:11]
	s_nop 0
	v_cndmask_b32_e32 v4, v4, v5, vcc
	v_subrev_u32_e32 v5, s26, v4
	v_cmp_le_u32_e32 vcc, s26, v4
	s_nop 1
	v_cndmask_b32_e32 v36, v4, v5, vcc
	v_lshl_add_u64 v[8:9], v[36:37], 1, s[10:11]
	global_load_ushort v5, v[6:7], off
	global_load_ushort v4, v[8:9], off
.LBB389_26:                             ;   in Loop: Header=BB389_8 Depth=1
	s_waitcnt lgkmcnt(1)
	v_add_f32_e32 v0, v0, v1
	v_mul_f32_e32 v1, s5, v0
	s_waitcnt vmcnt(1)
	v_lshlrev_b32_e32 v0, 16, v5
	v_fmac_f32_e32 v0, s27, v1
	v_and_b32_e32 v1, 0x7f800000, v0
	v_cmp_ne_u32_e32 vcc, s33, v1
                                        ; implicit-def: $vgpr5
	s_and_saveexec_b64 s[22:23], vcc
	s_xor_b64 s[22:23], exec, s[22:23]
; %bb.27:                               ;   in Loop: Header=BB389_8 Depth=1
	v_bfe_u32 v1, v0, 16, 1
	v_add3_u32 v5, v0, v1, s34
                                        ; implicit-def: $vgpr0
; %bb.28:                               ;   in Loop: Header=BB389_8 Depth=1
	s_andn2_saveexec_b64 s[22:23], s[22:23]
; %bb.29:                               ;   in Loop: Header=BB389_8 Depth=1
	v_or_b32_e32 v1, 0x10000, v0
	v_cmp_eq_u32_sdwa vcc, v0, v37 src0_sel:WORD_0 src1_sel:DWORD
	s_nop 1
	v_cndmask_b32_e32 v5, v1, v0, vcc
; %bb.30:                               ;   in Loop: Header=BB389_8 Depth=1
	s_or_b64 exec, exec, s[22:23]
	v_mov_b32_e32 v35, v37
	v_lshl_add_u64 v[0:1], v[34:35], 1, s[18:19]
	v_cmp_gt_u32_e32 vcc, s7, v44
	global_store_short_d16_hi v[0:1], v5, off
	s_and_b64 exec, exec, vcc
	s_cbranch_execz .LBB389_7
; %bb.31:                               ;   in Loop: Header=BB389_8 Depth=1
	s_waitcnt lgkmcnt(0)
	v_add_f32_e32 v2, v2, v3
	v_mul_f32_e32 v3, s5, v2
	s_waitcnt vmcnt(1)
	v_lshlrev_b32_e32 v2, 16, v4
	v_fmac_f32_e32 v2, s27, v3
	v_and_b32_e32 v3, 0x7f800000, v2
	v_cmp_ne_u32_e32 vcc, s33, v3
                                        ; implicit-def: $vgpr3
	s_and_saveexec_b64 s[22:23], vcc
	s_xor_b64 s[22:23], exec, s[22:23]
; %bb.32:                               ;   in Loop: Header=BB389_8 Depth=1
	v_bfe_u32 v3, v2, 16, 1
	v_add3_u32 v3, v2, v3, s34
                                        ; implicit-def: $vgpr2
; %bb.33:                               ;   in Loop: Header=BB389_8 Depth=1
	s_andn2_saveexec_b64 s[22:23], s[22:23]
	s_cbranch_execz .LBB389_6
; %bb.34:                               ;   in Loop: Header=BB389_8 Depth=1
	v_or_b32_e32 v3, 0x10000, v2
	v_cmp_eq_u32_sdwa vcc, v2, v37 src0_sel:WORD_0 src1_sel:DWORD
	s_nop 1
	v_cndmask_b32_e32 v3, v3, v2, vcc
	s_branch .LBB389_6
.LBB389_35:
	s_endpgm
	.section	.rodata,"a",@progbits
	.p2align	6, 0x0
	.amdhsa_kernel _Z13wvSplitKQ_hf_I14__hip_bfloat16N3c1015Float8_e4m3fnuzELi64ELi2ELi16ELi16ELi2ELi1EEviiiiiiPKT0_S5_PKT_PS6_PKfSB_ii
		.amdhsa_group_segment_fixed_size 65536
		.amdhsa_private_segment_fixed_size 0
		.amdhsa_kernarg_size 80
		.amdhsa_user_sgpr_count 2
		.amdhsa_user_sgpr_dispatch_ptr 0
		.amdhsa_user_sgpr_queue_ptr 0
		.amdhsa_user_sgpr_kernarg_segment_ptr 1
		.amdhsa_user_sgpr_dispatch_id 0
		.amdhsa_user_sgpr_kernarg_preload_length 0
		.amdhsa_user_sgpr_kernarg_preload_offset 0
		.amdhsa_user_sgpr_private_segment_size 0
		.amdhsa_uses_dynamic_stack 0
		.amdhsa_enable_private_segment 0
		.amdhsa_system_sgpr_workgroup_id_x 1
		.amdhsa_system_sgpr_workgroup_id_y 0
		.amdhsa_system_sgpr_workgroup_id_z 0
		.amdhsa_system_sgpr_workgroup_info 0
		.amdhsa_system_vgpr_workitem_id 1
		.amdhsa_next_free_vgpr 46
		.amdhsa_next_free_sgpr 36
		.amdhsa_accum_offset 48
		.amdhsa_reserve_vcc 1
		.amdhsa_float_round_mode_32 0
		.amdhsa_float_round_mode_16_64 0
		.amdhsa_float_denorm_mode_32 3
		.amdhsa_float_denorm_mode_16_64 3
		.amdhsa_dx10_clamp 1
		.amdhsa_ieee_mode 1
		.amdhsa_fp16_overflow 0
		.amdhsa_tg_split 0
		.amdhsa_exception_fp_ieee_invalid_op 0
		.amdhsa_exception_fp_denorm_src 0
		.amdhsa_exception_fp_ieee_div_zero 0
		.amdhsa_exception_fp_ieee_overflow 0
		.amdhsa_exception_fp_ieee_underflow 0
		.amdhsa_exception_fp_ieee_inexact 0
		.amdhsa_exception_int_div_zero 0
	.end_amdhsa_kernel
	.section	.text._Z13wvSplitKQ_hf_I14__hip_bfloat16N3c1015Float8_e4m3fnuzELi64ELi2ELi16ELi16ELi2ELi1EEviiiiiiPKT0_S5_PKT_PS6_PKfSB_ii,"axG",@progbits,_Z13wvSplitKQ_hf_I14__hip_bfloat16N3c1015Float8_e4m3fnuzELi64ELi2ELi16ELi16ELi2ELi1EEviiiiiiPKT0_S5_PKT_PS6_PKfSB_ii,comdat
.Lfunc_end389:
	.size	_Z13wvSplitKQ_hf_I14__hip_bfloat16N3c1015Float8_e4m3fnuzELi64ELi2ELi16ELi16ELi2ELi1EEviiiiiiPKT0_S5_PKT_PS6_PKfSB_ii, .Lfunc_end389-_Z13wvSplitKQ_hf_I14__hip_bfloat16N3c1015Float8_e4m3fnuzELi64ELi2ELi16ELi16ELi2ELi1EEviiiiiiPKT0_S5_PKT_PS6_PKfSB_ii
                                        ; -- End function
	.section	.AMDGPU.csdata,"",@progbits
; Kernel info:
; codeLenInByte = 1492
; NumSgprs: 42
; NumVgprs: 46
; NumAgprs: 0
; TotalNumVgprs: 46
; ScratchSize: 0
; MemoryBound: 1
; FloatMode: 240
; IeeeMode: 1
; LDSByteSize: 65536 bytes/workgroup (compile time only)
; SGPRBlocks: 5
; VGPRBlocks: 5
; NumSGPRsForWavesPerEU: 42
; NumVGPRsForWavesPerEU: 46
; AccumOffset: 48
; Occupancy: 4
; WaveLimiterHint : 0
; COMPUTE_PGM_RSRC2:SCRATCH_EN: 0
; COMPUTE_PGM_RSRC2:USER_SGPR: 2
; COMPUTE_PGM_RSRC2:TRAP_HANDLER: 0
; COMPUTE_PGM_RSRC2:TGID_X_EN: 1
; COMPUTE_PGM_RSRC2:TGID_Y_EN: 0
; COMPUTE_PGM_RSRC2:TGID_Z_EN: 0
; COMPUTE_PGM_RSRC2:TIDIG_COMP_CNT: 1
; COMPUTE_PGM_RSRC3_GFX90A:ACCUM_OFFSET: 11
; COMPUTE_PGM_RSRC3_GFX90A:TG_SPLIT: 0
	.section	.text._Z17wvSplitKQ_hf_sml_I14__hip_bfloat16N3c1015Float8_e4m3fnuzELi32ELi2ELi16ELi16ELi2ELi2EEviiiiiiPKT0_S5_PKT_PS6_PKfSB_ii,"axG",@progbits,_Z17wvSplitKQ_hf_sml_I14__hip_bfloat16N3c1015Float8_e4m3fnuzELi32ELi2ELi16ELi16ELi2ELi2EEviiiiiiPKT0_S5_PKT_PS6_PKfSB_ii,comdat
	.protected	_Z17wvSplitKQ_hf_sml_I14__hip_bfloat16N3c1015Float8_e4m3fnuzELi32ELi2ELi16ELi16ELi2ELi2EEviiiiiiPKT0_S5_PKT_PS6_PKfSB_ii ; -- Begin function _Z17wvSplitKQ_hf_sml_I14__hip_bfloat16N3c1015Float8_e4m3fnuzELi32ELi2ELi16ELi16ELi2ELi2EEviiiiiiPKT0_S5_PKT_PS6_PKfSB_ii
	.globl	_Z17wvSplitKQ_hf_sml_I14__hip_bfloat16N3c1015Float8_e4m3fnuzELi32ELi2ELi16ELi16ELi2ELi2EEviiiiiiPKT0_S5_PKT_PS6_PKfSB_ii
	.p2align	8
	.type	_Z17wvSplitKQ_hf_sml_I14__hip_bfloat16N3c1015Float8_e4m3fnuzELi32ELi2ELi16ELi16ELi2ELi2EEviiiiiiPKT0_S5_PKT_PS6_PKfSB_ii,@function
_Z17wvSplitKQ_hf_sml_I14__hip_bfloat16N3c1015Float8_e4m3fnuzELi32ELi2ELi16ELi16ELi2ELi2EEviiiiiiPKT0_S5_PKT_PS6_PKfSB_ii: ; @_Z17wvSplitKQ_hf_sml_I14__hip_bfloat16N3c1015Float8_e4m3fnuzELi32ELi2ELi16ELi16ELi2ELi2EEviiiiiiPKT0_S5_PKT_PS6_PKfSB_ii
; %bb.0:
	s_load_dwordx4 s[16:19], s[0:1], 0x0
	v_and_b32_e32 v4, 0x3ff, v0
	v_bfe_u32 v5, v0, 10, 10
	v_lshlrev_b32_e32 v56, 4, v4
	v_lshl_add_u32 v0, v5, 9, v56
	s_waitcnt lgkmcnt(0)
	s_lshl_b32 s3, s17, 1
	s_min_u32 s3, s3, 0x10000
	v_cmp_gt_u32_e32 vcc, s3, v0
	s_and_saveexec_b64 s[4:5], vcc
	s_cbranch_execz .LBB390_9
; %bb.1:
	s_load_dwordx2 s[6:7], s[0:1], 0x20
	v_add_u32_e32 v1, 0x2000, v0
	v_cmp_gt_u32_e32 vcc, s3, v1
	s_waitcnt lgkmcnt(0)
	global_load_dwordx4 v[6:9], v0, s[6:7]
	s_waitcnt vmcnt(0)
	ds_write_b128 v0, v[6:9]
	s_and_saveexec_b64 s[8:9], vcc
	s_xor_b64 s[8:9], exec, s[8:9]
	s_cbranch_execz .LBB390_9
; %bb.2:
	v_mov_b32_e32 v1, 0
	v_lshl_add_u64 v[2:3], s[6:7], 0, v[0:1]
	v_add_co_u32_e32 v6, vcc, 0x2000, v2
	v_add_u32_e32 v1, 0x4000, v0
	s_nop 0
	v_addc_co_u32_e32 v7, vcc, 0, v3, vcc
	global_load_dwordx4 v[6:9], v[6:7], off
	v_cmp_gt_u32_e32 vcc, s3, v1
	s_waitcnt vmcnt(0)
	ds_write_b128 v0, v[6:9] offset:8192
	s_and_saveexec_b64 s[6:7], vcc
	s_xor_b64 s[6:7], exec, s[6:7]
	s_cbranch_execz .LBB390_9
; %bb.3:
	v_add_co_u32_e32 v6, vcc, 0x4000, v2
	v_add_u32_e32 v1, 0x6000, v0
	s_nop 0
	v_addc_co_u32_e32 v7, vcc, 0, v3, vcc
	global_load_dwordx4 v[6:9], v[6:7], off
	v_cmp_gt_u32_e32 vcc, s3, v1
	s_waitcnt vmcnt(0)
	ds_write_b128 v0, v[6:9] offset:16384
	s_and_saveexec_b64 s[6:7], vcc
	s_xor_b64 s[6:7], exec, s[6:7]
	s_cbranch_execz .LBB390_9
; %bb.4:
	;; [unrolled: 12-line block ×6, first 2 shown]
	v_add_co_u32_e32 v2, vcc, 0xe000, v2
	s_nop 1
	v_addc_co_u32_e32 v3, vcc, 0, v3, vcc
	global_load_dwordx4 v[6:9], v[2:3], off
	s_waitcnt vmcnt(0)
	ds_write_b128 v0, v[6:9] offset:57344
.LBB390_9:
	s_or_b64 exec, exec, s[4:5]
	s_load_dwordx2 s[4:5], s[0:1], 0x48
	;;#ASMSTART
	s_waitcnt vmcnt(0)
	;;#ASMEND
	s_waitcnt lgkmcnt(0)
	s_barrier
	v_cmp_gt_u32_e32 vcc, s4, v5
	s_and_saveexec_b64 s[6:7], vcc
	s_cbranch_execz .LBB390_43
; %bb.10:
	s_load_dwordx2 s[20:21], s[0:1], 0x10
	s_mul_i32 s2, s2, s4
	v_add_lshl_u32 v48, s2, v5, 1
	v_cmp_gt_u32_e32 vcc, s19, v48
	s_and_b64 exec, exec, vcc
	s_cbranch_execz .LBB390_43
; %bb.11:
	v_mbcnt_lo_u32_b32 v0, -1, 0
	v_mbcnt_hi_u32_b32 v0, -1, v0
	v_and_b32_e32 v1, 63, v0
	v_cmp_lt_u32_e32 vcc, 43, v1
	s_load_dwordx8 s[8:15], s[0:1], 0x28
	s_load_dwordx2 s[22:23], s[0:1], 0x18
	v_cndmask_b32_e64 v2, 20, 0, vcc
	v_add_lshl_u32 v57, v2, v0, 2
	s_waitcnt lgkmcnt(0)
	v_cvt_f32_u32_e32 v2, s20
	v_cmp_lt_u32_e32 vcc, 23, v1
	s_cmp_lg_u32 s16, 0
	s_cselect_b64 s[2:3], -1, 0
	v_cndmask_b32_e64 v1, 40, 0, vcc
	v_add_lshl_u32 v58, v1, v0, 2
	v_rcp_iflag_f32_e32 v0, v2
	s_add_i32 s30, s16, -16
	s_add_i32 s31, s19, -1
	s_mul_i32 s6, s4, s5
	v_mul_f32_e32 v0, 0x4f7ffffe, v0
	v_cvt_u32_f32_e32 v0, v0
	s_cmp_lg_u64 s[8:9], 0
	s_cselect_b64 s[4:5], -1, 0
	s_lshl_b32 s33, s6, 1
	s_sub_i32 s6, 0, s20
	v_mul_lo_u32 v1, s6, v0
	s_abs_i32 s6, s21
	s_sub_i32 s7, 1, s6
	s_cmp_lt_u32 s6, 2
	s_load_dword s28, s[12:13], 0x0
	s_load_dword s29, s[14:15], 0x0
	s_cselect_b32 s7, s7, 1
	v_mul_hi_u32 v1, v0, v1
	s_sub_i32 s14, s7, s6
	v_add_u32_e32 v59, v0, v1
	s_cmp_ge_u32 s7, s6
	v_cndmask_b32_e64 v0, 0, 1, s[2:3]
	s_cselect_b32 s21, s14, s7
	v_cmp_ne_u32_e64 s[2:3], 1, v0
	v_cndmask_b32_e64 v0, 0, 1, s[4:5]
	v_cmp_eq_u32_e64 s[0:1], 0, v4
	s_mov_b64 s[12:13], 0
	v_mov_b32_e32 v51, 0
	s_mul_i32 s21, s21, s20
	v_add_u32_e32 v60, s17, v56
	s_mov_b32 s17, 0x7f800000
	s_movk_i32 s34, 0x7fff
	v_cmp_ne_u32_e64 s[4:5], 1, v0
	s_branch .LBB390_14
.LBB390_12:                             ;   in Loop: Header=BB390_14 Depth=1
	s_or_b64 exec, exec, s[6:7]
	v_add_u32_e32 v50, s19, v61
	v_lshl_add_u64 v[2:3], v[50:51], 1, s[10:11]
	global_store_short_d16_hi v[2:3], v0, off
.LBB390_13:                             ;   in Loop: Header=BB390_14 Depth=1
	s_or_b64 exec, exec, s[14:15]
	v_add_u32_e32 v48, s33, v48
	v_cmp_le_u32_e32 vcc, s19, v48
	s_or_b64 s[12:13], vcc, s[12:13]
	s_andn2_b64 exec, exec, s[12:13]
	s_cbranch_execz .LBB390_43
.LBB390_14:                             ; =>This Loop Header: Depth=1
                                        ;     Child Loop BB390_18 Depth 2
	s_and_b64 vcc, exec, s[2:3]
	v_or_b32_e32 v61, 1, v48
	v_mov_b32_e32 v15, v51
	v_mov_b32_e32 v14, v51
	;; [unrolled: 1-line block ×5, first 2 shown]
	s_waitcnt lgkmcnt(0)
	v_mov_b32_e32 v10, v51
	v_mov_b32_e32 v9, v51
	;; [unrolled: 1-line block ×4, first 2 shown]
	s_waitcnt vmcnt(2)
	v_mov_b32_e32 v6, v51
	v_mov_b32_e32 v5, v51
	;; [unrolled: 1-line block ×7, first 2 shown]
	s_cbranch_vccnz .LBB390_21
; %bb.15:                               ;   in Loop: Header=BB390_14 Depth=1
	v_min_u32_e32 v0, s31, v48
	v_mul_lo_u32 v52, v0, s18
	v_min_u32_e32 v0, s31, v61
	v_mul_lo_u32 v54, v0, s18
	v_mov_b32_e32 v0, 0
	v_mov_b32_e32 v53, v51
	;; [unrolled: 1-line block ×3, first 2 shown]
	s_mov_b32 s24, 0
	v_mov_b32_e32 v1, v0
	v_mov_b32_e32 v2, v0
	;; [unrolled: 1-line block ×15, first 2 shown]
	s_branch .LBB390_18
.LBB390_16:                             ;   in Loop: Header=BB390_18 Depth=2
	s_or_b64 exec, exec, s[14:15]
.LBB390_17:                             ;   in Loop: Header=BB390_18 Depth=2
	s_or_b64 exec, exec, s[6:7]
	s_waitcnt vmcnt(3) lgkmcnt(0)
	v_mfma_f32_16x16x32_fp8_fp8 v[12:15], v[40:41], v[28:29], v[12:15]
	s_addk_i32 s24, 0x400
	s_cmp_ge_u32 s24, s16
	s_waitcnt vmcnt(2)
	v_mfma_f32_16x16x32_fp8_fp8 v[8:11], v[40:41], v[32:33], v[8:11]
	v_mfma_f32_16x16x32_fp8_fp8 v[4:7], v[44:45], v[28:29], v[4:7]
	;; [unrolled: 1-line block ×7, first 2 shown]
	s_waitcnt vmcnt(1)
	v_mfma_f32_16x16x32_fp8_fp8 v[12:15], v[36:37], v[20:21], v[12:15]
	s_waitcnt vmcnt(0)
	v_mfma_f32_16x16x32_fp8_fp8 v[8:11], v[36:37], v[16:17], v[8:11]
	v_mfma_f32_16x16x32_fp8_fp8 v[4:7], v[24:25], v[20:21], v[4:7]
	;; [unrolled: 1-line block ×7, first 2 shown]
	s_cbranch_scc1 .LBB390_21
.LBB390_18:                             ;   Parent Loop BB390_14 Depth=1
                                        ; =>  This Inner Loop Header: Depth=2
	v_add_u32_e32 v49, s24, v56
	v_min_u32_e32 v50, s30, v49
	v_lshl_add_u64 v[16:17], s[22:23], 0, v[50:51]
	v_add_u32_e32 v62, 0x200, v49
	v_lshl_add_u64 v[18:19], v[16:17], 0, v[52:53]
	v_lshl_add_u64 v[16:17], v[16:17], 0, v[54:55]
	v_min_u32_e32 v50, s30, v62
	global_load_dwordx4 v[28:31], v[18:19], off nt
	global_load_dwordx4 v[32:35], v[16:17], off nt
	v_lshl_add_u64 v[16:17], s[22:23], 0, v[50:51]
	v_lshl_add_u64 v[24:25], v[16:17], 0, v[52:53]
	v_lshl_add_u64 v[26:27], v[16:17], 0, v[54:55]
	global_load_dwordx4 v[20:23], v[24:25], off nt
	global_load_dwordx4 v[16:19], v[26:27], off nt
	v_mov_b64_e32 v[40:41], 0
	v_cmp_gt_u32_e32 vcc, s16, v49
	v_mov_b64_e32 v[42:43], v[40:41]
	v_mov_b64_e32 v[36:37], v[40:41]
	;; [unrolled: 1-line block ×7, first 2 shown]
	s_and_saveexec_b64 s[6:7], vcc
	s_cbranch_execz .LBB390_17
; %bb.19:                               ;   in Loop: Header=BB390_18 Depth=2
	v_add_u32_e32 v50, s24, v60
	ds_read_b128 v[40:43], v49
	ds_read_b128 v[44:47], v50
	v_mov_b64_e32 v[26:27], 0
	v_cmp_gt_u32_e32 vcc, s16, v62
	v_mov_b64_e32 v[24:25], v[26:27]
	v_mov_b64_e32 v[38:39], v[26:27]
	;; [unrolled: 1-line block ×3, first 2 shown]
	s_and_saveexec_b64 s[14:15], vcc
	s_cbranch_execz .LBB390_16
; %bb.20:                               ;   in Loop: Header=BB390_18 Depth=2
	ds_read_b128 v[36:39], v49 offset:512
	ds_read_b128 v[24:27], v50 offset:512
	s_branch .LBB390_16
.LBB390_21:                             ;   in Loop: Header=BB390_14 Depth=1
	s_nop 2
	v_cvt_i32_f32_e32 v13, v13
	v_cvt_i32_f32_e32 v14, v14
	;; [unrolled: 1-line block ×4, first 2 shown]
	v_cvt_f32_i32_dpp v13, v13 row_shl:1 row_mask:0xf bank_mask:0xf bound_ctrl:1
	v_cvt_i32_f32_e32 v1, v1
	v_cvt_f32_i32_dpp v14, v14 row_shl:2 row_mask:0xf bank_mask:0xf bound_ctrl:1
	v_cvt_i32_f32_e32 v10, v10
	v_cvt_i32_f32_e32 v6, v6
	;; [unrolled: 1-line block ×5, first 2 shown]
	v_cvt_f32_i32_dpp v5, v5 row_shl:1 row_mask:0xf bank_mask:0xf bound_ctrl:1
	v_cvt_i32_f32_e32 v7, v7
	v_cvt_i32_f32_e32 v3, v3
	v_cvt_f32_i32_dpp v9, v9 row_shl:1 row_mask:0xf bank_mask:0xf bound_ctrl:1
	v_add_f32_e32 v12, v12, v13
	v_cvt_f32_i32_dpp v1, v1 row_shl:1 row_mask:0xf bank_mask:0xf bound_ctrl:1
	v_add_f32_e32 v12, v12, v14
	v_cvt_f32_i32_dpp v14, v10 row_shl:2 row_mask:0xf bank_mask:0xf bound_ctrl:1
	v_cvt_f32_i32_dpp v6, v6 row_shl:2 row_mask:0xf bank_mask:0xf bound_ctrl:1
	;; [unrolled: 1-line block ×5, first 2 shown]
	v_add_f32_e32 v4, v4, v5
	v_cvt_f32_i32_dpp v5, v7 row_shl:3 row_mask:0xf bank_mask:0xf bound_ctrl:1
	v_cvt_f32_i32_dpp v3, v3 row_shl:3 row_mask:0xf bank_mask:0xf bound_ctrl:1
	v_add_f32_e32 v8, v8, v9
	v_add_f32_e32 v0, v0, v1
	;; [unrolled: 1-line block ×9, first 2 shown]
	ds_bpermute_b32 v13, v57, v12
	ds_bpermute_b32 v11, v57, v8
	;; [unrolled: 1-line block ×4, first 2 shown]
	s_waitcnt lgkmcnt(0)
	v_add_f32_e32 v9, v12, v13
	v_add_f32_e32 v7, v8, v11
	;; [unrolled: 1-line block ×4, first 2 shown]
	ds_bpermute_b32 v10, v58, v9
	ds_bpermute_b32 v8, v58, v7
	;; [unrolled: 1-line block ×4, first 2 shown]
	s_and_saveexec_b64 s[14:15], s[0:1]
	s_cbranch_execz .LBB390_13
; %bb.22:                               ;   in Loop: Header=BB390_14 Depth=1
	s_and_b64 vcc, exec, s[4:5]
	v_mov_b32_e32 v6, 0
	v_mov_b32_e32 v11, 0
	;; [unrolled: 1-line block ×4, first 2 shown]
	s_cbranch_vccnz .LBB390_24
; %bb.23:                               ;   in Loop: Header=BB390_14 Depth=1
	v_mul_hi_u32 v0, v48, v59
	v_mul_lo_u32 v0, v0, s20
	v_sub_u32_e32 v0, v48, v0
	v_subrev_u32_e32 v1, s20, v0
	v_cmp_le_u32_e32 vcc, s20, v0
	s_nop 1
	v_cndmask_b32_e32 v0, v0, v1, vcc
	v_subrev_u32_e32 v1, s20, v0
	v_cmp_le_u32_e32 vcc, s20, v0
	s_nop 1
	v_cndmask_b32_e32 v50, v0, v1, vcc
	v_mul_hi_u32 v0, v61, v59
	v_mul_lo_u32 v0, v0, s20
	v_sub_u32_e32 v0, v61, v0
	v_subrev_u32_e32 v1, s20, v0
	v_cmp_le_u32_e32 vcc, s20, v0
	v_lshl_add_u64 v[14:15], v[50:51], 1, s[8:9]
	v_add_u32_e32 v50, s21, v50
	v_cndmask_b32_e32 v0, v0, v1, vcc
	v_subrev_u32_e32 v1, s20, v0
	v_cmp_le_u32_e32 vcc, s20, v0
	v_lshl_add_u64 v[18:19], v[50:51], 1, s[8:9]
	s_nop 0
	v_cndmask_b32_e32 v0, v0, v1, vcc
	v_mov_b32_e32 v1, v51
	v_add_u32_e32 v50, s21, v0
	v_lshl_add_u64 v[16:17], v[0:1], 1, s[8:9]
	v_lshl_add_u64 v[20:21], v[50:51], 1, s[8:9]
	global_load_ushort v0, v[14:15], off
	global_load_ushort v12, v[16:17], off
	;; [unrolled: 1-line block ×4, first 2 shown]
.LBB390_24:                             ;   in Loop: Header=BB390_14 Depth=1
	s_waitcnt lgkmcnt(3)
	v_add_f32_e32 v1, v9, v10
	v_mul_f32_e32 v1, s28, v1
	s_waitcnt vmcnt(3)
	v_lshlrev_b32_e32 v0, 16, v0
	v_fmac_f32_e32 v0, s29, v1
	v_and_b32_e32 v1, 0x7f800000, v0
	v_cmp_ne_u32_e32 vcc, s17, v1
                                        ; implicit-def: $vgpr9
	s_and_saveexec_b64 s[6:7], vcc
	s_xor_b64 s[6:7], exec, s[6:7]
; %bb.25:                               ;   in Loop: Header=BB390_14 Depth=1
	v_bfe_u32 v1, v0, 16, 1
	v_add3_u32 v9, v0, v1, s34
                                        ; implicit-def: $vgpr0
; %bb.26:                               ;   in Loop: Header=BB390_14 Depth=1
	s_andn2_saveexec_b64 s[6:7], s[6:7]
; %bb.27:                               ;   in Loop: Header=BB390_14 Depth=1
	v_or_b32_e32 v1, 0x10000, v0
	v_cmp_eq_u32_sdwa vcc, v0, v51 src0_sel:WORD_0 src1_sel:DWORD
	s_nop 1
	v_cndmask_b32_e32 v9, v1, v0, vcc
; %bb.28:                               ;   in Loop: Header=BB390_14 Depth=1
	s_or_b64 exec, exec, s[6:7]
	v_mov_b32_e32 v49, v51
	v_lshl_add_u64 v[0:1], v[48:49], 1, s[10:11]
	v_cmp_gt_u32_e32 vcc, s19, v61
	global_store_short_d16_hi v[0:1], v9, off
	s_and_saveexec_b64 s[24:25], vcc
	s_cbranch_execz .LBB390_34
; %bb.29:                               ;   in Loop: Header=BB390_14 Depth=1
	s_waitcnt lgkmcnt(2)
	v_add_f32_e32 v7, v7, v8
	v_mul_f32_e32 v8, s28, v7
	s_waitcnt vmcnt(3)
	v_lshlrev_b32_e32 v7, 16, v12
	v_fmac_f32_e32 v7, s29, v8
	v_and_b32_e32 v8, 0x7f800000, v7
	v_cmp_ne_u32_e64 s[6:7], s17, v8
                                        ; implicit-def: $vgpr8
	s_and_saveexec_b64 s[26:27], s[6:7]
	s_xor_b64 s[6:7], exec, s[26:27]
; %bb.30:                               ;   in Loop: Header=BB390_14 Depth=1
	v_bfe_u32 v8, v7, 16, 1
	v_add3_u32 v8, v7, v8, s34
                                        ; implicit-def: $vgpr7
; %bb.31:                               ;   in Loop: Header=BB390_14 Depth=1
	s_andn2_saveexec_b64 s[26:27], s[6:7]
; %bb.32:                               ;   in Loop: Header=BB390_14 Depth=1
	v_or_b32_e32 v8, 0x10000, v7
	v_cmp_eq_u32_sdwa s[6:7], v7, v51 src0_sel:WORD_0 src1_sel:DWORD
	s_nop 1
	v_cndmask_b32_e64 v8, v8, v7, s[6:7]
; %bb.33:                               ;   in Loop: Header=BB390_14 Depth=1
	s_or_b64 exec, exec, s[26:27]
	global_store_short_d16_hi v[0:1], v8, off offset:2
.LBB390_34:                             ;   in Loop: Header=BB390_14 Depth=1
	s_or_b64 exec, exec, s[24:25]
	s_waitcnt lgkmcnt(1)
	v_add_f32_e32 v0, v4, v5
	v_mul_f32_e32 v1, s28, v0
	s_waitcnt vmcnt(2)
	v_lshlrev_b32_e32 v0, 16, v11
	v_fmac_f32_e32 v0, s29, v1
	v_and_b32_e32 v1, 0x7f800000, v0
	v_cmp_ne_u32_e64 s[6:7], s17, v1
                                        ; implicit-def: $vgpr1
	s_and_saveexec_b64 s[24:25], s[6:7]
	s_xor_b64 s[6:7], exec, s[24:25]
; %bb.35:                               ;   in Loop: Header=BB390_14 Depth=1
	v_bfe_u32 v1, v0, 16, 1
	v_add3_u32 v1, v0, v1, s34
                                        ; implicit-def: $vgpr0
; %bb.36:                               ;   in Loop: Header=BB390_14 Depth=1
	s_andn2_saveexec_b64 s[24:25], s[6:7]
; %bb.37:                               ;   in Loop: Header=BB390_14 Depth=1
	v_or_b32_e32 v1, 0x10000, v0
	v_cmp_eq_u32_sdwa s[6:7], v0, v51 src0_sel:WORD_0 src1_sel:DWORD
	s_nop 1
	v_cndmask_b32_e64 v1, v1, v0, s[6:7]
; %bb.38:                               ;   in Loop: Header=BB390_14 Depth=1
	s_or_b64 exec, exec, s[24:25]
	v_add_u32_e32 v50, s19, v48
	v_lshl_add_u64 v[4:5], v[50:51], 1, s[10:11]
	global_store_short_d16_hi v[4:5], v1, off
	s_and_b64 exec, exec, vcc
	s_cbranch_execz .LBB390_13
; %bb.39:                               ;   in Loop: Header=BB390_14 Depth=1
	s_waitcnt lgkmcnt(0)
	v_add_f32_e32 v0, v2, v3
	v_mul_f32_e32 v0, s28, v0
	s_waitcnt vmcnt(2)
	v_lshlrev_b32_e32 v1, 16, v6
	v_fmac_f32_e32 v1, s29, v0
	v_and_b32_e32 v0, 0x7f800000, v1
	v_cmp_ne_u32_e32 vcc, s17, v0
                                        ; implicit-def: $vgpr0
	s_and_saveexec_b64 s[6:7], vcc
	s_xor_b64 s[6:7], exec, s[6:7]
; %bb.40:                               ;   in Loop: Header=BB390_14 Depth=1
	v_bfe_u32 v0, v1, 16, 1
	v_add3_u32 v0, v1, v0, s34
                                        ; implicit-def: $vgpr1
; %bb.41:                               ;   in Loop: Header=BB390_14 Depth=1
	s_andn2_saveexec_b64 s[6:7], s[6:7]
	s_cbranch_execz .LBB390_12
; %bb.42:                               ;   in Loop: Header=BB390_14 Depth=1
	v_or_b32_e32 v0, 0x10000, v1
	v_cmp_eq_u32_sdwa vcc, v1, v51 src0_sel:WORD_0 src1_sel:DWORD
	s_nop 1
	v_cndmask_b32_e32 v0, v0, v1, vcc
	s_branch .LBB390_12
.LBB390_43:
	s_endpgm
	.section	.rodata,"a",@progbits
	.p2align	6, 0x0
	.amdhsa_kernel _Z17wvSplitKQ_hf_sml_I14__hip_bfloat16N3c1015Float8_e4m3fnuzELi32ELi2ELi16ELi16ELi2ELi2EEviiiiiiPKT0_S5_PKT_PS6_PKfSB_ii
		.amdhsa_group_segment_fixed_size 65536
		.amdhsa_private_segment_fixed_size 0
		.amdhsa_kernarg_size 80
		.amdhsa_user_sgpr_count 2
		.amdhsa_user_sgpr_dispatch_ptr 0
		.amdhsa_user_sgpr_queue_ptr 0
		.amdhsa_user_sgpr_kernarg_segment_ptr 1
		.amdhsa_user_sgpr_dispatch_id 0
		.amdhsa_user_sgpr_kernarg_preload_length 0
		.amdhsa_user_sgpr_kernarg_preload_offset 0
		.amdhsa_user_sgpr_private_segment_size 0
		.amdhsa_uses_dynamic_stack 0
		.amdhsa_enable_private_segment 0
		.amdhsa_system_sgpr_workgroup_id_x 1
		.amdhsa_system_sgpr_workgroup_id_y 0
		.amdhsa_system_sgpr_workgroup_id_z 0
		.amdhsa_system_sgpr_workgroup_info 0
		.amdhsa_system_vgpr_workitem_id 1
		.amdhsa_next_free_vgpr 63
		.amdhsa_next_free_sgpr 35
		.amdhsa_accum_offset 64
		.amdhsa_reserve_vcc 1
		.amdhsa_float_round_mode_32 0
		.amdhsa_float_round_mode_16_64 0
		.amdhsa_float_denorm_mode_32 3
		.amdhsa_float_denorm_mode_16_64 3
		.amdhsa_dx10_clamp 1
		.amdhsa_ieee_mode 1
		.amdhsa_fp16_overflow 0
		.amdhsa_tg_split 0
		.amdhsa_exception_fp_ieee_invalid_op 0
		.amdhsa_exception_fp_denorm_src 0
		.amdhsa_exception_fp_ieee_div_zero 0
		.amdhsa_exception_fp_ieee_overflow 0
		.amdhsa_exception_fp_ieee_underflow 0
		.amdhsa_exception_fp_ieee_inexact 0
		.amdhsa_exception_int_div_zero 0
	.end_amdhsa_kernel
	.section	.text._Z17wvSplitKQ_hf_sml_I14__hip_bfloat16N3c1015Float8_e4m3fnuzELi32ELi2ELi16ELi16ELi2ELi2EEviiiiiiPKT0_S5_PKT_PS6_PKfSB_ii,"axG",@progbits,_Z17wvSplitKQ_hf_sml_I14__hip_bfloat16N3c1015Float8_e4m3fnuzELi32ELi2ELi16ELi16ELi2ELi2EEviiiiiiPKT0_S5_PKT_PS6_PKfSB_ii,comdat
.Lfunc_end390:
	.size	_Z17wvSplitKQ_hf_sml_I14__hip_bfloat16N3c1015Float8_e4m3fnuzELi32ELi2ELi16ELi16ELi2ELi2EEviiiiiiPKT0_S5_PKT_PS6_PKfSB_ii, .Lfunc_end390-_Z17wvSplitKQ_hf_sml_I14__hip_bfloat16N3c1015Float8_e4m3fnuzELi32ELi2ELi16ELi16ELi2ELi2EEviiiiiiPKT0_S5_PKT_PS6_PKfSB_ii
                                        ; -- End function
	.section	.AMDGPU.csdata,"",@progbits
; Kernel info:
; codeLenInByte = 2436
; NumSgprs: 41
; NumVgprs: 63
; NumAgprs: 0
; TotalNumVgprs: 63
; ScratchSize: 0
; MemoryBound: 0
; FloatMode: 240
; IeeeMode: 1
; LDSByteSize: 65536 bytes/workgroup (compile time only)
; SGPRBlocks: 5
; VGPRBlocks: 7
; NumSGPRsForWavesPerEU: 41
; NumVGPRsForWavesPerEU: 63
; AccumOffset: 64
; Occupancy: 2
; WaveLimiterHint : 0
; COMPUTE_PGM_RSRC2:SCRATCH_EN: 0
; COMPUTE_PGM_RSRC2:USER_SGPR: 2
; COMPUTE_PGM_RSRC2:TRAP_HANDLER: 0
; COMPUTE_PGM_RSRC2:TGID_X_EN: 1
; COMPUTE_PGM_RSRC2:TGID_Y_EN: 0
; COMPUTE_PGM_RSRC2:TGID_Z_EN: 0
; COMPUTE_PGM_RSRC2:TIDIG_COMP_CNT: 1
; COMPUTE_PGM_RSRC3_GFX90A:ACCUM_OFFSET: 15
; COMPUTE_PGM_RSRC3_GFX90A:TG_SPLIT: 0
	.section	.text._Z13wvSplitKQ_hf_I14__hip_bfloat16N3c1015Float8_e4m3fnuzELi32ELi2ELi16ELi16ELi2ELi2EEviiiiiiPKT0_S5_PKT_PS6_PKfSB_ii,"axG",@progbits,_Z13wvSplitKQ_hf_I14__hip_bfloat16N3c1015Float8_e4m3fnuzELi32ELi2ELi16ELi16ELi2ELi2EEviiiiiiPKT0_S5_PKT_PS6_PKfSB_ii,comdat
	.protected	_Z13wvSplitKQ_hf_I14__hip_bfloat16N3c1015Float8_e4m3fnuzELi32ELi2ELi16ELi16ELi2ELi2EEviiiiiiPKT0_S5_PKT_PS6_PKfSB_ii ; -- Begin function _Z13wvSplitKQ_hf_I14__hip_bfloat16N3c1015Float8_e4m3fnuzELi32ELi2ELi16ELi16ELi2ELi2EEviiiiiiPKT0_S5_PKT_PS6_PKfSB_ii
	.globl	_Z13wvSplitKQ_hf_I14__hip_bfloat16N3c1015Float8_e4m3fnuzELi32ELi2ELi16ELi16ELi2ELi2EEviiiiiiPKT0_S5_PKT_PS6_PKfSB_ii
	.p2align	8
	.type	_Z13wvSplitKQ_hf_I14__hip_bfloat16N3c1015Float8_e4m3fnuzELi32ELi2ELi16ELi16ELi2ELi2EEviiiiiiPKT0_S5_PKT_PS6_PKfSB_ii,@function
_Z13wvSplitKQ_hf_I14__hip_bfloat16N3c1015Float8_e4m3fnuzELi32ELi2ELi16ELi16ELi2ELi2EEviiiiiiPKT0_S5_PKT_PS6_PKfSB_ii: ; @_Z13wvSplitKQ_hf_I14__hip_bfloat16N3c1015Float8_e4m3fnuzELi32ELi2ELi16ELi16ELi2ELi2EEviiiiiiPKT0_S5_PKT_PS6_PKfSB_ii
; %bb.0:
	s_load_dwordx4 s[16:19], s[0:1], 0x0
	s_load_dwordx2 s[6:7], s[0:1], 0x20
	v_and_b32_e32 v4, 0x3ff, v0
	v_bfe_u32 v5, v0, 10, 10
	v_lshlrev_b32_e32 v56, 4, v4
	s_waitcnt lgkmcnt(0)
	s_lshl_b32 s3, s17, 1
	v_lshl_add_u32 v0, v5, 9, v56
	s_min_u32 s3, s3, 0x10000
	v_cmp_gt_u32_e32 vcc, s3, v0
	s_and_saveexec_b64 s[4:5], vcc
	s_cbranch_execz .LBB391_9
; %bb.1:
	global_load_dwordx4 v[6:9], v0, s[6:7]
	v_add_u32_e32 v1, 0x2000, v0
	v_cmp_gt_u32_e32 vcc, s3, v1
	s_waitcnt vmcnt(0)
	ds_write_b128 v0, v[6:9]
	s_and_saveexec_b64 s[8:9], vcc
	s_xor_b64 s[8:9], exec, s[8:9]
	s_cbranch_execz .LBB391_9
; %bb.2:
	v_mov_b32_e32 v1, 0
	v_lshl_add_u64 v[2:3], s[6:7], 0, v[0:1]
	v_add_co_u32_e32 v6, vcc, 0x2000, v2
	v_add_u32_e32 v1, 0x4000, v0
	s_nop 0
	v_addc_co_u32_e32 v7, vcc, 0, v3, vcc
	global_load_dwordx4 v[6:9], v[6:7], off
	v_cmp_gt_u32_e32 vcc, s3, v1
	s_waitcnt vmcnt(0)
	ds_write_b128 v0, v[6:9] offset:8192
	s_and_saveexec_b64 s[8:9], vcc
	s_xor_b64 s[8:9], exec, s[8:9]
	s_cbranch_execz .LBB391_9
; %bb.3:
	v_add_co_u32_e32 v6, vcc, 0x4000, v2
	v_add_u32_e32 v1, 0x6000, v0
	s_nop 0
	v_addc_co_u32_e32 v7, vcc, 0, v3, vcc
	global_load_dwordx4 v[6:9], v[6:7], off
	v_cmp_gt_u32_e32 vcc, s3, v1
	s_waitcnt vmcnt(0)
	ds_write_b128 v0, v[6:9] offset:16384
	s_and_saveexec_b64 s[8:9], vcc
	s_xor_b64 s[8:9], exec, s[8:9]
	s_cbranch_execz .LBB391_9
; %bb.4:
	v_add_co_u32_e32 v6, vcc, 0x6000, v2
	v_add_u32_e32 v1, 0x8000, v0
	s_nop 0
	v_addc_co_u32_e32 v7, vcc, 0, v3, vcc
	global_load_dwordx4 v[6:9], v[6:7], off
	v_cmp_gt_u32_e32 vcc, s3, v1
	s_waitcnt vmcnt(0)
	ds_write_b128 v0, v[6:9] offset:24576
	s_and_saveexec_b64 s[8:9], vcc
	s_xor_b64 s[8:9], exec, s[8:9]
	s_cbranch_execz .LBB391_9
; %bb.5:
	v_add_co_u32_e32 v6, vcc, 0x8000, v2
	v_add_u32_e32 v1, 0xa000, v0
	s_nop 0
	v_addc_co_u32_e32 v7, vcc, 0, v3, vcc
	global_load_dwordx4 v[6:9], v[6:7], off
	v_cmp_gt_u32_e32 vcc, s3, v1
	s_waitcnt vmcnt(0)
	ds_write_b128 v0, v[6:9] offset:32768
	s_and_saveexec_b64 s[8:9], vcc
	s_xor_b64 s[8:9], exec, s[8:9]
	s_cbranch_execz .LBB391_9
; %bb.6:
	v_add_co_u32_e32 v6, vcc, 0xa000, v2
	v_add_u32_e32 v1, 0xc000, v0
	s_nop 0
	v_addc_co_u32_e32 v7, vcc, 0, v3, vcc
	global_load_dwordx4 v[6:9], v[6:7], off
	v_cmp_gt_u32_e32 vcc, s3, v1
	s_waitcnt vmcnt(0)
	ds_write_b128 v0, v[6:9] offset:40960
	s_and_saveexec_b64 s[8:9], vcc
	s_xor_b64 s[8:9], exec, s[8:9]
	s_cbranch_execz .LBB391_9
; %bb.7:
	v_add_co_u32_e32 v6, vcc, 0xc000, v2
	v_add_u32_e32 v1, 0xe000, v0
	s_nop 0
	v_addc_co_u32_e32 v7, vcc, 0, v3, vcc
	global_load_dwordx4 v[6:9], v[6:7], off
	v_cmp_gt_u32_e32 vcc, s3, v1
	s_waitcnt vmcnt(0)
	ds_write_b128 v0, v[6:9] offset:49152
	s_and_saveexec_b64 s[8:9], vcc
	s_xor_b64 s[8:9], exec, s[8:9]
	s_cbranch_execz .LBB391_9
; %bb.8:
	v_add_co_u32_e32 v2, vcc, 0xe000, v2
	s_nop 1
	v_addc_co_u32_e32 v3, vcc, 0, v3, vcc
	global_load_dwordx4 v[6:9], v[2:3], off
	s_waitcnt vmcnt(0)
	ds_write_b128 v0, v[6:9] offset:57344
.LBB391_9:
	s_or_b64 exec, exec, s[4:5]
	s_load_dwordx2 s[4:5], s[0:1], 0x48
	;;#ASMSTART
	s_waitcnt vmcnt(0)
	;;#ASMEND
	s_waitcnt lgkmcnt(0)
	s_barrier
	v_cmp_gt_u32_e32 vcc, s4, v5
	s_and_saveexec_b64 s[8:9], vcc
	s_cbranch_execz .LBB391_59
; %bb.10:
	s_load_dwordx2 s[20:21], s[0:1], 0x10
	s_mul_i32 s2, s2, s4
	v_add_lshl_u32 v48, s2, v5, 1
	v_cmp_gt_u32_e32 vcc, s19, v48
	s_and_b64 exec, exec, vcc
	s_cbranch_execz .LBB391_59
; %bb.11:
	v_mbcnt_lo_u32_b32 v0, -1, 0
	v_mbcnt_hi_u32_b32 v0, -1, v0
	v_and_b32_e32 v1, 63, v0
	v_cmp_lt_u32_e32 vcc, 43, v1
	s_load_dwordx8 s[8:15], s[0:1], 0x28
	s_load_dwordx2 s[22:23], s[0:1], 0x18
	v_cndmask_b32_e64 v2, 20, 0, vcc
	v_add_lshl_u32 v57, v2, v0, 2
	s_waitcnt lgkmcnt(0)
	v_cvt_f32_u32_e32 v2, s20
	v_cmp_lt_u32_e32 vcc, 23, v1
	s_cmp_lg_u32 s16, 0
	s_cselect_b64 s[2:3], -1, 0
	v_cndmask_b32_e64 v1, 40, 0, vcc
	v_add_lshl_u32 v58, v1, v0, 2
	v_rcp_iflag_f32_e32 v0, v2
	s_add_i32 s33, s16, -16
	s_add_i32 s34, s19, -1
	s_mul_i32 s4, s4, s5
	v_mul_f32_e32 v0, 0x4f7ffffe, v0
	v_cvt_u32_f32_e32 v0, v0
	s_cmp_lg_u64 s[8:9], 0
	s_load_dword s30, s[12:13], 0x0
	s_load_dword s31, s[14:15], 0x0
	s_cselect_b64 s[14:15], -1, 0
	s_lshl_b32 s35, s4, 1
	s_sub_i32 s4, 0, s20
	v_mul_lo_u32 v1, s4, v0
	s_abs_i32 s4, s21
	s_sub_i32 s5, 1, s4
	s_cmp_lt_u32 s4, 2
	s_cselect_b32 s5, s5, 1
	s_sub_i32 s21, s5, s4
	v_mul_hi_u32 v1, v0, v1
	s_cmp_ge_u32 s5, s4
	v_add_u32_e32 v59, v0, v1
	s_cselect_b32 s21, s21, s5
	v_cndmask_b32_e64 v0, 0, 1, s[2:3]
	v_cmp_eq_u32_e64 s[0:1], 0, v4
	s_mov_b64 s[12:13], 0
	v_mov_b32_e32 v51, 0
	s_mul_i32 s21, s21, s20
	v_cmp_ne_u32_e64 s[2:3], 1, v0
	s_mov_b32 s36, 0xffff
	s_mov_b32 s37, 0x7f800000
	s_movk_i32 s38, 0x7fff
	s_branch .LBB391_14
.LBB391_12:                             ;   in Loop: Header=BB391_14 Depth=1
	s_or_b64 exec, exec, s[4:5]
	v_add_u32_e32 v50, s19, v60
	v_lshl_add_u64 v[2:3], v[50:51], 1, s[10:11]
	global_store_short_d16_hi v[2:3], v0, off
.LBB391_13:                             ;   in Loop: Header=BB391_14 Depth=1
	s_or_b64 exec, exec, s[24:25]
	v_add_u32_e32 v48, s35, v48
	v_cmp_le_u32_e32 vcc, s19, v48
	s_or_b64 s[12:13], vcc, s[12:13]
	s_andn2_b64 exec, exec, s[12:13]
	s_cbranch_execz .LBB391_59
.LBB391_14:                             ; =>This Loop Header: Depth=1
                                        ;     Child Loop BB391_19 Depth 2
	s_and_b64 vcc, exec, s[2:3]
	v_or_b32_e32 v60, 1, v48
	v_mov_b32_e32 v15, v51
	v_mov_b32_e32 v14, v51
	v_mov_b32_e32 v13, v51
	v_mov_b32_e32 v12, v51
	v_mov_b32_e32 v11, v51
	s_waitcnt lgkmcnt(0)
	v_mov_b32_e32 v10, v51
	v_mov_b32_e32 v9, v51
	;; [unrolled: 1-line block ×4, first 2 shown]
	s_waitcnt vmcnt(2)
	v_mov_b32_e32 v6, v51
	v_mov_b32_e32 v5, v51
	;; [unrolled: 1-line block ×7, first 2 shown]
	s_cbranch_vccnz .LBB391_37
; %bb.15:                               ;   in Loop: Header=BB391_14 Depth=1
	v_min_u32_e32 v0, s34, v48
	v_mul_lo_u32 v52, v0, s18
	v_min_u32_e32 v0, s34, v60
	v_mul_lo_u32 v54, v0, s18
	v_mov_b32_e32 v0, 0
	v_mov_b32_e32 v53, v51
	;; [unrolled: 1-line block ×3, first 2 shown]
	s_mov_b32 s28, 0
	v_mov_b32_e32 v1, v0
	v_mov_b32_e32 v2, v0
	;; [unrolled: 1-line block ×15, first 2 shown]
	s_branch .LBB391_19
.LBB391_16:                             ;   in Loop: Header=BB391_19 Depth=2
	s_or_b64 exec, exec, s[26:27]
.LBB391_17:                             ;   in Loop: Header=BB391_19 Depth=2
	s_or_b64 exec, exec, s[24:25]
.LBB391_18:                             ;   in Loop: Header=BB391_19 Depth=2
	s_or_b64 exec, exec, s[4:5]
	s_waitcnt vmcnt(0) lgkmcnt(0)
	v_mfma_f32_16x16x32_fp8_fp8 v[12:15], v[32:33], v[24:25], v[12:15]
	s_addk_i32 s28, 0x400
	s_cmp_ge_u32 s28, s16
	v_mfma_f32_16x16x32_fp8_fp8 v[8:11], v[32:33], v[28:29], v[8:11]
	v_mfma_f32_16x16x32_fp8_fp8 v[4:7], v[36:37], v[24:25], v[4:7]
	;; [unrolled: 1-line block ×15, first 2 shown]
	s_cbranch_scc1 .LBB391_37
.LBB391_19:                             ;   Parent Loop BB391_14 Depth=1
                                        ; =>  This Inner Loop Header: Depth=2
	v_add_u32_e32 v61, s28, v56
	v_min_u32_e32 v50, s33, v61
	v_lshl_add_u64 v[16:17], s[22:23], 0, v[50:51]
	v_add_u32_e32 v49, 0x200, v61
	v_lshl_add_u64 v[18:19], v[16:17], 0, v[52:53]
	v_lshl_add_u64 v[16:17], v[16:17], 0, v[54:55]
	v_min_u32_e32 v50, s33, v49
	global_load_dwordx4 v[24:27], v[18:19], off nt
	global_load_dwordx4 v[28:31], v[16:17], off nt
	v_lshl_add_u64 v[16:17], s[22:23], 0, v[50:51]
	v_lshl_add_u64 v[32:33], v[16:17], 0, v[52:53]
	;; [unrolled: 1-line block ×3, first 2 shown]
	global_load_dwordx4 v[20:23], v[32:33], off nt
	global_load_dwordx4 v[16:19], v[34:35], off nt
	v_mov_b64_e32 v[46:47], 0
	v_cmp_gt_u32_e32 vcc, s16, v61
	v_mov_b64_e32 v[44:45], v[46:47]
	v_mov_b64_e32 v[38:39], v[46:47]
	;; [unrolled: 1-line block ×7, first 2 shown]
	s_and_saveexec_b64 s[4:5], vcc
	s_cbranch_execz .LBB391_18
; %bb.20:                               ;   in Loop: Header=BB391_19 Depth=2
	v_cmp_lt_u32_e32 vcc, s36, v61
                                        ; implicit-def: $vgpr34_vgpr35
	s_and_saveexec_b64 s[24:25], vcc
	s_xor_b64 s[24:25], exec, s[24:25]
	s_cbranch_execz .LBB391_22
; %bb.21:                               ;   in Loop: Header=BB391_19 Depth=2
	global_load_dwordx4 v[32:35], v61, s[6:7]
.LBB391_22:                             ;   in Loop: Header=BB391_19 Depth=2
	s_andn2_saveexec_b64 s[24:25], s[24:25]
	s_cbranch_execz .LBB391_24
; %bb.23:                               ;   in Loop: Header=BB391_19 Depth=2
	s_waitcnt vmcnt(0)
	ds_read_b128 v[32:35], v61
.LBB391_24:                             ;   in Loop: Header=BB391_19 Depth=2
	s_or_b64 exec, exec, s[24:25]
	v_add_u32_e32 v50, s17, v61
	v_cmp_lt_u32_e32 vcc, s36, v50
                                        ; implicit-def: $vgpr38_vgpr39
	s_and_saveexec_b64 s[24:25], vcc
	s_xor_b64 s[24:25], exec, s[24:25]
	s_cbranch_execz .LBB391_26
; %bb.25:                               ;   in Loop: Header=BB391_19 Depth=2
	global_load_dwordx4 v[36:39], v50, s[6:7]
.LBB391_26:                             ;   in Loop: Header=BB391_19 Depth=2
	s_andn2_saveexec_b64 s[24:25], s[24:25]
	s_cbranch_execz .LBB391_28
; %bb.27:                               ;   in Loop: Header=BB391_19 Depth=2
	s_waitcnt vmcnt(0)
	ds_read_b128 v[36:39], v50
.LBB391_28:                             ;   in Loop: Header=BB391_19 Depth=2
	s_or_b64 exec, exec, s[24:25]
	v_mov_b64_e32 v[46:47], 0
	v_cmp_gt_u32_e32 vcc, s16, v49
	v_mov_b64_e32 v[44:45], v[46:47]
	v_mov_b64_e32 v[42:43], v[46:47]
	;; [unrolled: 1-line block ×3, first 2 shown]
	s_and_saveexec_b64 s[24:25], vcc
	s_cbranch_execz .LBB391_17
; %bb.29:                               ;   in Loop: Header=BB391_19 Depth=2
	v_cmp_lt_u32_e32 vcc, s36, v49
                                        ; implicit-def: $vgpr42_vgpr43
	s_and_saveexec_b64 s[26:27], vcc
	s_xor_b64 s[26:27], exec, s[26:27]
	s_cbranch_execz .LBB391_31
; %bb.30:                               ;   in Loop: Header=BB391_19 Depth=2
	global_load_dwordx4 v[40:43], v49, s[6:7]
                                        ; implicit-def: $vgpr61
.LBB391_31:                             ;   in Loop: Header=BB391_19 Depth=2
	s_andn2_saveexec_b64 s[26:27], s[26:27]
	s_cbranch_execz .LBB391_33
; %bb.32:                               ;   in Loop: Header=BB391_19 Depth=2
	s_waitcnt vmcnt(0)
	ds_read_b128 v[40:43], v61 offset:512
.LBB391_33:                             ;   in Loop: Header=BB391_19 Depth=2
	s_or_b64 exec, exec, s[26:27]
	v_add_u32_e32 v44, s17, v49
	v_cmp_lt_u32_e32 vcc, s36, v44
                                        ; implicit-def: $vgpr46_vgpr47
	s_and_saveexec_b64 s[26:27], vcc
	s_xor_b64 s[26:27], exec, s[26:27]
	s_cbranch_execz .LBB391_35
; %bb.34:                               ;   in Loop: Header=BB391_19 Depth=2
	global_load_dwordx4 v[44:47], v44, s[6:7]
                                        ; implicit-def: $vgpr50
.LBB391_35:                             ;   in Loop: Header=BB391_19 Depth=2
	s_andn2_saveexec_b64 s[26:27], s[26:27]
	s_cbranch_execz .LBB391_16
; %bb.36:                               ;   in Loop: Header=BB391_19 Depth=2
	s_waitcnt vmcnt(0)
	ds_read_b128 v[44:47], v50 offset:512
	s_branch .LBB391_16
.LBB391_37:                             ;   in Loop: Header=BB391_14 Depth=1
	s_nop 2
	v_cvt_i32_f32_e32 v13, v13
	v_cvt_i32_f32_e32 v14, v14
	;; [unrolled: 1-line block ×4, first 2 shown]
	v_cvt_f32_i32_dpp v13, v13 row_shl:1 row_mask:0xf bank_mask:0xf bound_ctrl:1
	v_cvt_i32_f32_e32 v1, v1
	v_cvt_f32_i32_dpp v14, v14 row_shl:2 row_mask:0xf bank_mask:0xf bound_ctrl:1
	v_cvt_i32_f32_e32 v10, v10
	v_cvt_i32_f32_e32 v6, v6
	v_cvt_i32_f32_e32 v2, v2
	v_cvt_i32_f32_e32 v15, v15
	v_cvt_i32_f32_e32 v11, v11
	v_cvt_f32_i32_dpp v5, v5 row_shl:1 row_mask:0xf bank_mask:0xf bound_ctrl:1
	v_cvt_i32_f32_e32 v7, v7
	v_cvt_i32_f32_e32 v3, v3
	v_cvt_f32_i32_dpp v9, v9 row_shl:1 row_mask:0xf bank_mask:0xf bound_ctrl:1
	v_add_f32_e32 v12, v12, v13
	v_cvt_f32_i32_dpp v1, v1 row_shl:1 row_mask:0xf bank_mask:0xf bound_ctrl:1
	v_add_f32_e32 v12, v12, v14
	v_cvt_f32_i32_dpp v14, v10 row_shl:2 row_mask:0xf bank_mask:0xf bound_ctrl:1
	v_cvt_f32_i32_dpp v6, v6 row_shl:2 row_mask:0xf bank_mask:0xf bound_ctrl:1
	;; [unrolled: 1-line block ×5, first 2 shown]
	v_add_f32_e32 v4, v4, v5
	v_cvt_f32_i32_dpp v5, v7 row_shl:3 row_mask:0xf bank_mask:0xf bound_ctrl:1
	v_cvt_f32_i32_dpp v3, v3 row_shl:3 row_mask:0xf bank_mask:0xf bound_ctrl:1
	v_add_f32_e32 v8, v8, v9
	v_add_f32_e32 v0, v0, v1
	;; [unrolled: 1-line block ×9, first 2 shown]
	ds_bpermute_b32 v13, v57, v12
	ds_bpermute_b32 v11, v57, v8
	;; [unrolled: 1-line block ×4, first 2 shown]
	s_waitcnt lgkmcnt(0)
	v_add_f32_e32 v9, v12, v13
	v_add_f32_e32 v7, v8, v11
	v_add_f32_e32 v4, v4, v5
	v_add_f32_e32 v2, v0, v1
	ds_bpermute_b32 v10, v58, v9
	ds_bpermute_b32 v8, v58, v7
	;; [unrolled: 1-line block ×4, first 2 shown]
	s_and_saveexec_b64 s[24:25], s[0:1]
	s_cbranch_execz .LBB391_13
; %bb.38:                               ;   in Loop: Header=BB391_14 Depth=1
	s_andn2_b64 vcc, exec, s[14:15]
	v_mov_b32_e32 v6, 0
	v_mov_b32_e32 v11, 0
	;; [unrolled: 1-line block ×4, first 2 shown]
	s_cbranch_vccnz .LBB391_40
; %bb.39:                               ;   in Loop: Header=BB391_14 Depth=1
	v_mul_hi_u32 v0, v48, v59
	v_mul_lo_u32 v0, v0, s20
	v_sub_u32_e32 v0, v48, v0
	v_subrev_u32_e32 v1, s20, v0
	v_cmp_le_u32_e32 vcc, s20, v0
	s_nop 1
	v_cndmask_b32_e32 v0, v0, v1, vcc
	v_subrev_u32_e32 v1, s20, v0
	v_cmp_le_u32_e32 vcc, s20, v0
	s_nop 1
	v_cndmask_b32_e32 v50, v0, v1, vcc
	v_mul_hi_u32 v0, v60, v59
	v_mul_lo_u32 v0, v0, s20
	v_sub_u32_e32 v0, v60, v0
	v_subrev_u32_e32 v1, s20, v0
	v_cmp_le_u32_e32 vcc, s20, v0
	v_lshl_add_u64 v[14:15], v[50:51], 1, s[8:9]
	v_add_u32_e32 v50, s21, v50
	v_cndmask_b32_e32 v0, v0, v1, vcc
	v_subrev_u32_e32 v1, s20, v0
	v_cmp_le_u32_e32 vcc, s20, v0
	v_lshl_add_u64 v[18:19], v[50:51], 1, s[8:9]
	s_nop 0
	v_cndmask_b32_e32 v0, v0, v1, vcc
	v_mov_b32_e32 v1, v51
	v_add_u32_e32 v50, s21, v0
	v_lshl_add_u64 v[16:17], v[0:1], 1, s[8:9]
	v_lshl_add_u64 v[20:21], v[50:51], 1, s[8:9]
	global_load_ushort v0, v[14:15], off
	global_load_ushort v12, v[16:17], off
	;; [unrolled: 1-line block ×4, first 2 shown]
.LBB391_40:                             ;   in Loop: Header=BB391_14 Depth=1
	s_waitcnt lgkmcnt(3)
	v_add_f32_e32 v1, v9, v10
	v_mul_f32_e32 v1, s30, v1
	s_waitcnt vmcnt(3)
	v_lshlrev_b32_e32 v0, 16, v0
	v_fmac_f32_e32 v0, s31, v1
	v_and_b32_e32 v1, 0x7f800000, v0
	v_cmp_ne_u32_e32 vcc, s37, v1
                                        ; implicit-def: $vgpr9
	s_and_saveexec_b64 s[4:5], vcc
	s_xor_b64 s[4:5], exec, s[4:5]
; %bb.41:                               ;   in Loop: Header=BB391_14 Depth=1
	v_bfe_u32 v1, v0, 16, 1
	v_add3_u32 v9, v0, v1, s38
                                        ; implicit-def: $vgpr0
; %bb.42:                               ;   in Loop: Header=BB391_14 Depth=1
	s_andn2_saveexec_b64 s[4:5], s[4:5]
; %bb.43:                               ;   in Loop: Header=BB391_14 Depth=1
	v_or_b32_e32 v1, 0x10000, v0
	v_cmp_eq_u32_sdwa vcc, v0, v51 src0_sel:WORD_0 src1_sel:DWORD
	s_nop 1
	v_cndmask_b32_e32 v9, v1, v0, vcc
; %bb.44:                               ;   in Loop: Header=BB391_14 Depth=1
	s_or_b64 exec, exec, s[4:5]
	v_mov_b32_e32 v49, v51
	v_lshl_add_u64 v[0:1], v[48:49], 1, s[10:11]
	v_cmp_gt_u32_e32 vcc, s19, v60
	global_store_short_d16_hi v[0:1], v9, off
	s_and_saveexec_b64 s[26:27], vcc
	s_cbranch_execz .LBB391_50
; %bb.45:                               ;   in Loop: Header=BB391_14 Depth=1
	s_waitcnt lgkmcnt(2)
	v_add_f32_e32 v7, v7, v8
	v_mul_f32_e32 v8, s30, v7
	s_waitcnt vmcnt(3)
	v_lshlrev_b32_e32 v7, 16, v12
	v_fmac_f32_e32 v7, s31, v8
	v_and_b32_e32 v8, 0x7f800000, v7
	v_cmp_ne_u32_e64 s[4:5], s37, v8
                                        ; implicit-def: $vgpr8
	s_and_saveexec_b64 s[28:29], s[4:5]
	s_xor_b64 s[4:5], exec, s[28:29]
; %bb.46:                               ;   in Loop: Header=BB391_14 Depth=1
	v_bfe_u32 v8, v7, 16, 1
	v_add3_u32 v8, v7, v8, s38
                                        ; implicit-def: $vgpr7
; %bb.47:                               ;   in Loop: Header=BB391_14 Depth=1
	s_andn2_saveexec_b64 s[28:29], s[4:5]
; %bb.48:                               ;   in Loop: Header=BB391_14 Depth=1
	v_or_b32_e32 v8, 0x10000, v7
	v_cmp_eq_u32_sdwa s[4:5], v7, v51 src0_sel:WORD_0 src1_sel:DWORD
	s_nop 1
	v_cndmask_b32_e64 v8, v8, v7, s[4:5]
; %bb.49:                               ;   in Loop: Header=BB391_14 Depth=1
	s_or_b64 exec, exec, s[28:29]
	global_store_short_d16_hi v[0:1], v8, off offset:2
.LBB391_50:                             ;   in Loop: Header=BB391_14 Depth=1
	s_or_b64 exec, exec, s[26:27]
	s_waitcnt lgkmcnt(1)
	v_add_f32_e32 v0, v4, v5
	v_mul_f32_e32 v1, s30, v0
	s_waitcnt vmcnt(2)
	v_lshlrev_b32_e32 v0, 16, v11
	v_fmac_f32_e32 v0, s31, v1
	v_and_b32_e32 v1, 0x7f800000, v0
	v_cmp_ne_u32_e64 s[4:5], s37, v1
                                        ; implicit-def: $vgpr1
	s_and_saveexec_b64 s[26:27], s[4:5]
	s_xor_b64 s[4:5], exec, s[26:27]
; %bb.51:                               ;   in Loop: Header=BB391_14 Depth=1
	v_bfe_u32 v1, v0, 16, 1
	v_add3_u32 v1, v0, v1, s38
                                        ; implicit-def: $vgpr0
; %bb.52:                               ;   in Loop: Header=BB391_14 Depth=1
	s_andn2_saveexec_b64 s[26:27], s[4:5]
; %bb.53:                               ;   in Loop: Header=BB391_14 Depth=1
	v_or_b32_e32 v1, 0x10000, v0
	v_cmp_eq_u32_sdwa s[4:5], v0, v51 src0_sel:WORD_0 src1_sel:DWORD
	s_nop 1
	v_cndmask_b32_e64 v1, v1, v0, s[4:5]
; %bb.54:                               ;   in Loop: Header=BB391_14 Depth=1
	s_or_b64 exec, exec, s[26:27]
	v_add_u32_e32 v50, s19, v48
	v_lshl_add_u64 v[4:5], v[50:51], 1, s[10:11]
	global_store_short_d16_hi v[4:5], v1, off
	s_and_b64 exec, exec, vcc
	s_cbranch_execz .LBB391_13
; %bb.55:                               ;   in Loop: Header=BB391_14 Depth=1
	s_waitcnt lgkmcnt(0)
	v_add_f32_e32 v0, v2, v3
	v_mul_f32_e32 v0, s30, v0
	s_waitcnt vmcnt(2)
	v_lshlrev_b32_e32 v1, 16, v6
	v_fmac_f32_e32 v1, s31, v0
	v_and_b32_e32 v0, 0x7f800000, v1
	v_cmp_ne_u32_e32 vcc, s37, v0
                                        ; implicit-def: $vgpr0
	s_and_saveexec_b64 s[4:5], vcc
	s_xor_b64 s[4:5], exec, s[4:5]
; %bb.56:                               ;   in Loop: Header=BB391_14 Depth=1
	v_bfe_u32 v0, v1, 16, 1
	v_add3_u32 v0, v1, v0, s38
                                        ; implicit-def: $vgpr1
; %bb.57:                               ;   in Loop: Header=BB391_14 Depth=1
	s_andn2_saveexec_b64 s[4:5], s[4:5]
	s_cbranch_execz .LBB391_12
; %bb.58:                               ;   in Loop: Header=BB391_14 Depth=1
	v_or_b32_e32 v0, 0x10000, v1
	v_cmp_eq_u32_sdwa vcc, v1, v51 src0_sel:WORD_0 src1_sel:DWORD
	s_nop 1
	v_cndmask_b32_e32 v0, v0, v1, vcc
	s_branch .LBB391_12
.LBB391_59:
	s_endpgm
	.section	.rodata,"a",@progbits
	.p2align	6, 0x0
	.amdhsa_kernel _Z13wvSplitKQ_hf_I14__hip_bfloat16N3c1015Float8_e4m3fnuzELi32ELi2ELi16ELi16ELi2ELi2EEviiiiiiPKT0_S5_PKT_PS6_PKfSB_ii
		.amdhsa_group_segment_fixed_size 65536
		.amdhsa_private_segment_fixed_size 0
		.amdhsa_kernarg_size 80
		.amdhsa_user_sgpr_count 2
		.amdhsa_user_sgpr_dispatch_ptr 0
		.amdhsa_user_sgpr_queue_ptr 0
		.amdhsa_user_sgpr_kernarg_segment_ptr 1
		.amdhsa_user_sgpr_dispatch_id 0
		.amdhsa_user_sgpr_kernarg_preload_length 0
		.amdhsa_user_sgpr_kernarg_preload_offset 0
		.amdhsa_user_sgpr_private_segment_size 0
		.amdhsa_uses_dynamic_stack 0
		.amdhsa_enable_private_segment 0
		.amdhsa_system_sgpr_workgroup_id_x 1
		.amdhsa_system_sgpr_workgroup_id_y 0
		.amdhsa_system_sgpr_workgroup_id_z 0
		.amdhsa_system_sgpr_workgroup_info 0
		.amdhsa_system_vgpr_workitem_id 1
		.amdhsa_next_free_vgpr 62
		.amdhsa_next_free_sgpr 39
		.amdhsa_accum_offset 64
		.amdhsa_reserve_vcc 1
		.amdhsa_float_round_mode_32 0
		.amdhsa_float_round_mode_16_64 0
		.amdhsa_float_denorm_mode_32 3
		.amdhsa_float_denorm_mode_16_64 3
		.amdhsa_dx10_clamp 1
		.amdhsa_ieee_mode 1
		.amdhsa_fp16_overflow 0
		.amdhsa_tg_split 0
		.amdhsa_exception_fp_ieee_invalid_op 0
		.amdhsa_exception_fp_denorm_src 0
		.amdhsa_exception_fp_ieee_div_zero 0
		.amdhsa_exception_fp_ieee_overflow 0
		.amdhsa_exception_fp_ieee_underflow 0
		.amdhsa_exception_fp_ieee_inexact 0
		.amdhsa_exception_int_div_zero 0
	.end_amdhsa_kernel
	.section	.text._Z13wvSplitKQ_hf_I14__hip_bfloat16N3c1015Float8_e4m3fnuzELi32ELi2ELi16ELi16ELi2ELi2EEviiiiiiPKT0_S5_PKT_PS6_PKfSB_ii,"axG",@progbits,_Z13wvSplitKQ_hf_I14__hip_bfloat16N3c1015Float8_e4m3fnuzELi32ELi2ELi16ELi16ELi2ELi2EEviiiiiiPKT0_S5_PKT_PS6_PKfSB_ii,comdat
.Lfunc_end391:
	.size	_Z13wvSplitKQ_hf_I14__hip_bfloat16N3c1015Float8_e4m3fnuzELi32ELi2ELi16ELi16ELi2ELi2EEviiiiiiPKT0_S5_PKT_PS6_PKfSB_ii, .Lfunc_end391-_Z13wvSplitKQ_hf_I14__hip_bfloat16N3c1015Float8_e4m3fnuzELi32ELi2ELi16ELi16ELi2ELi2EEviiiiiiPKT0_S5_PKT_PS6_PKfSB_ii
                                        ; -- End function
	.section	.AMDGPU.csdata,"",@progbits
; Kernel info:
; codeLenInByte = 2572
; NumSgprs: 45
; NumVgprs: 62
; NumAgprs: 0
; TotalNumVgprs: 62
; ScratchSize: 0
; MemoryBound: 1
; FloatMode: 240
; IeeeMode: 1
; LDSByteSize: 65536 bytes/workgroup (compile time only)
; SGPRBlocks: 5
; VGPRBlocks: 7
; NumSGPRsForWavesPerEU: 45
; NumVGPRsForWavesPerEU: 62
; AccumOffset: 64
; Occupancy: 2
; WaveLimiterHint : 0
; COMPUTE_PGM_RSRC2:SCRATCH_EN: 0
; COMPUTE_PGM_RSRC2:USER_SGPR: 2
; COMPUTE_PGM_RSRC2:TRAP_HANDLER: 0
; COMPUTE_PGM_RSRC2:TGID_X_EN: 1
; COMPUTE_PGM_RSRC2:TGID_Y_EN: 0
; COMPUTE_PGM_RSRC2:TGID_Z_EN: 0
; COMPUTE_PGM_RSRC2:TIDIG_COMP_CNT: 1
; COMPUTE_PGM_RSRC3_GFX90A:ACCUM_OFFSET: 15
; COMPUTE_PGM_RSRC3_GFX90A:TG_SPLIT: 0
	.section	.text._Z17wvSplitKQ_hf_sml_I14__hip_bfloat16N3c1015Float8_e4m3fnuzELi64ELi2ELi16ELi16ELi2ELi2EEviiiiiiPKT0_S5_PKT_PS6_PKfSB_ii,"axG",@progbits,_Z17wvSplitKQ_hf_sml_I14__hip_bfloat16N3c1015Float8_e4m3fnuzELi64ELi2ELi16ELi16ELi2ELi2EEviiiiiiPKT0_S5_PKT_PS6_PKfSB_ii,comdat
	.protected	_Z17wvSplitKQ_hf_sml_I14__hip_bfloat16N3c1015Float8_e4m3fnuzELi64ELi2ELi16ELi16ELi2ELi2EEviiiiiiPKT0_S5_PKT_PS6_PKfSB_ii ; -- Begin function _Z17wvSplitKQ_hf_sml_I14__hip_bfloat16N3c1015Float8_e4m3fnuzELi64ELi2ELi16ELi16ELi2ELi2EEviiiiiiPKT0_S5_PKT_PS6_PKfSB_ii
	.globl	_Z17wvSplitKQ_hf_sml_I14__hip_bfloat16N3c1015Float8_e4m3fnuzELi64ELi2ELi16ELi16ELi2ELi2EEviiiiiiPKT0_S5_PKT_PS6_PKfSB_ii
	.p2align	8
	.type	_Z17wvSplitKQ_hf_sml_I14__hip_bfloat16N3c1015Float8_e4m3fnuzELi64ELi2ELi16ELi16ELi2ELi2EEviiiiiiPKT0_S5_PKT_PS6_PKfSB_ii,@function
_Z17wvSplitKQ_hf_sml_I14__hip_bfloat16N3c1015Float8_e4m3fnuzELi64ELi2ELi16ELi16ELi2ELi2EEviiiiiiPKT0_S5_PKT_PS6_PKfSB_ii: ; @_Z17wvSplitKQ_hf_sml_I14__hip_bfloat16N3c1015Float8_e4m3fnuzELi64ELi2ELi16ELi16ELi2ELi2EEviiiiiiPKT0_S5_PKT_PS6_PKfSB_ii
; %bb.0:
	s_load_dwordx4 s[8:11], s[0:1], 0x0
	s_load_dwordx2 s[12:13], s[0:1], 0x10
	s_load_dwordx4 s[4:7], s[0:1], 0x38
	s_load_dwordx2 s[14:15], s[0:1], 0x28
	v_and_b32_e32 v2, 0x3ff, v0
	v_bfe_u32 v3, v0, 10, 10
	v_lshlrev_b32_e32 v48, 4, v2
	s_waitcnt lgkmcnt(0)
	s_lshl_b32 s3, s9, 1
	v_lshl_add_u32 v4, v3, 10, v48
	s_min_u32 s3, s3, 0x10000
	v_cmp_gt_u32_e32 vcc, s3, v4
	s_and_saveexec_b64 s[16:17], vcc
	s_cbranch_execz .LBB392_3
; %bb.1:
	s_load_dwordx2 s[18:19], s[0:1], 0x20
	v_mov_b32_e32 v1, 0
	v_lshlrev_b32_e32 v0, 10, v3
	v_mov_b32_e32 v49, v1
	v_lshl_add_u64 v[0:1], v[0:1], 0, v[48:49]
	s_waitcnt lgkmcnt(0)
	v_lshl_add_u64 v[0:1], s[18:19], 0, v[0:1]
	s_mov_b64 s[18:19], 0
	s_mov_b64 s[20:21], 0x4000
.LBB392_2:                              ; =>This Inner Loop Header: Depth=1
	global_load_dwordx4 v[6:9], v[0:1], off
	v_lshl_add_u64 v[0:1], v[0:1], 0, s[20:21]
	s_waitcnt vmcnt(0)
	ds_write_b128 v4, v[6:9]
	v_add_u32_e32 v4, 0x4000, v4
	v_cmp_le_u32_e32 vcc, s3, v4
	s_or_b64 s[18:19], vcc, s[18:19]
	s_andn2_b64 exec, exec, s[18:19]
	s_cbranch_execnz .LBB392_2
.LBB392_3:
	s_or_b64 exec, exec, s[16:17]
	s_load_dwordx2 s[20:21], s[0:1], 0x48
	;;#ASMSTART
	s_waitcnt vmcnt(0)
	;;#ASMEND
	s_waitcnt lgkmcnt(0)
	s_barrier
	v_cmp_gt_u32_e32 vcc, s20, v3
	s_and_saveexec_b64 s[16:17], vcc
	s_cbranch_execz .LBB392_37
; %bb.4:
	s_mul_i32 s2, s2, s20
	v_add_lshl_u32 v50, s2, v3, 1
	v_cmp_gt_u32_e32 vcc, s11, v50
	s_and_b64 exec, exec, vcc
	s_cbranch_execz .LBB392_37
; %bb.5:
	v_mbcnt_lo_u32_b32 v0, -1, 0
	v_mbcnt_hi_u32_b32 v0, -1, v0
	v_and_b32_e32 v1, 63, v0
	v_cmp_lt_u32_e32 vcc, 43, v1
	s_cmp_lg_u32 s8, 0
	s_cselect_b64 s[2:3], -1, 0
	v_cndmask_b32_e64 v3, 20, 0, vcc
	v_add_lshl_u32 v49, v3, v0, 2
	v_cvt_f32_u32_e32 v3, s12
	v_cmp_lt_u32_e32 vcc, 23, v1
	s_add_i32 s30, s8, -16
	s_add_i32 s31, s11, -1
	v_cndmask_b32_e64 v1, 40, 0, vcc
	v_add_lshl_u32 v58, v1, v0, 2
	v_rcp_iflag_f32_e32 v0, v3
	s_load_dword s28, s[4:5], 0x0
	s_load_dword s29, s[6:7], 0x0
	s_load_dwordx2 s[16:17], s[0:1], 0x18
	s_load_dwordx2 s[18:19], s[0:1], 0x30
	s_mul_i32 s4, s20, s21
	s_cmp_lg_u64 s[14:15], 0
	v_mul_f32_e32 v0, 0x4f7ffffe, v0
	v_cvt_u32_f32_e32 v0, v0
	s_cselect_b64 s[20:21], -1, 0
	s_lshl_b32 s33, s4, 1
	s_sub_i32 s4, 0, s12
	v_mul_lo_u32 v1, s4, v0
	s_abs_i32 s4, s13
	s_sub_i32 s5, 1, s4
	s_cmp_lt_u32 s4, 2
	s_cselect_b32 s5, s5, 1
	s_sub_i32 s13, s5, s4
	v_mul_hi_u32 v1, v0, v1
	s_cmp_ge_u32 s5, s4
	v_add_u32_e32 v59, v0, v1
	s_cselect_b32 s13, s13, s5
	v_cndmask_b32_e64 v0, 0, 1, s[2:3]
	v_cmp_eq_u32_e64 s[0:1], 0, v2
	s_mov_b64 s[6:7], 0
	v_mov_b32_e32 v53, 0
	s_mul_i32 s13, s13, s12
	v_add_u32_e32 v60, s9, v48
	v_cmp_ne_u32_e64 s[2:3], 1, v0
	s_mov_b32 s9, 0x7f800000
	s_movk_i32 s34, 0x7fff
	s_branch .LBB392_8
.LBB392_6:                              ;   in Loop: Header=BB392_8 Depth=1
	s_or_b64 exec, exec, s[4:5]
	v_add_u32_e32 v52, s11, v61
	v_lshl_add_u64 v[2:3], v[52:53], 1, s[18:19]
	global_store_short_d16_hi v[2:3], v0, off
.LBB392_7:                              ;   in Loop: Header=BB392_8 Depth=1
	s_or_b64 exec, exec, s[22:23]
	v_add_u32_e32 v50, s33, v50
	v_cmp_le_u32_e32 vcc, s11, v50
	s_or_b64 s[6:7], vcc, s[6:7]
	s_andn2_b64 exec, exec, s[6:7]
	s_cbranch_execz .LBB392_37
.LBB392_8:                              ; =>This Loop Header: Depth=1
                                        ;     Child Loop BB392_12 Depth 2
	s_and_b64 vcc, exec, s[2:3]
	v_or_b32_e32 v61, 1, v50
	v_mov_b32_e32 v15, v53
	v_mov_b32_e32 v14, v53
	;; [unrolled: 1-line block ×5, first 2 shown]
	s_waitcnt lgkmcnt(0)
	v_mov_b32_e32 v10, v53
	v_mov_b32_e32 v9, v53
	;; [unrolled: 1-line block ×4, first 2 shown]
	s_waitcnt vmcnt(2)
	v_mov_b32_e32 v6, v53
	v_mov_b32_e32 v5, v53
	;; [unrolled: 1-line block ×7, first 2 shown]
	s_cbranch_vccnz .LBB392_15
; %bb.9:                                ;   in Loop: Header=BB392_8 Depth=1
	v_min_u32_e32 v0, s31, v50
	v_mul_lo_u32 v54, v0, s10
	v_min_u32_e32 v0, s31, v61
	v_mul_lo_u32 v56, v0, s10
	v_mov_b32_e32 v0, 0
	v_mov_b32_e32 v55, v53
	;; [unrolled: 1-line block ×3, first 2 shown]
	s_mov_b32 s24, 0
	v_mov_b32_e32 v1, v0
	v_mov_b32_e32 v2, v0
	;; [unrolled: 1-line block ×15, first 2 shown]
	s_branch .LBB392_12
.LBB392_10:                             ;   in Loop: Header=BB392_12 Depth=2
	s_or_b64 exec, exec, s[22:23]
.LBB392_11:                             ;   in Loop: Header=BB392_12 Depth=2
	s_or_b64 exec, exec, s[4:5]
	s_waitcnt vmcnt(3) lgkmcnt(1)
	v_mfma_f32_16x16x32_fp8_fp8 v[12:15], v[40:41], v[28:29], v[12:15]
	s_addk_i32 s24, 0x800
	s_cmp_ge_u32 s24, s8
	s_waitcnt vmcnt(2)
	v_mfma_f32_16x16x32_fp8_fp8 v[8:11], v[40:41], v[32:33], v[8:11]
	s_waitcnt lgkmcnt(0)
	v_mfma_f32_16x16x32_fp8_fp8 v[4:7], v[44:45], v[28:29], v[4:7]
	v_mfma_f32_16x16x32_fp8_fp8 v[0:3], v[44:45], v[32:33], v[0:3]
	;; [unrolled: 1-line block ×6, first 2 shown]
	s_waitcnt vmcnt(1)
	v_mfma_f32_16x16x32_fp8_fp8 v[12:15], v[36:37], v[20:21], v[12:15]
	s_waitcnt vmcnt(0)
	v_mfma_f32_16x16x32_fp8_fp8 v[8:11], v[36:37], v[16:17], v[8:11]
	v_mfma_f32_16x16x32_fp8_fp8 v[4:7], v[24:25], v[20:21], v[4:7]
	;; [unrolled: 1-line block ×7, first 2 shown]
	s_cbranch_scc1 .LBB392_15
.LBB392_12:                             ;   Parent Loop BB392_8 Depth=1
                                        ; =>  This Inner Loop Header: Depth=2
	v_add_u32_e32 v51, s24, v48
	v_min_u32_e32 v52, s30, v51
	s_waitcnt lgkmcnt(0)
	v_lshl_add_u64 v[16:17], s[16:17], 0, v[52:53]
	v_add_u32_e32 v62, 0x400, v51
	v_lshl_add_u64 v[18:19], v[16:17], 0, v[54:55]
	v_lshl_add_u64 v[16:17], v[16:17], 0, v[56:57]
	v_min_u32_e32 v52, s30, v62
	global_load_dwordx4 v[28:31], v[18:19], off nt
	global_load_dwordx4 v[32:35], v[16:17], off nt
	v_lshl_add_u64 v[16:17], s[16:17], 0, v[52:53]
	v_lshl_add_u64 v[24:25], v[16:17], 0, v[54:55]
	;; [unrolled: 1-line block ×3, first 2 shown]
	global_load_dwordx4 v[20:23], v[24:25], off nt
	global_load_dwordx4 v[16:19], v[26:27], off nt
	v_mov_b64_e32 v[40:41], 0
	v_cmp_gt_u32_e32 vcc, s8, v51
	v_mov_b64_e32 v[42:43], v[40:41]
	v_mov_b64_e32 v[36:37], v[40:41]
	;; [unrolled: 1-line block ×7, first 2 shown]
	s_and_saveexec_b64 s[4:5], vcc
	s_cbranch_execz .LBB392_11
; %bb.13:                               ;   in Loop: Header=BB392_12 Depth=2
	v_add_u32_e32 v52, s24, v60
	ds_read_b128 v[40:43], v51
	ds_read_b128 v[44:47], v52
	v_mov_b64_e32 v[26:27], 0
	v_cmp_gt_u32_e32 vcc, s8, v62
	v_mov_b64_e32 v[24:25], v[26:27]
	v_mov_b64_e32 v[38:39], v[26:27]
	;; [unrolled: 1-line block ×3, first 2 shown]
	s_and_saveexec_b64 s[22:23], vcc
	s_cbranch_execz .LBB392_10
; %bb.14:                               ;   in Loop: Header=BB392_12 Depth=2
	ds_read_b128 v[36:39], v51 offset:1024
	ds_read_b128 v[24:27], v52 offset:1024
	s_branch .LBB392_10
.LBB392_15:                             ;   in Loop: Header=BB392_8 Depth=1
	s_nop 2
	v_cvt_i32_f32_e32 v13, v13
	v_cvt_i32_f32_e32 v14, v14
	;; [unrolled: 1-line block ×4, first 2 shown]
	v_cvt_f32_i32_dpp v13, v13 row_shl:1 row_mask:0xf bank_mask:0xf bound_ctrl:1
	v_cvt_i32_f32_e32 v1, v1
	v_cvt_f32_i32_dpp v14, v14 row_shl:2 row_mask:0xf bank_mask:0xf bound_ctrl:1
	v_cvt_i32_f32_e32 v10, v10
	v_cvt_i32_f32_e32 v6, v6
	;; [unrolled: 1-line block ×5, first 2 shown]
	v_cvt_f32_i32_dpp v5, v5 row_shl:1 row_mask:0xf bank_mask:0xf bound_ctrl:1
	v_cvt_i32_f32_e32 v7, v7
	v_cvt_i32_f32_e32 v3, v3
	v_cvt_f32_i32_dpp v9, v9 row_shl:1 row_mask:0xf bank_mask:0xf bound_ctrl:1
	v_add_f32_e32 v12, v12, v13
	v_cvt_f32_i32_dpp v1, v1 row_shl:1 row_mask:0xf bank_mask:0xf bound_ctrl:1
	v_add_f32_e32 v12, v12, v14
	v_cvt_f32_i32_dpp v14, v10 row_shl:2 row_mask:0xf bank_mask:0xf bound_ctrl:1
	v_cvt_f32_i32_dpp v6, v6 row_shl:2 row_mask:0xf bank_mask:0xf bound_ctrl:1
	;; [unrolled: 1-line block ×5, first 2 shown]
	v_add_f32_e32 v4, v4, v5
	v_cvt_f32_i32_dpp v5, v7 row_shl:3 row_mask:0xf bank_mask:0xf bound_ctrl:1
	v_cvt_f32_i32_dpp v3, v3 row_shl:3 row_mask:0xf bank_mask:0xf bound_ctrl:1
	v_add_f32_e32 v8, v8, v9
	v_add_f32_e32 v0, v0, v1
	;; [unrolled: 1-line block ×9, first 2 shown]
	ds_bpermute_b32 v13, v49, v12
	ds_bpermute_b32 v11, v49, v8
	;; [unrolled: 1-line block ×4, first 2 shown]
	s_waitcnt lgkmcnt(0)
	v_add_f32_e32 v9, v12, v13
	v_add_f32_e32 v7, v8, v11
	;; [unrolled: 1-line block ×4, first 2 shown]
	ds_bpermute_b32 v10, v58, v9
	ds_bpermute_b32 v8, v58, v7
	;; [unrolled: 1-line block ×4, first 2 shown]
	s_and_saveexec_b64 s[22:23], s[0:1]
	s_cbranch_execz .LBB392_7
; %bb.16:                               ;   in Loop: Header=BB392_8 Depth=1
	s_andn2_b64 vcc, exec, s[20:21]
	v_mov_b32_e32 v6, 0
	v_mov_b32_e32 v11, 0
	;; [unrolled: 1-line block ×4, first 2 shown]
	s_cbranch_vccnz .LBB392_18
; %bb.17:                               ;   in Loop: Header=BB392_8 Depth=1
	v_mul_hi_u32 v0, v50, v59
	v_mul_lo_u32 v0, v0, s12
	v_sub_u32_e32 v0, v50, v0
	v_subrev_u32_e32 v1, s12, v0
	v_cmp_le_u32_e32 vcc, s12, v0
	s_nop 1
	v_cndmask_b32_e32 v0, v0, v1, vcc
	v_subrev_u32_e32 v1, s12, v0
	v_cmp_le_u32_e32 vcc, s12, v0
	s_nop 1
	v_cndmask_b32_e32 v52, v0, v1, vcc
	v_mul_hi_u32 v0, v61, v59
	v_mul_lo_u32 v0, v0, s12
	v_sub_u32_e32 v0, v61, v0
	v_subrev_u32_e32 v1, s12, v0
	v_cmp_le_u32_e32 vcc, s12, v0
	v_lshl_add_u64 v[14:15], v[52:53], 1, s[14:15]
	v_add_u32_e32 v52, s13, v52
	v_cndmask_b32_e32 v0, v0, v1, vcc
	v_subrev_u32_e32 v1, s12, v0
	v_cmp_le_u32_e32 vcc, s12, v0
	v_lshl_add_u64 v[18:19], v[52:53], 1, s[14:15]
	s_nop 0
	v_cndmask_b32_e32 v0, v0, v1, vcc
	v_mov_b32_e32 v1, v53
	v_add_u32_e32 v52, s13, v0
	v_lshl_add_u64 v[16:17], v[0:1], 1, s[14:15]
	v_lshl_add_u64 v[20:21], v[52:53], 1, s[14:15]
	global_load_ushort v0, v[14:15], off
	global_load_ushort v12, v[16:17], off
	;; [unrolled: 1-line block ×4, first 2 shown]
.LBB392_18:                             ;   in Loop: Header=BB392_8 Depth=1
	s_waitcnt lgkmcnt(3)
	v_add_f32_e32 v1, v9, v10
	v_mul_f32_e32 v1, s28, v1
	s_waitcnt vmcnt(3)
	v_lshlrev_b32_e32 v0, 16, v0
	v_fmac_f32_e32 v0, s29, v1
	v_and_b32_e32 v1, 0x7f800000, v0
	v_cmp_ne_u32_e32 vcc, s9, v1
                                        ; implicit-def: $vgpr9
	s_and_saveexec_b64 s[4:5], vcc
	s_xor_b64 s[4:5], exec, s[4:5]
; %bb.19:                               ;   in Loop: Header=BB392_8 Depth=1
	v_bfe_u32 v1, v0, 16, 1
	v_add3_u32 v9, v0, v1, s34
                                        ; implicit-def: $vgpr0
; %bb.20:                               ;   in Loop: Header=BB392_8 Depth=1
	s_andn2_saveexec_b64 s[4:5], s[4:5]
; %bb.21:                               ;   in Loop: Header=BB392_8 Depth=1
	v_or_b32_e32 v1, 0x10000, v0
	v_cmp_eq_u32_sdwa vcc, v0, v53 src0_sel:WORD_0 src1_sel:DWORD
	s_nop 1
	v_cndmask_b32_e32 v9, v1, v0, vcc
; %bb.22:                               ;   in Loop: Header=BB392_8 Depth=1
	s_or_b64 exec, exec, s[4:5]
	v_mov_b32_e32 v51, v53
	v_lshl_add_u64 v[0:1], v[50:51], 1, s[18:19]
	v_cmp_gt_u32_e32 vcc, s11, v61
	global_store_short_d16_hi v[0:1], v9, off
	s_and_saveexec_b64 s[24:25], vcc
	s_cbranch_execz .LBB392_28
; %bb.23:                               ;   in Loop: Header=BB392_8 Depth=1
	s_waitcnt lgkmcnt(2)
	v_add_f32_e32 v7, v7, v8
	v_mul_f32_e32 v8, s28, v7
	s_waitcnt vmcnt(3)
	v_lshlrev_b32_e32 v7, 16, v12
	v_fmac_f32_e32 v7, s29, v8
	v_and_b32_e32 v8, 0x7f800000, v7
	v_cmp_ne_u32_e64 s[4:5], s9, v8
                                        ; implicit-def: $vgpr8
	s_and_saveexec_b64 s[26:27], s[4:5]
	s_xor_b64 s[4:5], exec, s[26:27]
; %bb.24:                               ;   in Loop: Header=BB392_8 Depth=1
	v_bfe_u32 v8, v7, 16, 1
	v_add3_u32 v8, v7, v8, s34
                                        ; implicit-def: $vgpr7
; %bb.25:                               ;   in Loop: Header=BB392_8 Depth=1
	s_andn2_saveexec_b64 s[26:27], s[4:5]
; %bb.26:                               ;   in Loop: Header=BB392_8 Depth=1
	v_or_b32_e32 v8, 0x10000, v7
	v_cmp_eq_u32_sdwa s[4:5], v7, v53 src0_sel:WORD_0 src1_sel:DWORD
	s_nop 1
	v_cndmask_b32_e64 v8, v8, v7, s[4:5]
; %bb.27:                               ;   in Loop: Header=BB392_8 Depth=1
	s_or_b64 exec, exec, s[26:27]
	global_store_short_d16_hi v[0:1], v8, off offset:2
.LBB392_28:                             ;   in Loop: Header=BB392_8 Depth=1
	s_or_b64 exec, exec, s[24:25]
	s_waitcnt lgkmcnt(1)
	v_add_f32_e32 v0, v4, v5
	v_mul_f32_e32 v1, s28, v0
	s_waitcnt vmcnt(2)
	v_lshlrev_b32_e32 v0, 16, v11
	v_fmac_f32_e32 v0, s29, v1
	v_and_b32_e32 v1, 0x7f800000, v0
	v_cmp_ne_u32_e64 s[4:5], s9, v1
                                        ; implicit-def: $vgpr1
	s_and_saveexec_b64 s[24:25], s[4:5]
	s_xor_b64 s[4:5], exec, s[24:25]
; %bb.29:                               ;   in Loop: Header=BB392_8 Depth=1
	v_bfe_u32 v1, v0, 16, 1
	v_add3_u32 v1, v0, v1, s34
                                        ; implicit-def: $vgpr0
; %bb.30:                               ;   in Loop: Header=BB392_8 Depth=1
	s_andn2_saveexec_b64 s[24:25], s[4:5]
; %bb.31:                               ;   in Loop: Header=BB392_8 Depth=1
	v_or_b32_e32 v1, 0x10000, v0
	v_cmp_eq_u32_sdwa s[4:5], v0, v53 src0_sel:WORD_0 src1_sel:DWORD
	s_nop 1
	v_cndmask_b32_e64 v1, v1, v0, s[4:5]
; %bb.32:                               ;   in Loop: Header=BB392_8 Depth=1
	s_or_b64 exec, exec, s[24:25]
	v_add_u32_e32 v52, s11, v50
	v_lshl_add_u64 v[4:5], v[52:53], 1, s[18:19]
	global_store_short_d16_hi v[4:5], v1, off
	s_and_b64 exec, exec, vcc
	s_cbranch_execz .LBB392_7
; %bb.33:                               ;   in Loop: Header=BB392_8 Depth=1
	s_waitcnt lgkmcnt(0)
	v_add_f32_e32 v0, v2, v3
	v_mul_f32_e32 v0, s28, v0
	s_waitcnt vmcnt(2)
	v_lshlrev_b32_e32 v1, 16, v6
	v_fmac_f32_e32 v1, s29, v0
	v_and_b32_e32 v0, 0x7f800000, v1
	v_cmp_ne_u32_e32 vcc, s9, v0
                                        ; implicit-def: $vgpr0
	s_and_saveexec_b64 s[4:5], vcc
	s_xor_b64 s[4:5], exec, s[4:5]
; %bb.34:                               ;   in Loop: Header=BB392_8 Depth=1
	v_bfe_u32 v0, v1, 16, 1
	v_add3_u32 v0, v1, v0, s34
                                        ; implicit-def: $vgpr1
; %bb.35:                               ;   in Loop: Header=BB392_8 Depth=1
	s_andn2_saveexec_b64 s[4:5], s[4:5]
	s_cbranch_execz .LBB392_6
; %bb.36:                               ;   in Loop: Header=BB392_8 Depth=1
	v_or_b32_e32 v0, 0x10000, v1
	v_cmp_eq_u32_sdwa vcc, v1, v53 src0_sel:WORD_0 src1_sel:DWORD
	s_nop 1
	v_cndmask_b32_e32 v0, v0, v1, vcc
	s_branch .LBB392_6
.LBB392_37:
	s_endpgm
	.section	.rodata,"a",@progbits
	.p2align	6, 0x0
	.amdhsa_kernel _Z17wvSplitKQ_hf_sml_I14__hip_bfloat16N3c1015Float8_e4m3fnuzELi64ELi2ELi16ELi16ELi2ELi2EEviiiiiiPKT0_S5_PKT_PS6_PKfSB_ii
		.amdhsa_group_segment_fixed_size 65536
		.amdhsa_private_segment_fixed_size 0
		.amdhsa_kernarg_size 80
		.amdhsa_user_sgpr_count 2
		.amdhsa_user_sgpr_dispatch_ptr 0
		.amdhsa_user_sgpr_queue_ptr 0
		.amdhsa_user_sgpr_kernarg_segment_ptr 1
		.amdhsa_user_sgpr_dispatch_id 0
		.amdhsa_user_sgpr_kernarg_preload_length 0
		.amdhsa_user_sgpr_kernarg_preload_offset 0
		.amdhsa_user_sgpr_private_segment_size 0
		.amdhsa_uses_dynamic_stack 0
		.amdhsa_enable_private_segment 0
		.amdhsa_system_sgpr_workgroup_id_x 1
		.amdhsa_system_sgpr_workgroup_id_y 0
		.amdhsa_system_sgpr_workgroup_id_z 0
		.amdhsa_system_sgpr_workgroup_info 0
		.amdhsa_system_vgpr_workitem_id 1
		.amdhsa_next_free_vgpr 63
		.amdhsa_next_free_sgpr 35
		.amdhsa_accum_offset 64
		.amdhsa_reserve_vcc 1
		.amdhsa_float_round_mode_32 0
		.amdhsa_float_round_mode_16_64 0
		.amdhsa_float_denorm_mode_32 3
		.amdhsa_float_denorm_mode_16_64 3
		.amdhsa_dx10_clamp 1
		.amdhsa_ieee_mode 1
		.amdhsa_fp16_overflow 0
		.amdhsa_tg_split 0
		.amdhsa_exception_fp_ieee_invalid_op 0
		.amdhsa_exception_fp_denorm_src 0
		.amdhsa_exception_fp_ieee_div_zero 0
		.amdhsa_exception_fp_ieee_overflow 0
		.amdhsa_exception_fp_ieee_underflow 0
		.amdhsa_exception_fp_ieee_inexact 0
		.amdhsa_exception_int_div_zero 0
	.end_amdhsa_kernel
	.section	.text._Z17wvSplitKQ_hf_sml_I14__hip_bfloat16N3c1015Float8_e4m3fnuzELi64ELi2ELi16ELi16ELi2ELi2EEviiiiiiPKT0_S5_PKT_PS6_PKfSB_ii,"axG",@progbits,_Z17wvSplitKQ_hf_sml_I14__hip_bfloat16N3c1015Float8_e4m3fnuzELi64ELi2ELi16ELi16ELi2ELi2EEviiiiiiPKT0_S5_PKT_PS6_PKfSB_ii,comdat
.Lfunc_end392:
	.size	_Z17wvSplitKQ_hf_sml_I14__hip_bfloat16N3c1015Float8_e4m3fnuzELi64ELi2ELi16ELi16ELi2ELi2EEviiiiiiPKT0_S5_PKT_PS6_PKfSB_ii, .Lfunc_end392-_Z17wvSplitKQ_hf_sml_I14__hip_bfloat16N3c1015Float8_e4m3fnuzELi64ELi2ELi16ELi16ELi2ELi2EEviiiiiiPKT0_S5_PKT_PS6_PKfSB_ii
                                        ; -- End function
	.section	.AMDGPU.csdata,"",@progbits
; Kernel info:
; codeLenInByte = 2080
; NumSgprs: 41
; NumVgprs: 63
; NumAgprs: 0
; TotalNumVgprs: 63
; ScratchSize: 0
; MemoryBound: 0
; FloatMode: 240
; IeeeMode: 1
; LDSByteSize: 65536 bytes/workgroup (compile time only)
; SGPRBlocks: 5
; VGPRBlocks: 7
; NumSGPRsForWavesPerEU: 41
; NumVGPRsForWavesPerEU: 63
; AccumOffset: 64
; Occupancy: 4
; WaveLimiterHint : 0
; COMPUTE_PGM_RSRC2:SCRATCH_EN: 0
; COMPUTE_PGM_RSRC2:USER_SGPR: 2
; COMPUTE_PGM_RSRC2:TRAP_HANDLER: 0
; COMPUTE_PGM_RSRC2:TGID_X_EN: 1
; COMPUTE_PGM_RSRC2:TGID_Y_EN: 0
; COMPUTE_PGM_RSRC2:TGID_Z_EN: 0
; COMPUTE_PGM_RSRC2:TIDIG_COMP_CNT: 1
; COMPUTE_PGM_RSRC3_GFX90A:ACCUM_OFFSET: 15
; COMPUTE_PGM_RSRC3_GFX90A:TG_SPLIT: 0
	.section	.text._Z13wvSplitKQ_hf_I14__hip_bfloat16N3c1015Float8_e4m3fnuzELi64ELi2ELi16ELi16ELi2ELi2EEviiiiiiPKT0_S5_PKT_PS6_PKfSB_ii,"axG",@progbits,_Z13wvSplitKQ_hf_I14__hip_bfloat16N3c1015Float8_e4m3fnuzELi64ELi2ELi16ELi16ELi2ELi2EEviiiiiiPKT0_S5_PKT_PS6_PKfSB_ii,comdat
	.protected	_Z13wvSplitKQ_hf_I14__hip_bfloat16N3c1015Float8_e4m3fnuzELi64ELi2ELi16ELi16ELi2ELi2EEviiiiiiPKT0_S5_PKT_PS6_PKfSB_ii ; -- Begin function _Z13wvSplitKQ_hf_I14__hip_bfloat16N3c1015Float8_e4m3fnuzELi64ELi2ELi16ELi16ELi2ELi2EEviiiiiiPKT0_S5_PKT_PS6_PKfSB_ii
	.globl	_Z13wvSplitKQ_hf_I14__hip_bfloat16N3c1015Float8_e4m3fnuzELi64ELi2ELi16ELi16ELi2ELi2EEviiiiiiPKT0_S5_PKT_PS6_PKfSB_ii
	.p2align	8
	.type	_Z13wvSplitKQ_hf_I14__hip_bfloat16N3c1015Float8_e4m3fnuzELi64ELi2ELi16ELi16ELi2ELi2EEviiiiiiPKT0_S5_PKT_PS6_PKfSB_ii,@function
_Z13wvSplitKQ_hf_I14__hip_bfloat16N3c1015Float8_e4m3fnuzELi64ELi2ELi16ELi16ELi2ELi2EEviiiiiiPKT0_S5_PKT_PS6_PKfSB_ii: ; @_Z13wvSplitKQ_hf_I14__hip_bfloat16N3c1015Float8_e4m3fnuzELi64ELi2ELi16ELi16ELi2ELi2EEviiiiiiPKT0_S5_PKT_PS6_PKfSB_ii
; %bb.0:
	s_load_dwordx4 s[8:11], s[0:1], 0x0
	s_load_dwordx2 s[16:17], s[0:1], 0x10
	s_load_dwordx4 s[4:7], s[0:1], 0x38
	s_load_dwordx4 s[12:15], s[0:1], 0x20
	v_and_b32_e32 v2, 0x3ff, v0
	v_bfe_u32 v3, v0, 10, 10
	v_lshlrev_b32_e32 v48, 4, v2
	s_waitcnt lgkmcnt(0)
	s_lshl_b32 s3, s9, 1
	v_lshl_add_u32 v4, v3, 10, v48
	s_min_u32 s3, s3, 0x10000
	v_cmp_gt_u32_e32 vcc, s3, v4
	s_and_saveexec_b64 s[18:19], vcc
	s_cbranch_execz .LBB393_3
; %bb.1:
	v_mov_b32_e32 v1, 0
	v_lshlrev_b32_e32 v0, 10, v3
	v_mov_b32_e32 v49, v1
	v_lshl_add_u64 v[0:1], v[0:1], 0, v[48:49]
	v_lshl_add_u64 v[0:1], s[12:13], 0, v[0:1]
	s_mov_b64 s[20:21], 0
	s_mov_b64 s[22:23], 0x4000
.LBB393_2:                              ; =>This Inner Loop Header: Depth=1
	global_load_dwordx4 v[6:9], v[0:1], off
	v_lshl_add_u64 v[0:1], v[0:1], 0, s[22:23]
	s_waitcnt vmcnt(0)
	ds_write_b128 v4, v[6:9]
	v_add_u32_e32 v4, 0x4000, v4
	v_cmp_le_u32_e32 vcc, s3, v4
	s_or_b64 s[20:21], vcc, s[20:21]
	s_andn2_b64 exec, exec, s[20:21]
	s_cbranch_execnz .LBB393_2
.LBB393_3:
	s_or_b64 exec, exec, s[18:19]
	s_load_dwordx2 s[22:23], s[0:1], 0x48
	;;#ASMSTART
	s_waitcnt vmcnt(0)
	;;#ASMEND
	s_waitcnt lgkmcnt(0)
	s_barrier
	v_cmp_gt_u32_e32 vcc, s22, v3
	s_and_saveexec_b64 s[18:19], vcc
	s_cbranch_execz .LBB393_53
; %bb.4:
	s_mul_i32 s2, s2, s22
	v_add_lshl_u32 v50, s2, v3, 1
	v_cmp_gt_u32_e32 vcc, s11, v50
	s_and_b64 exec, exec, vcc
	s_cbranch_execz .LBB393_53
; %bb.5:
	v_mbcnt_lo_u32_b32 v0, -1, 0
	v_mbcnt_hi_u32_b32 v0, -1, v0
	v_and_b32_e32 v1, 63, v0
	v_cmp_lt_u32_e32 vcc, 43, v1
	s_cmp_lg_u32 s8, 0
	s_cselect_b64 s[2:3], -1, 0
	v_cndmask_b32_e64 v3, 20, 0, vcc
	v_add_lshl_u32 v49, v3, v0, 2
	v_cvt_f32_u32_e32 v3, s16
	v_cmp_lt_u32_e32 vcc, 23, v1
	s_add_i32 s33, s8, -16
	s_add_i32 s34, s11, -1
	v_cndmask_b32_e64 v1, 40, 0, vcc
	v_add_lshl_u32 v58, v1, v0, 2
	v_rcp_iflag_f32_e32 v0, v3
	s_load_dword s30, s[4:5], 0x0
	s_load_dword s31, s[6:7], 0x0
	s_load_dwordx2 s[18:19], s[0:1], 0x18
	s_load_dwordx2 s[20:21], s[0:1], 0x30
	s_mul_i32 s4, s22, s23
	s_cmp_lg_u64 s[14:15], 0
	v_mul_f32_e32 v0, 0x4f7ffffe, v0
	v_cvt_u32_f32_e32 v0, v0
	s_cselect_b64 s[22:23], -1, 0
	s_lshl_b32 s35, s4, 1
	s_sub_i32 s4, 0, s16
	v_mul_lo_u32 v1, s4, v0
	s_abs_i32 s4, s17
	s_sub_i32 s5, 1, s4
	s_cmp_lt_u32 s4, 2
	s_cselect_b32 s5, s5, 1
	s_sub_i32 s17, s5, s4
	v_mul_hi_u32 v1, v0, v1
	s_cmp_ge_u32 s5, s4
	v_add_u32_e32 v59, v0, v1
	s_cselect_b32 s17, s17, s5
	v_cndmask_b32_e64 v0, 0, 1, s[2:3]
	v_cmp_eq_u32_e64 s[0:1], 0, v2
	s_mov_b64 s[6:7], 0
	v_mov_b32_e32 v53, 0
	s_mul_i32 s17, s17, s16
	v_cmp_ne_u32_e64 s[2:3], 1, v0
	s_mov_b32 s36, 0xffff
	s_mov_b32 s37, 0x7f800000
	s_movk_i32 s38, 0x7fff
	s_branch .LBB393_8
.LBB393_6:                              ;   in Loop: Header=BB393_8 Depth=1
	s_or_b64 exec, exec, s[4:5]
	v_add_u32_e32 v52, s11, v60
	v_lshl_add_u64 v[2:3], v[52:53], 1, s[20:21]
	global_store_short_d16_hi v[2:3], v0, off
.LBB393_7:                              ;   in Loop: Header=BB393_8 Depth=1
	s_or_b64 exec, exec, s[24:25]
	v_add_u32_e32 v50, s35, v50
	v_cmp_le_u32_e32 vcc, s11, v50
	s_or_b64 s[6:7], vcc, s[6:7]
	s_andn2_b64 exec, exec, s[6:7]
	s_cbranch_execz .LBB393_53
.LBB393_8:                              ; =>This Loop Header: Depth=1
                                        ;     Child Loop BB393_13 Depth 2
	s_and_b64 vcc, exec, s[2:3]
	v_or_b32_e32 v60, 1, v50
	v_mov_b32_e32 v15, v53
	v_mov_b32_e32 v14, v53
	;; [unrolled: 1-line block ×5, first 2 shown]
	s_waitcnt lgkmcnt(0)
	v_mov_b32_e32 v10, v53
	v_mov_b32_e32 v9, v53
	;; [unrolled: 1-line block ×4, first 2 shown]
	s_waitcnt vmcnt(2)
	v_mov_b32_e32 v6, v53
	v_mov_b32_e32 v5, v53
	;; [unrolled: 1-line block ×7, first 2 shown]
	s_cbranch_vccnz .LBB393_31
; %bb.9:                                ;   in Loop: Header=BB393_8 Depth=1
	v_min_u32_e32 v0, s34, v50
	v_mul_lo_u32 v54, v0, s10
	v_min_u32_e32 v0, s34, v60
	v_mul_lo_u32 v56, v0, s10
	v_mov_b32_e32 v0, 0
	v_mov_b32_e32 v55, v53
	;; [unrolled: 1-line block ×3, first 2 shown]
	s_mov_b32 s28, 0
	v_mov_b32_e32 v1, v0
	v_mov_b32_e32 v2, v0
	;; [unrolled: 1-line block ×15, first 2 shown]
	s_branch .LBB393_13
.LBB393_10:                             ;   in Loop: Header=BB393_13 Depth=2
	s_or_b64 exec, exec, s[26:27]
.LBB393_11:                             ;   in Loop: Header=BB393_13 Depth=2
	s_or_b64 exec, exec, s[24:25]
.LBB393_12:                             ;   in Loop: Header=BB393_13 Depth=2
	s_or_b64 exec, exec, s[4:5]
	s_waitcnt vmcnt(0) lgkmcnt(0)
	v_mfma_f32_16x16x32_fp8_fp8 v[12:15], v[32:33], v[24:25], v[12:15]
	s_addk_i32 s28, 0x800
	s_cmp_ge_u32 s28, s8
	v_mfma_f32_16x16x32_fp8_fp8 v[8:11], v[32:33], v[28:29], v[8:11]
	v_mfma_f32_16x16x32_fp8_fp8 v[4:7], v[36:37], v[24:25], v[4:7]
	;; [unrolled: 1-line block ×15, first 2 shown]
	s_cbranch_scc1 .LBB393_31
.LBB393_13:                             ;   Parent Loop BB393_8 Depth=1
                                        ; =>  This Inner Loop Header: Depth=2
	v_add_u32_e32 v61, s28, v48
	v_min_u32_e32 v52, s33, v61
	s_waitcnt lgkmcnt(0)
	v_lshl_add_u64 v[16:17], s[18:19], 0, v[52:53]
	v_add_u32_e32 v51, 0x400, v61
	v_lshl_add_u64 v[18:19], v[16:17], 0, v[54:55]
	v_lshl_add_u64 v[16:17], v[16:17], 0, v[56:57]
	v_min_u32_e32 v52, s33, v51
	global_load_dwordx4 v[24:27], v[18:19], off nt
	global_load_dwordx4 v[28:31], v[16:17], off nt
	v_lshl_add_u64 v[16:17], s[18:19], 0, v[52:53]
	v_lshl_add_u64 v[32:33], v[16:17], 0, v[54:55]
	;; [unrolled: 1-line block ×3, first 2 shown]
	global_load_dwordx4 v[20:23], v[32:33], off nt
	global_load_dwordx4 v[16:19], v[34:35], off nt
	v_mov_b64_e32 v[46:47], 0
	v_cmp_gt_u32_e32 vcc, s8, v61
	v_mov_b64_e32 v[44:45], v[46:47]
	v_mov_b64_e32 v[38:39], v[46:47]
	;; [unrolled: 1-line block ×7, first 2 shown]
	s_and_saveexec_b64 s[4:5], vcc
	s_cbranch_execz .LBB393_12
; %bb.14:                               ;   in Loop: Header=BB393_13 Depth=2
	v_cmp_lt_u32_e32 vcc, s36, v61
                                        ; implicit-def: $vgpr34_vgpr35
	s_and_saveexec_b64 s[24:25], vcc
	s_xor_b64 s[24:25], exec, s[24:25]
	s_cbranch_execz .LBB393_16
; %bb.15:                               ;   in Loop: Header=BB393_13 Depth=2
	global_load_dwordx4 v[32:35], v61, s[12:13]
.LBB393_16:                             ;   in Loop: Header=BB393_13 Depth=2
	s_andn2_saveexec_b64 s[24:25], s[24:25]
	s_cbranch_execz .LBB393_18
; %bb.17:                               ;   in Loop: Header=BB393_13 Depth=2
	s_waitcnt vmcnt(0)
	ds_read_b128 v[32:35], v61
.LBB393_18:                             ;   in Loop: Header=BB393_13 Depth=2
	s_or_b64 exec, exec, s[24:25]
	v_add_u32_e32 v52, s9, v61
	v_cmp_lt_u32_e32 vcc, s36, v52
                                        ; implicit-def: $vgpr38_vgpr39
	s_and_saveexec_b64 s[24:25], vcc
	s_xor_b64 s[24:25], exec, s[24:25]
	s_cbranch_execz .LBB393_20
; %bb.19:                               ;   in Loop: Header=BB393_13 Depth=2
	global_load_dwordx4 v[36:39], v52, s[12:13]
.LBB393_20:                             ;   in Loop: Header=BB393_13 Depth=2
	s_andn2_saveexec_b64 s[24:25], s[24:25]
	s_cbranch_execz .LBB393_22
; %bb.21:                               ;   in Loop: Header=BB393_13 Depth=2
	s_waitcnt vmcnt(0)
	ds_read_b128 v[36:39], v52
.LBB393_22:                             ;   in Loop: Header=BB393_13 Depth=2
	s_or_b64 exec, exec, s[24:25]
	v_mov_b64_e32 v[46:47], 0
	v_cmp_gt_u32_e32 vcc, s8, v51
	v_mov_b64_e32 v[44:45], v[46:47]
	v_mov_b64_e32 v[42:43], v[46:47]
	;; [unrolled: 1-line block ×3, first 2 shown]
	s_and_saveexec_b64 s[24:25], vcc
	s_cbranch_execz .LBB393_11
; %bb.23:                               ;   in Loop: Header=BB393_13 Depth=2
	v_cmp_lt_u32_e32 vcc, s36, v51
                                        ; implicit-def: $vgpr42_vgpr43
	s_and_saveexec_b64 s[26:27], vcc
	s_xor_b64 s[26:27], exec, s[26:27]
	s_cbranch_execz .LBB393_25
; %bb.24:                               ;   in Loop: Header=BB393_13 Depth=2
	global_load_dwordx4 v[40:43], v51, s[12:13]
                                        ; implicit-def: $vgpr61
.LBB393_25:                             ;   in Loop: Header=BB393_13 Depth=2
	s_andn2_saveexec_b64 s[26:27], s[26:27]
	s_cbranch_execz .LBB393_27
; %bb.26:                               ;   in Loop: Header=BB393_13 Depth=2
	s_waitcnt vmcnt(0)
	ds_read_b128 v[40:43], v61 offset:1024
.LBB393_27:                             ;   in Loop: Header=BB393_13 Depth=2
	s_or_b64 exec, exec, s[26:27]
	v_add_u32_e32 v44, s9, v51
	v_cmp_lt_u32_e32 vcc, s36, v44
                                        ; implicit-def: $vgpr46_vgpr47
	s_and_saveexec_b64 s[26:27], vcc
	s_xor_b64 s[26:27], exec, s[26:27]
	s_cbranch_execz .LBB393_29
; %bb.28:                               ;   in Loop: Header=BB393_13 Depth=2
	global_load_dwordx4 v[44:47], v44, s[12:13]
                                        ; implicit-def: $vgpr52
.LBB393_29:                             ;   in Loop: Header=BB393_13 Depth=2
	s_andn2_saveexec_b64 s[26:27], s[26:27]
	s_cbranch_execz .LBB393_10
; %bb.30:                               ;   in Loop: Header=BB393_13 Depth=2
	s_waitcnt vmcnt(0)
	ds_read_b128 v[44:47], v52 offset:1024
	s_branch .LBB393_10
.LBB393_31:                             ;   in Loop: Header=BB393_8 Depth=1
	s_nop 2
	v_cvt_i32_f32_e32 v13, v13
	v_cvt_i32_f32_e32 v14, v14
	;; [unrolled: 1-line block ×4, first 2 shown]
	v_cvt_f32_i32_dpp v13, v13 row_shl:1 row_mask:0xf bank_mask:0xf bound_ctrl:1
	v_cvt_i32_f32_e32 v1, v1
	v_cvt_f32_i32_dpp v14, v14 row_shl:2 row_mask:0xf bank_mask:0xf bound_ctrl:1
	v_cvt_i32_f32_e32 v10, v10
	v_cvt_i32_f32_e32 v6, v6
	v_cvt_i32_f32_e32 v2, v2
	v_cvt_i32_f32_e32 v15, v15
	v_cvt_i32_f32_e32 v11, v11
	v_cvt_f32_i32_dpp v5, v5 row_shl:1 row_mask:0xf bank_mask:0xf bound_ctrl:1
	v_cvt_i32_f32_e32 v7, v7
	v_cvt_i32_f32_e32 v3, v3
	v_cvt_f32_i32_dpp v9, v9 row_shl:1 row_mask:0xf bank_mask:0xf bound_ctrl:1
	v_add_f32_e32 v12, v12, v13
	v_cvt_f32_i32_dpp v1, v1 row_shl:1 row_mask:0xf bank_mask:0xf bound_ctrl:1
	v_add_f32_e32 v12, v12, v14
	v_cvt_f32_i32_dpp v14, v10 row_shl:2 row_mask:0xf bank_mask:0xf bound_ctrl:1
	v_cvt_f32_i32_dpp v6, v6 row_shl:2 row_mask:0xf bank_mask:0xf bound_ctrl:1
	;; [unrolled: 1-line block ×5, first 2 shown]
	v_add_f32_e32 v4, v4, v5
	v_cvt_f32_i32_dpp v5, v7 row_shl:3 row_mask:0xf bank_mask:0xf bound_ctrl:1
	v_cvt_f32_i32_dpp v3, v3 row_shl:3 row_mask:0xf bank_mask:0xf bound_ctrl:1
	v_add_f32_e32 v8, v8, v9
	v_add_f32_e32 v0, v0, v1
	;; [unrolled: 1-line block ×9, first 2 shown]
	ds_bpermute_b32 v13, v49, v12
	ds_bpermute_b32 v11, v49, v8
	;; [unrolled: 1-line block ×4, first 2 shown]
	s_waitcnt lgkmcnt(0)
	v_add_f32_e32 v9, v12, v13
	v_add_f32_e32 v7, v8, v11
	;; [unrolled: 1-line block ×4, first 2 shown]
	ds_bpermute_b32 v10, v58, v9
	ds_bpermute_b32 v8, v58, v7
	;; [unrolled: 1-line block ×4, first 2 shown]
	s_and_saveexec_b64 s[24:25], s[0:1]
	s_cbranch_execz .LBB393_7
; %bb.32:                               ;   in Loop: Header=BB393_8 Depth=1
	s_andn2_b64 vcc, exec, s[22:23]
	v_mov_b32_e32 v6, 0
	v_mov_b32_e32 v11, 0
	;; [unrolled: 1-line block ×4, first 2 shown]
	s_cbranch_vccnz .LBB393_34
; %bb.33:                               ;   in Loop: Header=BB393_8 Depth=1
	v_mul_hi_u32 v0, v50, v59
	v_mul_lo_u32 v0, v0, s16
	v_sub_u32_e32 v0, v50, v0
	v_subrev_u32_e32 v1, s16, v0
	v_cmp_le_u32_e32 vcc, s16, v0
	s_nop 1
	v_cndmask_b32_e32 v0, v0, v1, vcc
	v_subrev_u32_e32 v1, s16, v0
	v_cmp_le_u32_e32 vcc, s16, v0
	s_nop 1
	v_cndmask_b32_e32 v52, v0, v1, vcc
	v_mul_hi_u32 v0, v60, v59
	v_mul_lo_u32 v0, v0, s16
	v_sub_u32_e32 v0, v60, v0
	v_subrev_u32_e32 v1, s16, v0
	v_cmp_le_u32_e32 vcc, s16, v0
	v_lshl_add_u64 v[14:15], v[52:53], 1, s[14:15]
	v_add_u32_e32 v52, s17, v52
	v_cndmask_b32_e32 v0, v0, v1, vcc
	v_subrev_u32_e32 v1, s16, v0
	v_cmp_le_u32_e32 vcc, s16, v0
	v_lshl_add_u64 v[18:19], v[52:53], 1, s[14:15]
	s_nop 0
	v_cndmask_b32_e32 v0, v0, v1, vcc
	v_mov_b32_e32 v1, v53
	v_add_u32_e32 v52, s17, v0
	v_lshl_add_u64 v[16:17], v[0:1], 1, s[14:15]
	v_lshl_add_u64 v[20:21], v[52:53], 1, s[14:15]
	global_load_ushort v0, v[14:15], off
	global_load_ushort v12, v[16:17], off
	;; [unrolled: 1-line block ×4, first 2 shown]
.LBB393_34:                             ;   in Loop: Header=BB393_8 Depth=1
	s_waitcnt lgkmcnt(3)
	v_add_f32_e32 v1, v9, v10
	v_mul_f32_e32 v1, s30, v1
	s_waitcnt vmcnt(3)
	v_lshlrev_b32_e32 v0, 16, v0
	v_fmac_f32_e32 v0, s31, v1
	v_and_b32_e32 v1, 0x7f800000, v0
	v_cmp_ne_u32_e32 vcc, s37, v1
                                        ; implicit-def: $vgpr9
	s_and_saveexec_b64 s[4:5], vcc
	s_xor_b64 s[4:5], exec, s[4:5]
; %bb.35:                               ;   in Loop: Header=BB393_8 Depth=1
	v_bfe_u32 v1, v0, 16, 1
	v_add3_u32 v9, v0, v1, s38
                                        ; implicit-def: $vgpr0
; %bb.36:                               ;   in Loop: Header=BB393_8 Depth=1
	s_andn2_saveexec_b64 s[4:5], s[4:5]
; %bb.37:                               ;   in Loop: Header=BB393_8 Depth=1
	v_or_b32_e32 v1, 0x10000, v0
	v_cmp_eq_u32_sdwa vcc, v0, v53 src0_sel:WORD_0 src1_sel:DWORD
	s_nop 1
	v_cndmask_b32_e32 v9, v1, v0, vcc
; %bb.38:                               ;   in Loop: Header=BB393_8 Depth=1
	s_or_b64 exec, exec, s[4:5]
	v_mov_b32_e32 v51, v53
	v_lshl_add_u64 v[0:1], v[50:51], 1, s[20:21]
	v_cmp_gt_u32_e32 vcc, s11, v60
	global_store_short_d16_hi v[0:1], v9, off
	s_and_saveexec_b64 s[26:27], vcc
	s_cbranch_execz .LBB393_44
; %bb.39:                               ;   in Loop: Header=BB393_8 Depth=1
	s_waitcnt lgkmcnt(2)
	v_add_f32_e32 v7, v7, v8
	v_mul_f32_e32 v8, s30, v7
	s_waitcnt vmcnt(3)
	v_lshlrev_b32_e32 v7, 16, v12
	v_fmac_f32_e32 v7, s31, v8
	v_and_b32_e32 v8, 0x7f800000, v7
	v_cmp_ne_u32_e64 s[4:5], s37, v8
                                        ; implicit-def: $vgpr8
	s_and_saveexec_b64 s[28:29], s[4:5]
	s_xor_b64 s[4:5], exec, s[28:29]
; %bb.40:                               ;   in Loop: Header=BB393_8 Depth=1
	v_bfe_u32 v8, v7, 16, 1
	v_add3_u32 v8, v7, v8, s38
                                        ; implicit-def: $vgpr7
; %bb.41:                               ;   in Loop: Header=BB393_8 Depth=1
	s_andn2_saveexec_b64 s[28:29], s[4:5]
; %bb.42:                               ;   in Loop: Header=BB393_8 Depth=1
	v_or_b32_e32 v8, 0x10000, v7
	v_cmp_eq_u32_sdwa s[4:5], v7, v53 src0_sel:WORD_0 src1_sel:DWORD
	s_nop 1
	v_cndmask_b32_e64 v8, v8, v7, s[4:5]
; %bb.43:                               ;   in Loop: Header=BB393_8 Depth=1
	s_or_b64 exec, exec, s[28:29]
	global_store_short_d16_hi v[0:1], v8, off offset:2
.LBB393_44:                             ;   in Loop: Header=BB393_8 Depth=1
	s_or_b64 exec, exec, s[26:27]
	s_waitcnt lgkmcnt(1)
	v_add_f32_e32 v0, v4, v5
	v_mul_f32_e32 v1, s30, v0
	s_waitcnt vmcnt(2)
	v_lshlrev_b32_e32 v0, 16, v11
	v_fmac_f32_e32 v0, s31, v1
	v_and_b32_e32 v1, 0x7f800000, v0
	v_cmp_ne_u32_e64 s[4:5], s37, v1
                                        ; implicit-def: $vgpr1
	s_and_saveexec_b64 s[26:27], s[4:5]
	s_xor_b64 s[4:5], exec, s[26:27]
; %bb.45:                               ;   in Loop: Header=BB393_8 Depth=1
	v_bfe_u32 v1, v0, 16, 1
	v_add3_u32 v1, v0, v1, s38
                                        ; implicit-def: $vgpr0
; %bb.46:                               ;   in Loop: Header=BB393_8 Depth=1
	s_andn2_saveexec_b64 s[26:27], s[4:5]
; %bb.47:                               ;   in Loop: Header=BB393_8 Depth=1
	v_or_b32_e32 v1, 0x10000, v0
	v_cmp_eq_u32_sdwa s[4:5], v0, v53 src0_sel:WORD_0 src1_sel:DWORD
	s_nop 1
	v_cndmask_b32_e64 v1, v1, v0, s[4:5]
; %bb.48:                               ;   in Loop: Header=BB393_8 Depth=1
	s_or_b64 exec, exec, s[26:27]
	v_add_u32_e32 v52, s11, v50
	v_lshl_add_u64 v[4:5], v[52:53], 1, s[20:21]
	global_store_short_d16_hi v[4:5], v1, off
	s_and_b64 exec, exec, vcc
	s_cbranch_execz .LBB393_7
; %bb.49:                               ;   in Loop: Header=BB393_8 Depth=1
	s_waitcnt lgkmcnt(0)
	v_add_f32_e32 v0, v2, v3
	v_mul_f32_e32 v0, s30, v0
	s_waitcnt vmcnt(2)
	v_lshlrev_b32_e32 v1, 16, v6
	v_fmac_f32_e32 v1, s31, v0
	v_and_b32_e32 v0, 0x7f800000, v1
	v_cmp_ne_u32_e32 vcc, s37, v0
                                        ; implicit-def: $vgpr0
	s_and_saveexec_b64 s[4:5], vcc
	s_xor_b64 s[4:5], exec, s[4:5]
; %bb.50:                               ;   in Loop: Header=BB393_8 Depth=1
	v_bfe_u32 v0, v1, 16, 1
	v_add3_u32 v0, v1, v0, s38
                                        ; implicit-def: $vgpr1
; %bb.51:                               ;   in Loop: Header=BB393_8 Depth=1
	s_andn2_saveexec_b64 s[4:5], s[4:5]
	s_cbranch_execz .LBB393_6
; %bb.52:                               ;   in Loop: Header=BB393_8 Depth=1
	v_or_b32_e32 v0, 0x10000, v1
	v_cmp_eq_u32_sdwa vcc, v1, v53 src0_sel:WORD_0 src1_sel:DWORD
	s_nop 1
	v_cndmask_b32_e32 v0, v0, v1, vcc
	s_branch .LBB393_6
.LBB393_53:
	s_endpgm
	.section	.rodata,"a",@progbits
	.p2align	6, 0x0
	.amdhsa_kernel _Z13wvSplitKQ_hf_I14__hip_bfloat16N3c1015Float8_e4m3fnuzELi64ELi2ELi16ELi16ELi2ELi2EEviiiiiiPKT0_S5_PKT_PS6_PKfSB_ii
		.amdhsa_group_segment_fixed_size 65536
		.amdhsa_private_segment_fixed_size 0
		.amdhsa_kernarg_size 80
		.amdhsa_user_sgpr_count 2
		.amdhsa_user_sgpr_dispatch_ptr 0
		.amdhsa_user_sgpr_queue_ptr 0
		.amdhsa_user_sgpr_kernarg_segment_ptr 1
		.amdhsa_user_sgpr_dispatch_id 0
		.amdhsa_user_sgpr_kernarg_preload_length 0
		.amdhsa_user_sgpr_kernarg_preload_offset 0
		.amdhsa_user_sgpr_private_segment_size 0
		.amdhsa_uses_dynamic_stack 0
		.amdhsa_enable_private_segment 0
		.amdhsa_system_sgpr_workgroup_id_x 1
		.amdhsa_system_sgpr_workgroup_id_y 0
		.amdhsa_system_sgpr_workgroup_id_z 0
		.amdhsa_system_sgpr_workgroup_info 0
		.amdhsa_system_vgpr_workitem_id 1
		.amdhsa_next_free_vgpr 62
		.amdhsa_next_free_sgpr 39
		.amdhsa_accum_offset 64
		.amdhsa_reserve_vcc 1
		.amdhsa_float_round_mode_32 0
		.amdhsa_float_round_mode_16_64 0
		.amdhsa_float_denorm_mode_32 3
		.amdhsa_float_denorm_mode_16_64 3
		.amdhsa_dx10_clamp 1
		.amdhsa_ieee_mode 1
		.amdhsa_fp16_overflow 0
		.amdhsa_tg_split 0
		.amdhsa_exception_fp_ieee_invalid_op 0
		.amdhsa_exception_fp_denorm_src 0
		.amdhsa_exception_fp_ieee_div_zero 0
		.amdhsa_exception_fp_ieee_overflow 0
		.amdhsa_exception_fp_ieee_underflow 0
		.amdhsa_exception_fp_ieee_inexact 0
		.amdhsa_exception_int_div_zero 0
	.end_amdhsa_kernel
	.section	.text._Z13wvSplitKQ_hf_I14__hip_bfloat16N3c1015Float8_e4m3fnuzELi64ELi2ELi16ELi16ELi2ELi2EEviiiiiiPKT0_S5_PKT_PS6_PKfSB_ii,"axG",@progbits,_Z13wvSplitKQ_hf_I14__hip_bfloat16N3c1015Float8_e4m3fnuzELi64ELi2ELi16ELi16ELi2ELi2EEviiiiiiPKT0_S5_PKT_PS6_PKfSB_ii,comdat
.Lfunc_end393:
	.size	_Z13wvSplitKQ_hf_I14__hip_bfloat16N3c1015Float8_e4m3fnuzELi64ELi2ELi16ELi16ELi2ELi2EEviiiiiiPKT0_S5_PKT_PS6_PKfSB_ii, .Lfunc_end393-_Z13wvSplitKQ_hf_I14__hip_bfloat16N3c1015Float8_e4m3fnuzELi64ELi2ELi16ELi16ELi2ELi2EEviiiiiiPKT0_S5_PKT_PS6_PKfSB_ii
                                        ; -- End function
	.section	.AMDGPU.csdata,"",@progbits
; Kernel info:
; codeLenInByte = 2220
; NumSgprs: 45
; NumVgprs: 62
; NumAgprs: 0
; TotalNumVgprs: 62
; ScratchSize: 0
; MemoryBound: 1
; FloatMode: 240
; IeeeMode: 1
; LDSByteSize: 65536 bytes/workgroup (compile time only)
; SGPRBlocks: 5
; VGPRBlocks: 7
; NumSGPRsForWavesPerEU: 45
; NumVGPRsForWavesPerEU: 62
; AccumOffset: 64
; Occupancy: 4
; WaveLimiterHint : 0
; COMPUTE_PGM_RSRC2:SCRATCH_EN: 0
; COMPUTE_PGM_RSRC2:USER_SGPR: 2
; COMPUTE_PGM_RSRC2:TRAP_HANDLER: 0
; COMPUTE_PGM_RSRC2:TGID_X_EN: 1
; COMPUTE_PGM_RSRC2:TGID_Y_EN: 0
; COMPUTE_PGM_RSRC2:TGID_Z_EN: 0
; COMPUTE_PGM_RSRC2:TIDIG_COMP_CNT: 1
; COMPUTE_PGM_RSRC3_GFX90A:ACCUM_OFFSET: 15
; COMPUTE_PGM_RSRC3_GFX90A:TG_SPLIT: 0
	.section	.text._Z17wvSplitKQ_hf_sml_I14__hip_bfloat16N3c1015Float8_e4m3fnuzELi32ELi2ELi16ELi16ELi1ELi3EEviiiiiiPKT0_S5_PKT_PS6_PKfSB_ii,"axG",@progbits,_Z17wvSplitKQ_hf_sml_I14__hip_bfloat16N3c1015Float8_e4m3fnuzELi32ELi2ELi16ELi16ELi1ELi3EEviiiiiiPKT0_S5_PKT_PS6_PKfSB_ii,comdat
	.protected	_Z17wvSplitKQ_hf_sml_I14__hip_bfloat16N3c1015Float8_e4m3fnuzELi32ELi2ELi16ELi16ELi1ELi3EEviiiiiiPKT0_S5_PKT_PS6_PKfSB_ii ; -- Begin function _Z17wvSplitKQ_hf_sml_I14__hip_bfloat16N3c1015Float8_e4m3fnuzELi32ELi2ELi16ELi16ELi1ELi3EEviiiiiiPKT0_S5_PKT_PS6_PKfSB_ii
	.globl	_Z17wvSplitKQ_hf_sml_I14__hip_bfloat16N3c1015Float8_e4m3fnuzELi32ELi2ELi16ELi16ELi1ELi3EEviiiiiiPKT0_S5_PKT_PS6_PKfSB_ii
	.p2align	8
	.type	_Z17wvSplitKQ_hf_sml_I14__hip_bfloat16N3c1015Float8_e4m3fnuzELi32ELi2ELi16ELi16ELi1ELi3EEviiiiiiPKT0_S5_PKT_PS6_PKfSB_ii,@function
_Z17wvSplitKQ_hf_sml_I14__hip_bfloat16N3c1015Float8_e4m3fnuzELi32ELi2ELi16ELi16ELi1ELi3EEviiiiiiPKT0_S5_PKT_PS6_PKfSB_ii: ; @_Z17wvSplitKQ_hf_sml_I14__hip_bfloat16N3c1015Float8_e4m3fnuzELi32ELi2ELi16ELi16ELi1ELi3EEviiiiiiPKT0_S5_PKT_PS6_PKfSB_ii
; %bb.0:
	s_load_dwordx4 s[16:19], s[0:1], 0x0
	v_and_b32_e32 v4, 0x3ff, v0
	v_bfe_u32 v5, v0, 10, 10
	v_lshlrev_b32_e32 v52, 4, v4
	v_lshl_add_u32 v0, v5, 9, v52
	s_waitcnt lgkmcnt(0)
	s_mul_i32 s3, s17, 3
	s_min_u32 s3, s3, 0x10000
	v_cmp_gt_u32_e32 vcc, s3, v0
	s_and_saveexec_b64 s[4:5], vcc
	s_cbranch_execz .LBB394_9
; %bb.1:
	s_load_dwordx2 s[6:7], s[0:1], 0x20
	v_add_u32_e32 v1, 0x2000, v0
	v_cmp_gt_u32_e32 vcc, s3, v1
	s_waitcnt lgkmcnt(0)
	global_load_dwordx4 v[6:9], v0, s[6:7]
	s_waitcnt vmcnt(0)
	ds_write_b128 v0, v[6:9]
	s_and_saveexec_b64 s[8:9], vcc
	s_xor_b64 s[8:9], exec, s[8:9]
	s_cbranch_execz .LBB394_9
; %bb.2:
	v_mov_b32_e32 v1, 0
	v_lshl_add_u64 v[2:3], s[6:7], 0, v[0:1]
	v_add_co_u32_e32 v6, vcc, 0x2000, v2
	v_add_u32_e32 v1, 0x4000, v0
	s_nop 0
	v_addc_co_u32_e32 v7, vcc, 0, v3, vcc
	global_load_dwordx4 v[6:9], v[6:7], off
	v_cmp_gt_u32_e32 vcc, s3, v1
	s_waitcnt vmcnt(0)
	ds_write_b128 v0, v[6:9] offset:8192
	s_and_saveexec_b64 s[6:7], vcc
	s_xor_b64 s[6:7], exec, s[6:7]
	s_cbranch_execz .LBB394_9
; %bb.3:
	v_add_co_u32_e32 v6, vcc, 0x4000, v2
	v_add_u32_e32 v1, 0x6000, v0
	s_nop 0
	v_addc_co_u32_e32 v7, vcc, 0, v3, vcc
	global_load_dwordx4 v[6:9], v[6:7], off
	v_cmp_gt_u32_e32 vcc, s3, v1
	s_waitcnt vmcnt(0)
	ds_write_b128 v0, v[6:9] offset:16384
	s_and_saveexec_b64 s[6:7], vcc
	s_xor_b64 s[6:7], exec, s[6:7]
	s_cbranch_execz .LBB394_9
; %bb.4:
	;; [unrolled: 12-line block ×6, first 2 shown]
	v_add_co_u32_e32 v2, vcc, 0xe000, v2
	s_nop 1
	v_addc_co_u32_e32 v3, vcc, 0, v3, vcc
	global_load_dwordx4 v[6:9], v[2:3], off
	s_waitcnt vmcnt(0)
	ds_write_b128 v0, v[6:9] offset:57344
.LBB394_9:
	s_or_b64 exec, exec, s[4:5]
	s_load_dwordx2 s[4:5], s[0:1], 0x48
	;;#ASMSTART
	s_waitcnt vmcnt(0)
	;;#ASMEND
	s_waitcnt lgkmcnt(0)
	s_barrier
	v_cmp_gt_u32_e32 vcc, s4, v5
	s_and_saveexec_b64 s[6:7], vcc
	s_cbranch_execz .LBB394_51
; %bb.10:
	s_load_dwordx2 s[20:21], s[0:1], 0x10
	s_mul_i32 s2, s2, s4
	v_add_lshl_u32 v44, s2, v5, 1
	v_cmp_gt_u32_e32 vcc, s19, v44
	s_and_b64 exec, exec, vcc
	s_cbranch_execz .LBB394_51
; %bb.11:
	s_load_dwordx8 s[8:15], s[0:1], 0x28
	s_load_dwordx2 s[22:23], s[0:1], 0x18
	v_mbcnt_lo_u32_b32 v0, -1, 0
	v_mbcnt_hi_u32_b32 v0, -1, v0
	s_cmp_lg_u32 s16, 0
	v_and_b32_e32 v1, 63, v0
	s_cselect_b64 s[2:3], -1, 0
	s_add_i32 s30, s16, -16
	s_add_i32 s31, s19, -1
	v_cmp_lt_u32_e32 vcc, 43, v1
	s_mul_i32 s6, s4, s5
	s_waitcnt lgkmcnt(0)
	s_cmp_lg_u64 s[8:9], 0
	v_cndmask_b32_e64 v2, 20, 0, vcc
	v_cmp_lt_u32_e32 vcc, 23, v1
	s_cselect_b64 s[4:5], -1, 0
	s_lshl_b32 s33, s6, 1
	v_cndmask_b32_e64 v1, 40, 0, vcc
	s_abs_i32 s6, s21
	v_add_lshl_u32 v53, v2, v0, 2
	v_add_lshl_u32 v54, v1, v0, 2
	v_cvt_f32_u32_e32 v0, s20
	v_cvt_f32_u32_e32 v1, s6
	s_sub_i32 s7, 0, s20
	s_load_dword s28, s[12:13], 0x0
	s_load_dword s29, s[14:15], 0x0
	v_rcp_iflag_f32_e32 v0, v0
	v_rcp_iflag_f32_e32 v1, v1
	s_lshl_b32 s21, s19, 1
	v_cmp_eq_u32_e64 s[0:1], 0, v4
	v_mul_f32_e32 v0, 0x4f7ffffe, v0
	v_mul_f32_e32 v1, 0x4f7ffffe, v1
	v_cvt_u32_f32_e32 v0, v0
	v_cvt_u32_f32_e32 v1, v1
	s_mov_b64 s[12:13], 0
	v_mov_b32_e32 v47, 0
	v_mul_lo_u32 v2, s7, v0
	s_sub_i32 s7, 0, s6
	v_readfirstlane_b32 s14, v1
	s_mul_i32 s7, s7, s14
	s_mul_hi_u32 s7, s14, s7
	s_add_i32 s14, s14, s7
	s_sub_i32 s7, 1, s6
	s_cmp_lt_u32 s6, 2
	s_cselect_b32 s7, s7, 1
	s_sub_i32 s15, s7, s6
	s_cmp_ge_u32 s7, s6
	s_cselect_b32 s34, s15, s7
	s_lshr_b32 s7, s14, 31
	s_mul_i32 s7, s7, s6
	s_sub_i32 s7, 2, s7
	s_sub_i32 s14, s7, s6
	s_cmp_ge_u32 s7, s6
	s_cselect_b32 s7, s14, s7
	v_mul_hi_u32 v2, v0, v2
	s_sub_i32 s14, s7, s6
	v_add_u32_e32 v55, v0, v2
	s_cmp_ge_u32 s7, s6
	v_cndmask_b32_e64 v0, 0, 1, s[2:3]
	s_cselect_b32 s35, s14, s7
	v_cmp_ne_u32_e64 s[2:3], 1, v0
	v_cndmask_b32_e64 v0, 0, 1, s[4:5]
	s_mul_i32 s34, s34, s20
	s_mul_i32 s35, s35, s20
	v_lshl_add_u32 v56, s17, 1, v52
	v_add_u32_e32 v57, s17, v52
	v_cmp_ne_u32_e64 s[4:5], 1, v0
	s_mov_b32 s17, 0x7f800000
	s_movk_i32 s36, 0x7fff
	s_branch .LBB394_14
.LBB394_12:                             ;   in Loop: Header=BB394_14 Depth=1
	s_or_b64 exec, exec, s[6:7]
	v_add_u32_e32 v46, s21, v58
	v_lshl_add_u64 v[2:3], v[46:47], 1, s[10:11]
	global_store_short_d16_hi v[2:3], v0, off
.LBB394_13:                             ;   in Loop: Header=BB394_14 Depth=1
	s_or_b64 exec, exec, s[14:15]
	v_add_u32_e32 v44, s33, v44
	v_cmp_le_u32_e32 vcc, s19, v44
	s_or_b64 s[12:13], vcc, s[12:13]
	s_andn2_b64 exec, exec, s[12:13]
	s_cbranch_execz .LBB394_51
.LBB394_14:                             ; =>This Loop Header: Depth=1
                                        ;     Child Loop BB394_17 Depth 2
	s_and_b64 vcc, exec, s[2:3]
	v_or_b32_e32 v58, 1, v44
	v_mov_b32_e32 v23, v47
	v_mov_b32_e32 v22, v47
	;; [unrolled: 1-line block ×8, first 2 shown]
	s_waitcnt lgkmcnt(0)
	v_mov_b32_e32 v15, v47
	v_mov_b32_e32 v14, v47
	;; [unrolled: 1-line block ×13, first 2 shown]
	s_waitcnt vmcnt(3)
	v_mov_b32_e32 v6, v47
	v_mov_b32_e32 v5, v47
	;; [unrolled: 1-line block ×3, first 2 shown]
	s_cbranch_vccnz .LBB394_19
; %bb.15:                               ;   in Loop: Header=BB394_14 Depth=1
	v_min_u32_e32 v0, s31, v44
	v_mul_lo_u32 v48, v0, s18
	v_min_u32_e32 v0, s31, v58
	v_mov_b32_e32 v4, 0
	v_mov_b32_e32 v49, v47
	v_mul_lo_u32 v50, v0, s18
	v_mov_b32_e32 v51, v47
	s_mov_b32 s14, 0
	v_mov_b32_e32 v5, v4
	v_mov_b32_e32 v6, v4
	;; [unrolled: 1-line block ×23, first 2 shown]
	s_branch .LBB394_17
.LBB394_16:                             ;   in Loop: Header=BB394_17 Depth=2
	s_or_b64 exec, exec, s[6:7]
	s_waitcnt vmcnt(1) lgkmcnt(0)
	v_mfma_f32_16x16x32_fp8_fp8 v[20:23], v[36:37], v[28:29], v[20:23]
	s_addk_i32 s14, 0x200
	s_cmp_ge_u32 s14, s16
	s_waitcnt vmcnt(0)
	v_mfma_f32_16x16x32_fp8_fp8 v[16:19], v[36:37], v[24:25], v[16:19]
	v_mfma_f32_16x16x32_fp8_fp8 v[12:15], v[40:41], v[28:29], v[12:15]
	;; [unrolled: 1-line block ×11, first 2 shown]
	s_cbranch_scc1 .LBB394_19
.LBB394_17:                             ;   Parent Loop BB394_14 Depth=1
                                        ; =>  This Inner Loop Header: Depth=2
	v_add_u32_e32 v45, s14, v52
	v_min_u32_e32 v46, s30, v45
	v_lshl_add_u64 v[24:25], s[22:23], 0, v[46:47]
	v_lshl_add_u64 v[32:33], v[24:25], 0, v[48:49]
	;; [unrolled: 1-line block ×3, first 2 shown]
	global_load_dwordx4 v[28:31], v[32:33], off nt
	global_load_dwordx4 v[24:27], v[34:35], off nt
	v_mov_b64_e32 v[36:37], 0
	v_cmp_gt_u32_e32 vcc, s16, v45
	v_mov_b64_e32 v[38:39], v[36:37]
	v_mov_b64_e32 v[40:41], v[36:37]
	;; [unrolled: 1-line block ×5, first 2 shown]
	s_and_saveexec_b64 s[6:7], vcc
	s_cbranch_execz .LBB394_16
; %bb.18:                               ;   in Loop: Header=BB394_17 Depth=2
	v_add_u32_e32 v32, s14, v57
	ds_read_b128 v[36:39], v45
	ds_read_b128 v[40:43], v32
	v_add_u32_e32 v32, s14, v56
	ds_read_b128 v[32:35], v32
	s_branch .LBB394_16
.LBB394_19:                             ;   in Loop: Header=BB394_14 Depth=1
	s_nop 0
	v_cvt_i32_f32_e32 v21, v21
	v_cvt_i32_f32_e32 v22, v22
	v_cvt_i32_f32_e32 v17, v17
	v_cvt_i32_f32_e32 v23, v23
	v_cvt_i32_f32_e32 v18, v18
	v_cvt_f32_i32_dpp v21, v21 row_shl:1 row_mask:0xf bank_mask:0xf bound_ctrl:1
	v_cvt_i32_f32_e32 v13, v13
	v_cvt_f32_i32_dpp v22, v22 row_shl:2 row_mask:0xf bank_mask:0xf bound_ctrl:1
	v_cvt_f32_i32_dpp v17, v17 row_shl:1 row_mask:0xf bank_mask:0xf bound_ctrl:1
	v_cvt_i32_f32_e32 v14, v14
	v_cvt_f32_i32_dpp v23, v23 row_shl:3 row_mask:0xf bank_mask:0xf bound_ctrl:1
	v_cvt_f32_i32_dpp v18, v18 row_shl:2 row_mask:0xf bank_mask:0xf bound_ctrl:1
	v_cvt_i32_f32_e32 v19, v19
	v_cvt_i32_f32_e32 v15, v15
	v_add_f32_e32 v20, v20, v21
	v_cvt_f32_i32_dpp v13, v13 row_shl:1 row_mask:0xf bank_mask:0xf bound_ctrl:1
	v_add_f32_e32 v20, v20, v22
	v_add_f32_e32 v17, v16, v17
	v_cvt_f32_i32_dpp v14, v14 row_shl:2 row_mask:0xf bank_mask:0xf bound_ctrl:1
	v_add_f32_e32 v20, v20, v23
	v_add_f32_e32 v17, v17, v18
	v_cvt_f32_i32_dpp v18, v19 row_shl:3 row_mask:0xf bank_mask:0xf bound_ctrl:1
	v_cvt_f32_i32_dpp v15, v15 row_shl:3 row_mask:0xf bank_mask:0xf bound_ctrl:1
	v_cvt_i32_f32_e32 v1, v1
	ds_bpermute_b32 v21, v53, v20
	v_cvt_i32_f32_e32 v2, v2
	v_add_f32_e32 v12, v12, v13
	v_add_f32_e32 v12, v12, v14
	;; [unrolled: 1-line block ×4, first 2 shown]
	v_cvt_f32_i32_dpp v1, v1 row_shl:1 row_mask:0xf bank_mask:0xf bound_ctrl:1
	ds_bpermute_b32 v18, v53, v17
	ds_bpermute_b32 v19, v53, v14
	v_cvt_f32_i32_dpp v2, v2 row_shl:2 row_mask:0xf bank_mask:0xf bound_ctrl:1
	v_cvt_i32_f32_e32 v3, v3
	s_waitcnt lgkmcnt(0)
	v_add_f32_e32 v16, v20, v21
	v_cvt_i32_f32_e32 v20, v9
	v_add_f32_e32 v0, v0, v1
	v_add_f32_e32 v0, v0, v2
	v_cvt_f32_i32_dpp v1, v3 row_shl:3 row_mask:0xf bank_mask:0xf bound_ctrl:1
	v_cvt_i32_f32_e32 v2, v5
	v_add_f32_e32 v12, v17, v18
	v_add_f32_e32 v9, v14, v19
	v_cvt_f32_i32_dpp v14, v20 row_shl:1 row_mask:0xf bank_mask:0xf bound_ctrl:1
	v_cvt_i32_f32_e32 v17, v10
	v_cvt_i32_f32_e32 v3, v6
	;; [unrolled: 1-line block ×4, first 2 shown]
	v_add_f32_e32 v0, v0, v1
	v_cvt_f32_i32_dpp v1, v2 row_shl:1 row_mask:0xf bank_mask:0xf bound_ctrl:1
	v_add_f32_e32 v8, v8, v14
	v_cvt_f32_i32_dpp v14, v17 row_shl:2 row_mask:0xf bank_mask:0xf bound_ctrl:1
	v_cvt_f32_i32_dpp v2, v3 row_shl:2 row_mask:0xf bank_mask:0xf bound_ctrl:1
	v_cvt_f32_i32_dpp v11, v11 row_shl:3 row_mask:0xf bank_mask:0xf bound_ctrl:1
	v_cvt_f32_i32_dpp v3, v5 row_shl:3 row_mask:0xf bank_mask:0xf bound_ctrl:1
	v_add_f32_e32 v1, v4, v1
	v_add_f32_e32 v8, v8, v14
	;; [unrolled: 1-line block ×5, first 2 shown]
	ds_bpermute_b32 v11, v53, v8
	ds_bpermute_b32 v5, v53, v0
	ds_bpermute_b32 v2, v53, v1
	ds_bpermute_b32 v15, v54, v16
	ds_bpermute_b32 v13, v54, v12
	s_waitcnt lgkmcnt(4)
	v_add_f32_e32 v7, v8, v11
	s_waitcnt lgkmcnt(3)
	v_add_f32_e32 v4, v0, v5
	s_waitcnt lgkmcnt(2)
	v_add_f32_e32 v2, v1, v2
	ds_bpermute_b32 v10, v54, v9
	ds_bpermute_b32 v8, v54, v7
	;; [unrolled: 1-line block ×4, first 2 shown]
	s_and_saveexec_b64 s[14:15], s[0:1]
	s_cbranch_execz .LBB394_13
; %bb.20:                               ;   in Loop: Header=BB394_14 Depth=1
	s_and_b64 vcc, exec, s[4:5]
	v_mov_b32_e32 v0, 0
	v_mov_b32_e32 v18, 0
	;; [unrolled: 1-line block ×6, first 2 shown]
	s_cbranch_vccnz .LBB394_22
; %bb.21:                               ;   in Loop: Header=BB394_14 Depth=1
	v_mul_hi_u32 v0, v44, v55
	v_mul_lo_u32 v0, v0, s20
	v_sub_u32_e32 v0, v44, v0
	v_subrev_u32_e32 v1, s20, v0
	v_cmp_le_u32_e32 vcc, s20, v0
	v_mov_b32_e32 v19, v47
	s_nop 0
	v_cndmask_b32_e32 v0, v0, v1, vcc
	v_subrev_u32_e32 v1, s20, v0
	v_cmp_le_u32_e32 vcc, s20, v0
	s_nop 1
	v_cndmask_b32_e32 v46, v0, v1, vcc
	v_mul_hi_u32 v0, v58, v55
	v_mul_lo_u32 v0, v0, s20
	v_sub_u32_e32 v0, v58, v0
	v_subrev_u32_e32 v1, s20, v0
	v_cmp_le_u32_e32 vcc, s20, v0
	v_lshl_add_u64 v[20:21], v[46:47], 1, s[8:9]
	v_add_u32_e32 v18, s34, v46
	v_cndmask_b32_e32 v0, v0, v1, vcc
	v_subrev_u32_e32 v1, s20, v0
	v_cmp_le_u32_e32 vcc, s20, v0
	v_add_u32_e32 v46, s35, v46
	v_lshl_add_u64 v[24:25], v[18:19], 1, s[8:9]
	v_cndmask_b32_e32 v0, v0, v1, vcc
	v_mov_b32_e32 v1, v47
	v_add_u32_e32 v18, s34, v0
	v_lshl_add_u64 v[28:29], v[46:47], 1, s[8:9]
	v_add_u32_e32 v46, s35, v0
	v_lshl_add_u64 v[22:23], v[0:1], 1, s[8:9]
	v_lshl_add_u64 v[26:27], v[18:19], 1, s[8:9]
	;; [unrolled: 1-line block ×3, first 2 shown]
	global_load_ushort v0, v[20:21], off
	global_load_ushort v18, v[22:23], off
	;; [unrolled: 1-line block ×6, first 2 shown]
.LBB394_22:                             ;   in Loop: Header=BB394_14 Depth=1
	s_waitcnt lgkmcnt(5)
	v_add_f32_e32 v1, v16, v15
	v_mul_f32_e32 v1, s28, v1
	s_waitcnt vmcnt(5)
	v_lshlrev_b32_e32 v0, 16, v0
	v_fmac_f32_e32 v0, s29, v1
	v_and_b32_e32 v1, 0x7f800000, v0
	v_cmp_ne_u32_e32 vcc, s17, v1
                                        ; implicit-def: $vgpr15
	s_and_saveexec_b64 s[6:7], vcc
	s_xor_b64 s[6:7], exec, s[6:7]
; %bb.23:                               ;   in Loop: Header=BB394_14 Depth=1
	v_bfe_u32 v1, v0, 16, 1
	v_add3_u32 v15, v0, v1, s36
                                        ; implicit-def: $vgpr0
; %bb.24:                               ;   in Loop: Header=BB394_14 Depth=1
	s_andn2_saveexec_b64 s[6:7], s[6:7]
; %bb.25:                               ;   in Loop: Header=BB394_14 Depth=1
	v_or_b32_e32 v1, 0x10000, v0
	v_cmp_eq_u32_sdwa vcc, v0, v47 src0_sel:WORD_0 src1_sel:DWORD
	s_nop 1
	v_cndmask_b32_e32 v15, v1, v0, vcc
; %bb.26:                               ;   in Loop: Header=BB394_14 Depth=1
	s_or_b64 exec, exec, s[6:7]
	v_mov_b32_e32 v45, v47
	v_lshl_add_u64 v[0:1], v[44:45], 1, s[10:11]
	v_cmp_gt_u32_e32 vcc, s19, v58
	global_store_short_d16_hi v[0:1], v15, off
	s_and_saveexec_b64 s[24:25], vcc
	s_cbranch_execz .LBB394_32
; %bb.27:                               ;   in Loop: Header=BB394_14 Depth=1
	s_waitcnt lgkmcnt(4)
	v_add_f32_e32 v12, v12, v13
	v_mul_f32_e32 v13, s28, v12
	s_waitcnt vmcnt(5)
	v_lshlrev_b32_e32 v12, 16, v18
	v_fmac_f32_e32 v12, s29, v13
	v_and_b32_e32 v13, 0x7f800000, v12
	v_cmp_ne_u32_e64 s[6:7], s17, v13
                                        ; implicit-def: $vgpr13
	s_and_saveexec_b64 s[26:27], s[6:7]
	s_xor_b64 s[6:7], exec, s[26:27]
; %bb.28:                               ;   in Loop: Header=BB394_14 Depth=1
	v_bfe_u32 v13, v12, 16, 1
	v_add3_u32 v13, v12, v13, s36
                                        ; implicit-def: $vgpr12
; %bb.29:                               ;   in Loop: Header=BB394_14 Depth=1
	s_andn2_saveexec_b64 s[26:27], s[6:7]
; %bb.30:                               ;   in Loop: Header=BB394_14 Depth=1
	v_or_b32_e32 v13, 0x10000, v12
	v_cmp_eq_u32_sdwa s[6:7], v12, v47 src0_sel:WORD_0 src1_sel:DWORD
	s_nop 1
	v_cndmask_b32_e64 v13, v13, v12, s[6:7]
; %bb.31:                               ;   in Loop: Header=BB394_14 Depth=1
	s_or_b64 exec, exec, s[26:27]
	global_store_short_d16_hi v[0:1], v13, off offset:2
.LBB394_32:                             ;   in Loop: Header=BB394_14 Depth=1
	s_or_b64 exec, exec, s[24:25]
	s_waitcnt lgkmcnt(3)
	v_add_f32_e32 v0, v9, v10
	v_mul_f32_e32 v1, s28, v0
	s_waitcnt vmcnt(4)
	v_lshlrev_b32_e32 v0, 16, v17
	v_fmac_f32_e32 v0, s29, v1
	v_and_b32_e32 v1, 0x7f800000, v0
	v_cmp_ne_u32_e64 s[6:7], s17, v1
                                        ; implicit-def: $vgpr1
	s_and_saveexec_b64 s[24:25], s[6:7]
	s_xor_b64 s[6:7], exec, s[24:25]
; %bb.33:                               ;   in Loop: Header=BB394_14 Depth=1
	v_bfe_u32 v1, v0, 16, 1
	v_add3_u32 v1, v0, v1, s36
                                        ; implicit-def: $vgpr0
; %bb.34:                               ;   in Loop: Header=BB394_14 Depth=1
	s_andn2_saveexec_b64 s[24:25], s[6:7]
; %bb.35:                               ;   in Loop: Header=BB394_14 Depth=1
	v_or_b32_e32 v1, 0x10000, v0
	v_cmp_eq_u32_sdwa s[6:7], v0, v47 src0_sel:WORD_0 src1_sel:DWORD
	s_nop 1
	v_cndmask_b32_e64 v1, v1, v0, s[6:7]
; %bb.36:                               ;   in Loop: Header=BB394_14 Depth=1
	s_or_b64 exec, exec, s[24:25]
	v_add_u32_e32 v46, s19, v44
	v_lshl_add_u64 v[12:13], v[46:47], 1, s[10:11]
	global_store_short_d16_hi v[12:13], v1, off
	s_and_saveexec_b64 s[24:25], vcc
	s_cbranch_execz .LBB394_42
; %bb.37:                               ;   in Loop: Header=BB394_14 Depth=1
	s_waitcnt lgkmcnt(2)
	v_add_f32_e32 v0, v7, v8
	v_mul_f32_e32 v0, s28, v0
	s_waitcnt vmcnt(4)
	v_lshlrev_b32_e32 v1, 16, v14
	v_fmac_f32_e32 v1, s29, v0
	v_and_b32_e32 v0, 0x7f800000, v1
	v_cmp_ne_u32_e64 s[6:7], s17, v0
                                        ; implicit-def: $vgpr0
	s_and_saveexec_b64 s[26:27], s[6:7]
	s_xor_b64 s[6:7], exec, s[26:27]
; %bb.38:                               ;   in Loop: Header=BB394_14 Depth=1
	v_bfe_u32 v0, v1, 16, 1
	v_add3_u32 v0, v1, v0, s36
                                        ; implicit-def: $vgpr1
; %bb.39:                               ;   in Loop: Header=BB394_14 Depth=1
	s_andn2_saveexec_b64 s[26:27], s[6:7]
; %bb.40:                               ;   in Loop: Header=BB394_14 Depth=1
	v_or_b32_e32 v0, 0x10000, v1
	v_cmp_eq_u32_sdwa s[6:7], v1, v47 src0_sel:WORD_0 src1_sel:DWORD
	s_nop 1
	v_cndmask_b32_e64 v0, v0, v1, s[6:7]
; %bb.41:                               ;   in Loop: Header=BB394_14 Depth=1
	s_or_b64 exec, exec, s[26:27]
	v_add_u32_e32 v8, s19, v58
	v_mov_b32_e32 v9, v47
	v_lshl_add_u64 v[8:9], v[8:9], 1, s[10:11]
	global_store_short_d16_hi v[8:9], v0, off
.LBB394_42:                             ;   in Loop: Header=BB394_14 Depth=1
	s_or_b64 exec, exec, s[24:25]
	s_waitcnt lgkmcnt(1)
	v_add_f32_e32 v0, v4, v5
	v_mul_f32_e32 v1, s28, v0
	s_waitcnt vmcnt(3)
	v_lshlrev_b32_e32 v0, 16, v11
	v_fmac_f32_e32 v0, s29, v1
	v_and_b32_e32 v1, 0x7f800000, v0
	v_cmp_ne_u32_e64 s[6:7], s17, v1
                                        ; implicit-def: $vgpr1
	s_and_saveexec_b64 s[24:25], s[6:7]
	s_xor_b64 s[6:7], exec, s[24:25]
; %bb.43:                               ;   in Loop: Header=BB394_14 Depth=1
	v_bfe_u32 v1, v0, 16, 1
	v_add3_u32 v1, v0, v1, s36
                                        ; implicit-def: $vgpr0
; %bb.44:                               ;   in Loop: Header=BB394_14 Depth=1
	s_andn2_saveexec_b64 s[24:25], s[6:7]
; %bb.45:                               ;   in Loop: Header=BB394_14 Depth=1
	v_or_b32_e32 v1, 0x10000, v0
	v_cmp_eq_u32_sdwa s[6:7], v0, v47 src0_sel:WORD_0 src1_sel:DWORD
	s_nop 1
	v_cndmask_b32_e64 v1, v1, v0, s[6:7]
; %bb.46:                               ;   in Loop: Header=BB394_14 Depth=1
	s_or_b64 exec, exec, s[24:25]
	v_add_u32_e32 v46, s19, v46
	v_lshl_add_u64 v[4:5], v[46:47], 1, s[10:11]
	global_store_short_d16_hi v[4:5], v1, off
	s_and_b64 exec, exec, vcc
	s_cbranch_execz .LBB394_13
; %bb.47:                               ;   in Loop: Header=BB394_14 Depth=1
	s_waitcnt lgkmcnt(0)
	v_add_f32_e32 v0, v2, v3
	v_mul_f32_e32 v0, s28, v0
	s_waitcnt vmcnt(3)
	v_lshlrev_b32_e32 v1, 16, v6
	v_fmac_f32_e32 v1, s29, v0
	v_and_b32_e32 v0, 0x7f800000, v1
	v_cmp_ne_u32_e32 vcc, s17, v0
                                        ; implicit-def: $vgpr0
	s_and_saveexec_b64 s[6:7], vcc
	s_xor_b64 s[6:7], exec, s[6:7]
; %bb.48:                               ;   in Loop: Header=BB394_14 Depth=1
	v_bfe_u32 v0, v1, 16, 1
	v_add3_u32 v0, v1, v0, s36
                                        ; implicit-def: $vgpr1
; %bb.49:                               ;   in Loop: Header=BB394_14 Depth=1
	s_andn2_saveexec_b64 s[6:7], s[6:7]
	s_cbranch_execz .LBB394_12
; %bb.50:                               ;   in Loop: Header=BB394_14 Depth=1
	v_or_b32_e32 v0, 0x10000, v1
	v_cmp_eq_u32_sdwa vcc, v1, v47 src0_sel:WORD_0 src1_sel:DWORD
	s_nop 1
	v_cndmask_b32_e32 v0, v0, v1, vcc
	s_branch .LBB394_12
.LBB394_51:
	s_endpgm
	.section	.rodata,"a",@progbits
	.p2align	6, 0x0
	.amdhsa_kernel _Z17wvSplitKQ_hf_sml_I14__hip_bfloat16N3c1015Float8_e4m3fnuzELi32ELi2ELi16ELi16ELi1ELi3EEviiiiiiPKT0_S5_PKT_PS6_PKfSB_ii
		.amdhsa_group_segment_fixed_size 65536
		.amdhsa_private_segment_fixed_size 0
		.amdhsa_kernarg_size 80
		.amdhsa_user_sgpr_count 2
		.amdhsa_user_sgpr_dispatch_ptr 0
		.amdhsa_user_sgpr_queue_ptr 0
		.amdhsa_user_sgpr_kernarg_segment_ptr 1
		.amdhsa_user_sgpr_dispatch_id 0
		.amdhsa_user_sgpr_kernarg_preload_length 0
		.amdhsa_user_sgpr_kernarg_preload_offset 0
		.amdhsa_user_sgpr_private_segment_size 0
		.amdhsa_uses_dynamic_stack 0
		.amdhsa_enable_private_segment 0
		.amdhsa_system_sgpr_workgroup_id_x 1
		.amdhsa_system_sgpr_workgroup_id_y 0
		.amdhsa_system_sgpr_workgroup_id_z 0
		.amdhsa_system_sgpr_workgroup_info 0
		.amdhsa_system_vgpr_workitem_id 1
		.amdhsa_next_free_vgpr 59
		.amdhsa_next_free_sgpr 37
		.amdhsa_accum_offset 60
		.amdhsa_reserve_vcc 1
		.amdhsa_float_round_mode_32 0
		.amdhsa_float_round_mode_16_64 0
		.amdhsa_float_denorm_mode_32 3
		.amdhsa_float_denorm_mode_16_64 3
		.amdhsa_dx10_clamp 1
		.amdhsa_ieee_mode 1
		.amdhsa_fp16_overflow 0
		.amdhsa_tg_split 0
		.amdhsa_exception_fp_ieee_invalid_op 0
		.amdhsa_exception_fp_denorm_src 0
		.amdhsa_exception_fp_ieee_div_zero 0
		.amdhsa_exception_fp_ieee_overflow 0
		.amdhsa_exception_fp_ieee_underflow 0
		.amdhsa_exception_fp_ieee_inexact 0
		.amdhsa_exception_int_div_zero 0
	.end_amdhsa_kernel
	.section	.text._Z17wvSplitKQ_hf_sml_I14__hip_bfloat16N3c1015Float8_e4m3fnuzELi32ELi2ELi16ELi16ELi1ELi3EEviiiiiiPKT0_S5_PKT_PS6_PKfSB_ii,"axG",@progbits,_Z17wvSplitKQ_hf_sml_I14__hip_bfloat16N3c1015Float8_e4m3fnuzELi32ELi2ELi16ELi16ELi1ELi3EEviiiiiiPKT0_S5_PKT_PS6_PKfSB_ii,comdat
.Lfunc_end394:
	.size	_Z17wvSplitKQ_hf_sml_I14__hip_bfloat16N3c1015Float8_e4m3fnuzELi32ELi2ELi16ELi16ELi1ELi3EEviiiiiiPKT0_S5_PKT_PS6_PKfSB_ii, .Lfunc_end394-_Z17wvSplitKQ_hf_sml_I14__hip_bfloat16N3c1015Float8_e4m3fnuzELi32ELi2ELi16ELi16ELi1ELi3EEviiiiiiPKT0_S5_PKT_PS6_PKfSB_ii
                                        ; -- End function
	.section	.AMDGPU.csdata,"",@progbits
; Kernel info:
; codeLenInByte = 2908
; NumSgprs: 43
; NumVgprs: 59
; NumAgprs: 0
; TotalNumVgprs: 59
; ScratchSize: 0
; MemoryBound: 0
; FloatMode: 240
; IeeeMode: 1
; LDSByteSize: 65536 bytes/workgroup (compile time only)
; SGPRBlocks: 5
; VGPRBlocks: 7
; NumSGPRsForWavesPerEU: 43
; NumVGPRsForWavesPerEU: 59
; AccumOffset: 60
; Occupancy: 2
; WaveLimiterHint : 0
; COMPUTE_PGM_RSRC2:SCRATCH_EN: 0
; COMPUTE_PGM_RSRC2:USER_SGPR: 2
; COMPUTE_PGM_RSRC2:TRAP_HANDLER: 0
; COMPUTE_PGM_RSRC2:TGID_X_EN: 1
; COMPUTE_PGM_RSRC2:TGID_Y_EN: 0
; COMPUTE_PGM_RSRC2:TGID_Z_EN: 0
; COMPUTE_PGM_RSRC2:TIDIG_COMP_CNT: 1
; COMPUTE_PGM_RSRC3_GFX90A:ACCUM_OFFSET: 14
; COMPUTE_PGM_RSRC3_GFX90A:TG_SPLIT: 0
	.section	.text._Z13wvSplitKQ_hf_I14__hip_bfloat16N3c1015Float8_e4m3fnuzELi32ELi2ELi16ELi16ELi1ELi3EEviiiiiiPKT0_S5_PKT_PS6_PKfSB_ii,"axG",@progbits,_Z13wvSplitKQ_hf_I14__hip_bfloat16N3c1015Float8_e4m3fnuzELi32ELi2ELi16ELi16ELi1ELi3EEviiiiiiPKT0_S5_PKT_PS6_PKfSB_ii,comdat
	.protected	_Z13wvSplitKQ_hf_I14__hip_bfloat16N3c1015Float8_e4m3fnuzELi32ELi2ELi16ELi16ELi1ELi3EEviiiiiiPKT0_S5_PKT_PS6_PKfSB_ii ; -- Begin function _Z13wvSplitKQ_hf_I14__hip_bfloat16N3c1015Float8_e4m3fnuzELi32ELi2ELi16ELi16ELi1ELi3EEviiiiiiPKT0_S5_PKT_PS6_PKfSB_ii
	.globl	_Z13wvSplitKQ_hf_I14__hip_bfloat16N3c1015Float8_e4m3fnuzELi32ELi2ELi16ELi16ELi1ELi3EEviiiiiiPKT0_S5_PKT_PS6_PKfSB_ii
	.p2align	8
	.type	_Z13wvSplitKQ_hf_I14__hip_bfloat16N3c1015Float8_e4m3fnuzELi32ELi2ELi16ELi16ELi1ELi3EEviiiiiiPKT0_S5_PKT_PS6_PKfSB_ii,@function
_Z13wvSplitKQ_hf_I14__hip_bfloat16N3c1015Float8_e4m3fnuzELi32ELi2ELi16ELi16ELi1ELi3EEviiiiiiPKT0_S5_PKT_PS6_PKfSB_ii: ; @_Z13wvSplitKQ_hf_I14__hip_bfloat16N3c1015Float8_e4m3fnuzELi32ELi2ELi16ELi16ELi1ELi3EEviiiiiiPKT0_S5_PKT_PS6_PKfSB_ii
; %bb.0:
	s_load_dwordx4 s[16:19], s[0:1], 0x0
	s_load_dwordx2 s[6:7], s[0:1], 0x20
	v_and_b32_e32 v4, 0x3ff, v0
	v_bfe_u32 v5, v0, 10, 10
	v_lshlrev_b32_e32 v52, 4, v4
	s_waitcnt lgkmcnt(0)
	s_mul_i32 s3, s17, 3
	v_lshl_add_u32 v0, v5, 9, v52
	s_min_u32 s3, s3, 0x10000
	v_cmp_gt_u32_e32 vcc, s3, v0
	s_and_saveexec_b64 s[4:5], vcc
	s_cbranch_execz .LBB395_9
; %bb.1:
	global_load_dwordx4 v[6:9], v0, s[6:7]
	v_add_u32_e32 v1, 0x2000, v0
	v_cmp_gt_u32_e32 vcc, s3, v1
	s_waitcnt vmcnt(0)
	ds_write_b128 v0, v[6:9]
	s_and_saveexec_b64 s[8:9], vcc
	s_xor_b64 s[8:9], exec, s[8:9]
	s_cbranch_execz .LBB395_9
; %bb.2:
	v_mov_b32_e32 v1, 0
	v_lshl_add_u64 v[2:3], s[6:7], 0, v[0:1]
	v_add_co_u32_e32 v6, vcc, 0x2000, v2
	v_add_u32_e32 v1, 0x4000, v0
	s_nop 0
	v_addc_co_u32_e32 v7, vcc, 0, v3, vcc
	global_load_dwordx4 v[6:9], v[6:7], off
	v_cmp_gt_u32_e32 vcc, s3, v1
	s_waitcnt vmcnt(0)
	ds_write_b128 v0, v[6:9] offset:8192
	s_and_saveexec_b64 s[8:9], vcc
	s_xor_b64 s[8:9], exec, s[8:9]
	s_cbranch_execz .LBB395_9
; %bb.3:
	v_add_co_u32_e32 v6, vcc, 0x4000, v2
	v_add_u32_e32 v1, 0x6000, v0
	s_nop 0
	v_addc_co_u32_e32 v7, vcc, 0, v3, vcc
	global_load_dwordx4 v[6:9], v[6:7], off
	v_cmp_gt_u32_e32 vcc, s3, v1
	s_waitcnt vmcnt(0)
	ds_write_b128 v0, v[6:9] offset:16384
	s_and_saveexec_b64 s[8:9], vcc
	s_xor_b64 s[8:9], exec, s[8:9]
	s_cbranch_execz .LBB395_9
; %bb.4:
	;; [unrolled: 12-line block ×6, first 2 shown]
	v_add_co_u32_e32 v2, vcc, 0xe000, v2
	s_nop 1
	v_addc_co_u32_e32 v3, vcc, 0, v3, vcc
	global_load_dwordx4 v[6:9], v[2:3], off
	s_waitcnt vmcnt(0)
	ds_write_b128 v0, v[6:9] offset:57344
.LBB395_9:
	s_or_b64 exec, exec, s[4:5]
	s_load_dwordx2 s[4:5], s[0:1], 0x48
	;;#ASMSTART
	s_waitcnt vmcnt(0)
	;;#ASMEND
	s_waitcnt lgkmcnt(0)
	s_barrier
	v_cmp_gt_u32_e32 vcc, s4, v5
	s_and_saveexec_b64 s[8:9], vcc
	s_cbranch_execz .LBB395_63
; %bb.10:
	s_load_dwordx2 s[20:21], s[0:1], 0x10
	s_mul_i32 s2, s2, s4
	v_add_lshl_u32 v44, s2, v5, 1
	v_cmp_gt_u32_e32 vcc, s19, v44
	s_and_b64 exec, exec, vcc
	s_cbranch_execz .LBB395_63
; %bb.11:
	s_load_dwordx8 s[8:15], s[0:1], 0x28
	s_load_dwordx2 s[22:23], s[0:1], 0x18
	v_mbcnt_lo_u32_b32 v0, -1, 0
	v_mbcnt_hi_u32_b32 v0, -1, v0
	s_cmp_lg_u32 s16, 0
	v_and_b32_e32 v1, 63, v0
	s_cselect_b64 s[2:3], -1, 0
	s_add_i32 s33, s16, -16
	s_add_i32 s34, s19, -1
	v_cmp_lt_u32_e32 vcc, 43, v1
	s_mul_i32 s4, s4, s5
	s_waitcnt lgkmcnt(0)
	s_cmp_lg_u64 s[8:9], 0
	v_cndmask_b32_e64 v2, 20, 0, vcc
	v_cmp_lt_u32_e32 vcc, 23, v1
	s_load_dword s30, s[12:13], 0x0
	s_load_dword s31, s[14:15], 0x0
	v_cndmask_b32_e64 v1, 40, 0, vcc
	s_cselect_b64 s[14:15], -1, 0
	s_lshl_b32 s35, s4, 1
	s_abs_i32 s4, s21
	v_add_lshl_u32 v53, v2, v0, 2
	v_add_lshl_u32 v54, v1, v0, 2
	v_cvt_f32_u32_e32 v0, s20
	v_cvt_f32_u32_e32 v1, s4
	s_sub_i32 s5, 0, s20
	s_lshl_b32 s21, s19, 1
	v_rcp_iflag_f32_e32 v0, v0
	v_rcp_iflag_f32_e32 v1, v1
	v_cmp_eq_u32_e64 s[0:1], 0, v4
	s_mov_b64 s[12:13], 0
	v_mul_f32_e32 v0, 0x4f7ffffe, v0
	v_mul_f32_e32 v1, 0x4f7ffffe, v1
	v_cvt_u32_f32_e32 v0, v0
	v_cvt_u32_f32_e32 v1, v1
	v_mov_b32_e32 v47, 0
	v_lshl_add_u32 v56, s17, 1, v52
	v_mul_lo_u32 v2, s5, v0
	s_sub_i32 s5, 0, s4
	v_readfirstlane_b32 s24, v1
	s_mul_i32 s5, s5, s24
	s_mul_hi_u32 s5, s24, s5
	s_add_i32 s24, s24, s5
	s_sub_i32 s5, 1, s4
	s_cmp_lt_u32 s4, 2
	s_cselect_b32 s5, s5, 1
	s_sub_i32 s25, s5, s4
	s_cmp_ge_u32 s5, s4
	s_cselect_b32 s36, s25, s5
	s_lshr_b32 s5, s24, 31
	s_mul_i32 s5, s5, s4
	s_sub_i32 s5, 2, s5
	s_sub_i32 s24, s5, s4
	s_cmp_ge_u32 s5, s4
	s_cselect_b32 s5, s24, s5
	s_sub_i32 s24, s5, s4
	v_mul_hi_u32 v2, v0, v2
	s_cmp_ge_u32 s5, s4
	v_add_u32_e32 v55, v0, v2
	s_cselect_b32 s37, s24, s5
	v_cndmask_b32_e64 v0, 0, 1, s[2:3]
	s_mul_i32 s36, s36, s20
	s_mul_i32 s37, s37, s20
	v_add_u32_e32 v57, s17, v52
	v_cmp_ne_u32_e64 s[2:3], 1, v0
	s_mov_b32 s17, 0xffff
	s_mov_b32 s38, 0x7f800000
	s_movk_i32 s39, 0x7fff
	s_branch .LBB395_14
.LBB395_12:                             ;   in Loop: Header=BB395_14 Depth=1
	s_or_b64 exec, exec, s[4:5]
	v_add_u32_e32 v46, s21, v58
	v_lshl_add_u64 v[2:3], v[46:47], 1, s[10:11]
	global_store_short_d16_hi v[2:3], v0, off
.LBB395_13:                             ;   in Loop: Header=BB395_14 Depth=1
	s_or_b64 exec, exec, s[24:25]
	v_add_u32_e32 v44, s35, v44
	v_cmp_le_u32_e32 vcc, s19, v44
	s_or_b64 s[12:13], vcc, s[12:13]
	s_andn2_b64 exec, exec, s[12:13]
	s_cbranch_execz .LBB395_63
.LBB395_14:                             ; =>This Loop Header: Depth=1
                                        ;     Child Loop BB395_18 Depth 2
	s_and_b64 vcc, exec, s[2:3]
	v_or_b32_e32 v58, 1, v44
	v_mov_b32_e32 v23, v47
	v_mov_b32_e32 v22, v47
	;; [unrolled: 1-line block ×8, first 2 shown]
	s_waitcnt lgkmcnt(0)
	v_mov_b32_e32 v15, v47
	v_mov_b32_e32 v14, v47
	;; [unrolled: 1-line block ×13, first 2 shown]
	s_waitcnt vmcnt(3)
	v_mov_b32_e32 v6, v47
	v_mov_b32_e32 v5, v47
	;; [unrolled: 1-line block ×3, first 2 shown]
	s_cbranch_vccnz .LBB395_31
; %bb.15:                               ;   in Loop: Header=BB395_14 Depth=1
	v_min_u32_e32 v0, s34, v44
	v_mul_lo_u32 v48, v0, s18
	v_min_u32_e32 v0, s34, v58
	v_mov_b32_e32 v4, 0
	v_mov_b32_e32 v49, v47
	v_mul_lo_u32 v50, v0, s18
	v_mov_b32_e32 v51, v47
	s_mov_b32 s26, 0
	v_mov_b32_e32 v5, v4
	v_mov_b32_e32 v6, v4
	;; [unrolled: 1-line block ×23, first 2 shown]
	s_branch .LBB395_18
.LBB395_16:                             ;   in Loop: Header=BB395_18 Depth=2
	s_or_b64 exec, exec, s[24:25]
.LBB395_17:                             ;   in Loop: Header=BB395_18 Depth=2
	s_or_b64 exec, exec, s[4:5]
	s_waitcnt vmcnt(0) lgkmcnt(0)
	v_mfma_f32_16x16x32_fp8_fp8 v[20:23], v[32:33], v[28:29], v[20:23]
	s_addk_i32 s26, 0x200
	s_cmp_ge_u32 s26, s16
	v_mfma_f32_16x16x32_fp8_fp8 v[16:19], v[32:33], v[24:25], v[16:19]
	v_mfma_f32_16x16x32_fp8_fp8 v[12:15], v[36:37], v[28:29], v[12:15]
	;; [unrolled: 1-line block ×11, first 2 shown]
	s_cbranch_scc1 .LBB395_31
.LBB395_18:                             ;   Parent Loop BB395_14 Depth=1
                                        ; =>  This Inner Loop Header: Depth=2
	v_add_u32_e32 v45, s26, v52
	v_min_u32_e32 v46, s33, v45
	v_lshl_add_u64 v[24:25], s[22:23], 0, v[46:47]
	v_lshl_add_u64 v[32:33], v[24:25], 0, v[48:49]
	;; [unrolled: 1-line block ×3, first 2 shown]
	global_load_dwordx4 v[28:31], v[32:33], off nt
	global_load_dwordx4 v[24:27], v[34:35], off nt
	v_mov_b64_e32 v[42:43], 0
	v_cmp_gt_u32_e32 vcc, s16, v45
	v_mov_b64_e32 v[40:41], v[42:43]
	v_mov_b64_e32 v[38:39], v[42:43]
	;; [unrolled: 1-line block ×5, first 2 shown]
	s_and_saveexec_b64 s[4:5], vcc
	s_cbranch_execz .LBB395_17
; %bb.19:                               ;   in Loop: Header=BB395_18 Depth=2
	v_cmp_lt_u32_e32 vcc, s17, v45
                                        ; implicit-def: $vgpr34_vgpr35
	s_and_saveexec_b64 s[24:25], vcc
	s_xor_b64 s[24:25], exec, s[24:25]
	s_cbranch_execz .LBB395_21
; %bb.20:                               ;   in Loop: Header=BB395_18 Depth=2
	global_load_dwordx4 v[32:35], v45, s[6:7]
                                        ; implicit-def: $vgpr45
.LBB395_21:                             ;   in Loop: Header=BB395_18 Depth=2
	s_andn2_saveexec_b64 s[24:25], s[24:25]
	s_cbranch_execz .LBB395_23
; %bb.22:                               ;   in Loop: Header=BB395_18 Depth=2
	s_waitcnt vmcnt(0)
	ds_read_b128 v[32:35], v45
.LBB395_23:                             ;   in Loop: Header=BB395_18 Depth=2
	s_or_b64 exec, exec, s[24:25]
	v_add_u32_e32 v40, s26, v57
	v_cmp_lt_u32_e32 vcc, s17, v40
                                        ; implicit-def: $vgpr38_vgpr39
	s_and_saveexec_b64 s[24:25], vcc
	s_xor_b64 s[24:25], exec, s[24:25]
	s_cbranch_execz .LBB395_25
; %bb.24:                               ;   in Loop: Header=BB395_18 Depth=2
	global_load_dwordx4 v[36:39], v40, s[6:7]
                                        ; implicit-def: $vgpr40
.LBB395_25:                             ;   in Loop: Header=BB395_18 Depth=2
	s_andn2_saveexec_b64 s[24:25], s[24:25]
	s_cbranch_execz .LBB395_27
; %bb.26:                               ;   in Loop: Header=BB395_18 Depth=2
	s_waitcnt vmcnt(0)
	ds_read_b128 v[36:39], v40
.LBB395_27:                             ;   in Loop: Header=BB395_18 Depth=2
	s_or_b64 exec, exec, s[24:25]
	v_add_u32_e32 v45, s26, v56
	v_cmp_lt_u32_e32 vcc, s17, v45
                                        ; implicit-def: $vgpr42_vgpr43
	s_and_saveexec_b64 s[24:25], vcc
	s_xor_b64 s[24:25], exec, s[24:25]
	s_cbranch_execz .LBB395_29
; %bb.28:                               ;   in Loop: Header=BB395_18 Depth=2
	global_load_dwordx4 v[40:43], v45, s[6:7]
                                        ; implicit-def: $vgpr45
.LBB395_29:                             ;   in Loop: Header=BB395_18 Depth=2
	s_andn2_saveexec_b64 s[24:25], s[24:25]
	s_cbranch_execz .LBB395_16
; %bb.30:                               ;   in Loop: Header=BB395_18 Depth=2
	s_waitcnt vmcnt(0)
	ds_read_b128 v[40:43], v45
	s_branch .LBB395_16
.LBB395_31:                             ;   in Loop: Header=BB395_14 Depth=1
	s_nop 0
	v_cvt_i32_f32_e32 v21, v21
	v_cvt_i32_f32_e32 v22, v22
	;; [unrolled: 1-line block ×5, first 2 shown]
	v_cvt_f32_i32_dpp v21, v21 row_shl:1 row_mask:0xf bank_mask:0xf bound_ctrl:1
	v_cvt_i32_f32_e32 v13, v13
	v_cvt_f32_i32_dpp v22, v22 row_shl:2 row_mask:0xf bank_mask:0xf bound_ctrl:1
	v_cvt_f32_i32_dpp v17, v17 row_shl:1 row_mask:0xf bank_mask:0xf bound_ctrl:1
	v_cvt_i32_f32_e32 v14, v14
	v_cvt_f32_i32_dpp v23, v23 row_shl:3 row_mask:0xf bank_mask:0xf bound_ctrl:1
	v_cvt_f32_i32_dpp v18, v18 row_shl:2 row_mask:0xf bank_mask:0xf bound_ctrl:1
	v_cvt_i32_f32_e32 v19, v19
	v_cvt_i32_f32_e32 v15, v15
	v_add_f32_e32 v20, v20, v21
	v_cvt_f32_i32_dpp v13, v13 row_shl:1 row_mask:0xf bank_mask:0xf bound_ctrl:1
	v_add_f32_e32 v20, v20, v22
	v_add_f32_e32 v17, v16, v17
	v_cvt_f32_i32_dpp v14, v14 row_shl:2 row_mask:0xf bank_mask:0xf bound_ctrl:1
	v_add_f32_e32 v20, v20, v23
	v_add_f32_e32 v17, v17, v18
	v_cvt_f32_i32_dpp v18, v19 row_shl:3 row_mask:0xf bank_mask:0xf bound_ctrl:1
	v_cvt_f32_i32_dpp v15, v15 row_shl:3 row_mask:0xf bank_mask:0xf bound_ctrl:1
	v_cvt_i32_f32_e32 v1, v1
	ds_bpermute_b32 v21, v53, v20
	v_cvt_i32_f32_e32 v2, v2
	v_add_f32_e32 v12, v12, v13
	v_add_f32_e32 v12, v12, v14
	;; [unrolled: 1-line block ×4, first 2 shown]
	v_cvt_f32_i32_dpp v1, v1 row_shl:1 row_mask:0xf bank_mask:0xf bound_ctrl:1
	ds_bpermute_b32 v18, v53, v17
	ds_bpermute_b32 v19, v53, v14
	v_cvt_f32_i32_dpp v2, v2 row_shl:2 row_mask:0xf bank_mask:0xf bound_ctrl:1
	v_cvt_i32_f32_e32 v3, v3
	s_waitcnt lgkmcnt(0)
	v_add_f32_e32 v16, v20, v21
	v_cvt_i32_f32_e32 v20, v9
	v_add_f32_e32 v0, v0, v1
	v_add_f32_e32 v0, v0, v2
	v_cvt_f32_i32_dpp v1, v3 row_shl:3 row_mask:0xf bank_mask:0xf bound_ctrl:1
	v_cvt_i32_f32_e32 v2, v5
	v_add_f32_e32 v12, v17, v18
	v_add_f32_e32 v9, v14, v19
	v_cvt_f32_i32_dpp v14, v20 row_shl:1 row_mask:0xf bank_mask:0xf bound_ctrl:1
	v_cvt_i32_f32_e32 v17, v10
	v_cvt_i32_f32_e32 v3, v6
	;; [unrolled: 1-line block ×4, first 2 shown]
	v_add_f32_e32 v0, v0, v1
	v_cvt_f32_i32_dpp v1, v2 row_shl:1 row_mask:0xf bank_mask:0xf bound_ctrl:1
	v_add_f32_e32 v8, v8, v14
	v_cvt_f32_i32_dpp v14, v17 row_shl:2 row_mask:0xf bank_mask:0xf bound_ctrl:1
	v_cvt_f32_i32_dpp v2, v3 row_shl:2 row_mask:0xf bank_mask:0xf bound_ctrl:1
	;; [unrolled: 1-line block ×4, first 2 shown]
	v_add_f32_e32 v1, v4, v1
	v_add_f32_e32 v8, v8, v14
	;; [unrolled: 1-line block ×5, first 2 shown]
	ds_bpermute_b32 v11, v53, v8
	ds_bpermute_b32 v5, v53, v0
	;; [unrolled: 1-line block ×5, first 2 shown]
	s_waitcnt lgkmcnt(4)
	v_add_f32_e32 v7, v8, v11
	s_waitcnt lgkmcnt(3)
	v_add_f32_e32 v4, v0, v5
	;; [unrolled: 2-line block ×3, first 2 shown]
	ds_bpermute_b32 v10, v54, v9
	ds_bpermute_b32 v8, v54, v7
	;; [unrolled: 1-line block ×4, first 2 shown]
	s_and_saveexec_b64 s[24:25], s[0:1]
	s_cbranch_execz .LBB395_13
; %bb.32:                               ;   in Loop: Header=BB395_14 Depth=1
	s_andn2_b64 vcc, exec, s[14:15]
	v_mov_b32_e32 v0, 0
	v_mov_b32_e32 v18, 0
	;; [unrolled: 1-line block ×6, first 2 shown]
	s_cbranch_vccnz .LBB395_34
; %bb.33:                               ;   in Loop: Header=BB395_14 Depth=1
	v_mul_hi_u32 v0, v44, v55
	v_mul_lo_u32 v0, v0, s20
	v_sub_u32_e32 v0, v44, v0
	v_subrev_u32_e32 v1, s20, v0
	v_cmp_le_u32_e32 vcc, s20, v0
	v_mov_b32_e32 v19, v47
	s_nop 0
	v_cndmask_b32_e32 v0, v0, v1, vcc
	v_subrev_u32_e32 v1, s20, v0
	v_cmp_le_u32_e32 vcc, s20, v0
	s_nop 1
	v_cndmask_b32_e32 v46, v0, v1, vcc
	v_mul_hi_u32 v0, v58, v55
	v_mul_lo_u32 v0, v0, s20
	v_sub_u32_e32 v0, v58, v0
	v_subrev_u32_e32 v1, s20, v0
	v_cmp_le_u32_e32 vcc, s20, v0
	v_lshl_add_u64 v[20:21], v[46:47], 1, s[8:9]
	v_add_u32_e32 v18, s36, v46
	v_cndmask_b32_e32 v0, v0, v1, vcc
	v_subrev_u32_e32 v1, s20, v0
	v_cmp_le_u32_e32 vcc, s20, v0
	v_add_u32_e32 v46, s37, v46
	v_lshl_add_u64 v[24:25], v[18:19], 1, s[8:9]
	v_cndmask_b32_e32 v0, v0, v1, vcc
	v_mov_b32_e32 v1, v47
	v_add_u32_e32 v18, s36, v0
	v_lshl_add_u64 v[28:29], v[46:47], 1, s[8:9]
	v_add_u32_e32 v46, s37, v0
	v_lshl_add_u64 v[22:23], v[0:1], 1, s[8:9]
	v_lshl_add_u64 v[26:27], v[18:19], 1, s[8:9]
	;; [unrolled: 1-line block ×3, first 2 shown]
	global_load_ushort v0, v[20:21], off
	global_load_ushort v18, v[22:23], off
	;; [unrolled: 1-line block ×6, first 2 shown]
.LBB395_34:                             ;   in Loop: Header=BB395_14 Depth=1
	s_waitcnt lgkmcnt(5)
	v_add_f32_e32 v1, v16, v15
	v_mul_f32_e32 v1, s30, v1
	s_waitcnt vmcnt(5)
	v_lshlrev_b32_e32 v0, 16, v0
	v_fmac_f32_e32 v0, s31, v1
	v_and_b32_e32 v1, 0x7f800000, v0
	v_cmp_ne_u32_e32 vcc, s38, v1
                                        ; implicit-def: $vgpr15
	s_and_saveexec_b64 s[4:5], vcc
	s_xor_b64 s[4:5], exec, s[4:5]
; %bb.35:                               ;   in Loop: Header=BB395_14 Depth=1
	v_bfe_u32 v1, v0, 16, 1
	v_add3_u32 v15, v0, v1, s39
                                        ; implicit-def: $vgpr0
; %bb.36:                               ;   in Loop: Header=BB395_14 Depth=1
	s_andn2_saveexec_b64 s[4:5], s[4:5]
; %bb.37:                               ;   in Loop: Header=BB395_14 Depth=1
	v_or_b32_e32 v1, 0x10000, v0
	v_cmp_eq_u32_sdwa vcc, v0, v47 src0_sel:WORD_0 src1_sel:DWORD
	s_nop 1
	v_cndmask_b32_e32 v15, v1, v0, vcc
; %bb.38:                               ;   in Loop: Header=BB395_14 Depth=1
	s_or_b64 exec, exec, s[4:5]
	v_mov_b32_e32 v45, v47
	v_lshl_add_u64 v[0:1], v[44:45], 1, s[10:11]
	v_cmp_gt_u32_e32 vcc, s19, v58
	global_store_short_d16_hi v[0:1], v15, off
	s_and_saveexec_b64 s[26:27], vcc
	s_cbranch_execz .LBB395_44
; %bb.39:                               ;   in Loop: Header=BB395_14 Depth=1
	s_waitcnt lgkmcnt(4)
	v_add_f32_e32 v12, v12, v13
	v_mul_f32_e32 v13, s30, v12
	s_waitcnt vmcnt(5)
	v_lshlrev_b32_e32 v12, 16, v18
	v_fmac_f32_e32 v12, s31, v13
	v_and_b32_e32 v13, 0x7f800000, v12
	v_cmp_ne_u32_e64 s[4:5], s38, v13
                                        ; implicit-def: $vgpr13
	s_and_saveexec_b64 s[28:29], s[4:5]
	s_xor_b64 s[4:5], exec, s[28:29]
; %bb.40:                               ;   in Loop: Header=BB395_14 Depth=1
	v_bfe_u32 v13, v12, 16, 1
	v_add3_u32 v13, v12, v13, s39
                                        ; implicit-def: $vgpr12
; %bb.41:                               ;   in Loop: Header=BB395_14 Depth=1
	s_andn2_saveexec_b64 s[28:29], s[4:5]
; %bb.42:                               ;   in Loop: Header=BB395_14 Depth=1
	v_or_b32_e32 v13, 0x10000, v12
	v_cmp_eq_u32_sdwa s[4:5], v12, v47 src0_sel:WORD_0 src1_sel:DWORD
	s_nop 1
	v_cndmask_b32_e64 v13, v13, v12, s[4:5]
; %bb.43:                               ;   in Loop: Header=BB395_14 Depth=1
	s_or_b64 exec, exec, s[28:29]
	global_store_short_d16_hi v[0:1], v13, off offset:2
.LBB395_44:                             ;   in Loop: Header=BB395_14 Depth=1
	s_or_b64 exec, exec, s[26:27]
	s_waitcnt lgkmcnt(3)
	v_add_f32_e32 v0, v9, v10
	v_mul_f32_e32 v1, s30, v0
	s_waitcnt vmcnt(4)
	v_lshlrev_b32_e32 v0, 16, v17
	v_fmac_f32_e32 v0, s31, v1
	v_and_b32_e32 v1, 0x7f800000, v0
	v_cmp_ne_u32_e64 s[4:5], s38, v1
                                        ; implicit-def: $vgpr1
	s_and_saveexec_b64 s[26:27], s[4:5]
	s_xor_b64 s[4:5], exec, s[26:27]
; %bb.45:                               ;   in Loop: Header=BB395_14 Depth=1
	v_bfe_u32 v1, v0, 16, 1
	v_add3_u32 v1, v0, v1, s39
                                        ; implicit-def: $vgpr0
; %bb.46:                               ;   in Loop: Header=BB395_14 Depth=1
	s_andn2_saveexec_b64 s[26:27], s[4:5]
; %bb.47:                               ;   in Loop: Header=BB395_14 Depth=1
	v_or_b32_e32 v1, 0x10000, v0
	v_cmp_eq_u32_sdwa s[4:5], v0, v47 src0_sel:WORD_0 src1_sel:DWORD
	s_nop 1
	v_cndmask_b32_e64 v1, v1, v0, s[4:5]
; %bb.48:                               ;   in Loop: Header=BB395_14 Depth=1
	s_or_b64 exec, exec, s[26:27]
	v_add_u32_e32 v46, s19, v44
	v_lshl_add_u64 v[12:13], v[46:47], 1, s[10:11]
	global_store_short_d16_hi v[12:13], v1, off
	s_and_saveexec_b64 s[26:27], vcc
	s_cbranch_execz .LBB395_54
; %bb.49:                               ;   in Loop: Header=BB395_14 Depth=1
	s_waitcnt lgkmcnt(2)
	v_add_f32_e32 v0, v7, v8
	v_mul_f32_e32 v0, s30, v0
	s_waitcnt vmcnt(4)
	v_lshlrev_b32_e32 v1, 16, v14
	v_fmac_f32_e32 v1, s31, v0
	v_and_b32_e32 v0, 0x7f800000, v1
	v_cmp_ne_u32_e64 s[4:5], s38, v0
                                        ; implicit-def: $vgpr0
	s_and_saveexec_b64 s[28:29], s[4:5]
	s_xor_b64 s[4:5], exec, s[28:29]
; %bb.50:                               ;   in Loop: Header=BB395_14 Depth=1
	v_bfe_u32 v0, v1, 16, 1
	v_add3_u32 v0, v1, v0, s39
                                        ; implicit-def: $vgpr1
; %bb.51:                               ;   in Loop: Header=BB395_14 Depth=1
	s_andn2_saveexec_b64 s[28:29], s[4:5]
; %bb.52:                               ;   in Loop: Header=BB395_14 Depth=1
	v_or_b32_e32 v0, 0x10000, v1
	v_cmp_eq_u32_sdwa s[4:5], v1, v47 src0_sel:WORD_0 src1_sel:DWORD
	s_nop 1
	v_cndmask_b32_e64 v0, v0, v1, s[4:5]
; %bb.53:                               ;   in Loop: Header=BB395_14 Depth=1
	s_or_b64 exec, exec, s[28:29]
	v_add_u32_e32 v8, s19, v58
	v_mov_b32_e32 v9, v47
	v_lshl_add_u64 v[8:9], v[8:9], 1, s[10:11]
	global_store_short_d16_hi v[8:9], v0, off
.LBB395_54:                             ;   in Loop: Header=BB395_14 Depth=1
	s_or_b64 exec, exec, s[26:27]
	s_waitcnt lgkmcnt(1)
	v_add_f32_e32 v0, v4, v5
	v_mul_f32_e32 v1, s30, v0
	s_waitcnt vmcnt(3)
	v_lshlrev_b32_e32 v0, 16, v11
	v_fmac_f32_e32 v0, s31, v1
	v_and_b32_e32 v1, 0x7f800000, v0
	v_cmp_ne_u32_e64 s[4:5], s38, v1
                                        ; implicit-def: $vgpr1
	s_and_saveexec_b64 s[26:27], s[4:5]
	s_xor_b64 s[4:5], exec, s[26:27]
; %bb.55:                               ;   in Loop: Header=BB395_14 Depth=1
	v_bfe_u32 v1, v0, 16, 1
	v_add3_u32 v1, v0, v1, s39
                                        ; implicit-def: $vgpr0
; %bb.56:                               ;   in Loop: Header=BB395_14 Depth=1
	s_andn2_saveexec_b64 s[26:27], s[4:5]
; %bb.57:                               ;   in Loop: Header=BB395_14 Depth=1
	v_or_b32_e32 v1, 0x10000, v0
	v_cmp_eq_u32_sdwa s[4:5], v0, v47 src0_sel:WORD_0 src1_sel:DWORD
	s_nop 1
	v_cndmask_b32_e64 v1, v1, v0, s[4:5]
; %bb.58:                               ;   in Loop: Header=BB395_14 Depth=1
	s_or_b64 exec, exec, s[26:27]
	v_add_u32_e32 v46, s19, v46
	v_lshl_add_u64 v[4:5], v[46:47], 1, s[10:11]
	global_store_short_d16_hi v[4:5], v1, off
	s_and_b64 exec, exec, vcc
	s_cbranch_execz .LBB395_13
; %bb.59:                               ;   in Loop: Header=BB395_14 Depth=1
	s_waitcnt lgkmcnt(0)
	v_add_f32_e32 v0, v2, v3
	v_mul_f32_e32 v0, s30, v0
	s_waitcnt vmcnt(3)
	v_lshlrev_b32_e32 v1, 16, v6
	v_fmac_f32_e32 v1, s31, v0
	v_and_b32_e32 v0, 0x7f800000, v1
	v_cmp_ne_u32_e32 vcc, s38, v0
                                        ; implicit-def: $vgpr0
	s_and_saveexec_b64 s[4:5], vcc
	s_xor_b64 s[4:5], exec, s[4:5]
; %bb.60:                               ;   in Loop: Header=BB395_14 Depth=1
	v_bfe_u32 v0, v1, 16, 1
	v_add3_u32 v0, v1, v0, s39
                                        ; implicit-def: $vgpr1
; %bb.61:                               ;   in Loop: Header=BB395_14 Depth=1
	s_andn2_saveexec_b64 s[4:5], s[4:5]
	s_cbranch_execz .LBB395_12
; %bb.62:                               ;   in Loop: Header=BB395_14 Depth=1
	v_or_b32_e32 v0, 0x10000, v1
	v_cmp_eq_u32_sdwa vcc, v1, v47 src0_sel:WORD_0 src1_sel:DWORD
	s_nop 1
	v_cndmask_b32_e32 v0, v0, v1, vcc
	s_branch .LBB395_12
.LBB395_63:
	s_endpgm
	.section	.rodata,"a",@progbits
	.p2align	6, 0x0
	.amdhsa_kernel _Z13wvSplitKQ_hf_I14__hip_bfloat16N3c1015Float8_e4m3fnuzELi32ELi2ELi16ELi16ELi1ELi3EEviiiiiiPKT0_S5_PKT_PS6_PKfSB_ii
		.amdhsa_group_segment_fixed_size 65536
		.amdhsa_private_segment_fixed_size 0
		.amdhsa_kernarg_size 80
		.amdhsa_user_sgpr_count 2
		.amdhsa_user_sgpr_dispatch_ptr 0
		.amdhsa_user_sgpr_queue_ptr 0
		.amdhsa_user_sgpr_kernarg_segment_ptr 1
		.amdhsa_user_sgpr_dispatch_id 0
		.amdhsa_user_sgpr_kernarg_preload_length 0
		.amdhsa_user_sgpr_kernarg_preload_offset 0
		.amdhsa_user_sgpr_private_segment_size 0
		.amdhsa_uses_dynamic_stack 0
		.amdhsa_enable_private_segment 0
		.amdhsa_system_sgpr_workgroup_id_x 1
		.amdhsa_system_sgpr_workgroup_id_y 0
		.amdhsa_system_sgpr_workgroup_id_z 0
		.amdhsa_system_sgpr_workgroup_info 0
		.amdhsa_system_vgpr_workitem_id 1
		.amdhsa_next_free_vgpr 59
		.amdhsa_next_free_sgpr 40
		.amdhsa_accum_offset 60
		.amdhsa_reserve_vcc 1
		.amdhsa_float_round_mode_32 0
		.amdhsa_float_round_mode_16_64 0
		.amdhsa_float_denorm_mode_32 3
		.amdhsa_float_denorm_mode_16_64 3
		.amdhsa_dx10_clamp 1
		.amdhsa_ieee_mode 1
		.amdhsa_fp16_overflow 0
		.amdhsa_tg_split 0
		.amdhsa_exception_fp_ieee_invalid_op 0
		.amdhsa_exception_fp_denorm_src 0
		.amdhsa_exception_fp_ieee_div_zero 0
		.amdhsa_exception_fp_ieee_overflow 0
		.amdhsa_exception_fp_ieee_underflow 0
		.amdhsa_exception_fp_ieee_inexact 0
		.amdhsa_exception_int_div_zero 0
	.end_amdhsa_kernel
	.section	.text._Z13wvSplitKQ_hf_I14__hip_bfloat16N3c1015Float8_e4m3fnuzELi32ELi2ELi16ELi16ELi1ELi3EEviiiiiiPKT0_S5_PKT_PS6_PKfSB_ii,"axG",@progbits,_Z13wvSplitKQ_hf_I14__hip_bfloat16N3c1015Float8_e4m3fnuzELi32ELi2ELi16ELi16ELi1ELi3EEviiiiiiPKT0_S5_PKT_PS6_PKfSB_ii,comdat
.Lfunc_end395:
	.size	_Z13wvSplitKQ_hf_I14__hip_bfloat16N3c1015Float8_e4m3fnuzELi32ELi2ELi16ELi16ELi1ELi3EEviiiiiiPKT0_S5_PKT_PS6_PKfSB_ii, .Lfunc_end395-_Z13wvSplitKQ_hf_I14__hip_bfloat16N3c1015Float8_e4m3fnuzELi32ELi2ELi16ELi16ELi1ELi3EEviiiiiiPKT0_S5_PKT_PS6_PKfSB_ii
                                        ; -- End function
	.section	.AMDGPU.csdata,"",@progbits
; Kernel info:
; codeLenInByte = 3012
; NumSgprs: 46
; NumVgprs: 59
; NumAgprs: 0
; TotalNumVgprs: 59
; ScratchSize: 0
; MemoryBound: 1
; FloatMode: 240
; IeeeMode: 1
; LDSByteSize: 65536 bytes/workgroup (compile time only)
; SGPRBlocks: 5
; VGPRBlocks: 7
; NumSGPRsForWavesPerEU: 46
; NumVGPRsForWavesPerEU: 59
; AccumOffset: 60
; Occupancy: 2
; WaveLimiterHint : 0
; COMPUTE_PGM_RSRC2:SCRATCH_EN: 0
; COMPUTE_PGM_RSRC2:USER_SGPR: 2
; COMPUTE_PGM_RSRC2:TRAP_HANDLER: 0
; COMPUTE_PGM_RSRC2:TGID_X_EN: 1
; COMPUTE_PGM_RSRC2:TGID_Y_EN: 0
; COMPUTE_PGM_RSRC2:TGID_Z_EN: 0
; COMPUTE_PGM_RSRC2:TIDIG_COMP_CNT: 1
; COMPUTE_PGM_RSRC3_GFX90A:ACCUM_OFFSET: 14
; COMPUTE_PGM_RSRC3_GFX90A:TG_SPLIT: 0
	.section	.text._Z17wvSplitKQ_hf_sml_I14__hip_bfloat16N3c1015Float8_e4m3fnuzELi64ELi2ELi16ELi16ELi1ELi3EEviiiiiiPKT0_S5_PKT_PS6_PKfSB_ii,"axG",@progbits,_Z17wvSplitKQ_hf_sml_I14__hip_bfloat16N3c1015Float8_e4m3fnuzELi64ELi2ELi16ELi16ELi1ELi3EEviiiiiiPKT0_S5_PKT_PS6_PKfSB_ii,comdat
	.protected	_Z17wvSplitKQ_hf_sml_I14__hip_bfloat16N3c1015Float8_e4m3fnuzELi64ELi2ELi16ELi16ELi1ELi3EEviiiiiiPKT0_S5_PKT_PS6_PKfSB_ii ; -- Begin function _Z17wvSplitKQ_hf_sml_I14__hip_bfloat16N3c1015Float8_e4m3fnuzELi64ELi2ELi16ELi16ELi1ELi3EEviiiiiiPKT0_S5_PKT_PS6_PKfSB_ii
	.globl	_Z17wvSplitKQ_hf_sml_I14__hip_bfloat16N3c1015Float8_e4m3fnuzELi64ELi2ELi16ELi16ELi1ELi3EEviiiiiiPKT0_S5_PKT_PS6_PKfSB_ii
	.p2align	8
	.type	_Z17wvSplitKQ_hf_sml_I14__hip_bfloat16N3c1015Float8_e4m3fnuzELi64ELi2ELi16ELi16ELi1ELi3EEviiiiiiPKT0_S5_PKT_PS6_PKfSB_ii,@function
_Z17wvSplitKQ_hf_sml_I14__hip_bfloat16N3c1015Float8_e4m3fnuzELi64ELi2ELi16ELi16ELi1ELi3EEviiiiiiPKT0_S5_PKT_PS6_PKfSB_ii: ; @_Z17wvSplitKQ_hf_sml_I14__hip_bfloat16N3c1015Float8_e4m3fnuzELi64ELi2ELi16ELi16ELi1ELi3EEviiiiiiPKT0_S5_PKT_PS6_PKfSB_ii
; %bb.0:
	s_load_dwordx4 s[8:11], s[0:1], 0x0
	s_load_dwordx2 s[12:13], s[0:1], 0x10
	s_load_dwordx4 s[4:7], s[0:1], 0x38
	s_load_dwordx2 s[14:15], s[0:1], 0x28
	v_and_b32_e32 v2, 0x3ff, v0
	v_bfe_u32 v3, v0, 10, 10
	v_lshlrev_b32_e32 v44, 4, v2
	s_waitcnt lgkmcnt(0)
	s_mul_i32 s3, s9, 3
	v_lshl_add_u32 v4, v3, 10, v44
	s_min_u32 s3, s3, 0x10000
	v_cmp_gt_u32_e32 vcc, s3, v4
	s_and_saveexec_b64 s[16:17], vcc
	s_cbranch_execz .LBB396_3
; %bb.1:
	s_load_dwordx2 s[18:19], s[0:1], 0x20
	v_mov_b32_e32 v1, 0
	v_lshlrev_b32_e32 v0, 10, v3
	v_mov_b32_e32 v45, v1
	v_lshl_add_u64 v[0:1], v[0:1], 0, v[44:45]
	s_waitcnt lgkmcnt(0)
	v_lshl_add_u64 v[0:1], s[18:19], 0, v[0:1]
	s_mov_b64 s[18:19], 0
	s_mov_b64 s[20:21], 0x4000
.LBB396_2:                              ; =>This Inner Loop Header: Depth=1
	global_load_dwordx4 v[6:9], v[0:1], off
	v_lshl_add_u64 v[0:1], v[0:1], 0, s[20:21]
	s_waitcnt vmcnt(0)
	ds_write_b128 v4, v[6:9]
	v_add_u32_e32 v4, 0x4000, v4
	v_cmp_le_u32_e32 vcc, s3, v4
	s_or_b64 s[18:19], vcc, s[18:19]
	s_andn2_b64 exec, exec, s[18:19]
	s_cbranch_execnz .LBB396_2
.LBB396_3:
	s_or_b64 exec, exec, s[16:17]
	s_load_dwordx2 s[20:21], s[0:1], 0x48
	;;#ASMSTART
	s_waitcnt vmcnt(0)
	;;#ASMEND
	s_waitcnt lgkmcnt(0)
	s_barrier
	v_cmp_gt_u32_e32 vcc, s20, v3
	s_and_saveexec_b64 s[16:17], vcc
	s_cbranch_execz .LBB396_45
; %bb.4:
	s_mul_i32 s2, s2, s20
	v_add_lshl_u32 v46, s2, v3, 1
	v_cmp_gt_u32_e32 vcc, s11, v46
	s_and_b64 exec, exec, vcc
	s_cbranch_execz .LBB396_45
; %bb.5:
	v_mbcnt_lo_u32_b32 v0, -1, 0
	v_mbcnt_hi_u32_b32 v0, -1, v0
	s_cmp_lg_u32 s8, 0
	v_and_b32_e32 v1, 63, v0
	s_cselect_b64 s[2:3], -1, 0
	s_add_i32 s30, s8, -16
	s_add_i32 s31, s11, -1
	v_cmp_lt_u32_e32 vcc, 43, v1
	s_load_dword s28, s[4:5], 0x0
	s_load_dword s29, s[6:7], 0x0
	s_load_dwordx2 s[16:17], s[0:1], 0x18
	s_load_dwordx2 s[18:19], s[0:1], 0x30
	s_mul_i32 s4, s20, s21
	v_cndmask_b32_e64 v3, 20, 0, vcc
	v_cmp_lt_u32_e32 vcc, 23, v1
	s_cmp_lg_u64 s[14:15], 0
	s_cselect_b64 s[20:21], -1, 0
	v_cndmask_b32_e64 v1, 40, 0, vcc
	s_lshl_b32 s33, s4, 1
	s_abs_i32 s4, s13
	v_add_lshl_u32 v45, v3, v0, 2
	v_add_lshl_u32 v54, v1, v0, 2
	v_cvt_f32_u32_e32 v0, s12
	v_cvt_f32_u32_e32 v1, s4
	s_sub_i32 s5, 0, s12
	v_cmp_eq_u32_e64 s[0:1], 0, v2
	v_rcp_iflag_f32_e32 v0, v0
	v_rcp_iflag_f32_e32 v1, v1
	s_lshl_b32 s13, s11, 1
	s_mov_b64 s[6:7], 0
	v_mul_f32_e32 v0, 0x4f7ffffe, v0
	v_mul_f32_e32 v1, 0x4f7ffffe, v1
	v_cvt_u32_f32_e32 v0, v0
	v_cvt_u32_f32_e32 v1, v1
	v_mov_b32_e32 v49, 0
	v_lshl_add_u32 v56, s9, 1, v44
	v_mul_lo_u32 v2, s5, v0
	s_sub_i32 s5, 0, s4
	v_readfirstlane_b32 s22, v1
	s_mul_i32 s5, s5, s22
	s_mul_hi_u32 s5, s22, s5
	s_add_i32 s22, s22, s5
	s_sub_i32 s5, 1, s4
	s_cmp_lt_u32 s4, 2
	s_cselect_b32 s5, s5, 1
	s_sub_i32 s23, s5, s4
	s_cmp_ge_u32 s5, s4
	s_cselect_b32 s34, s23, s5
	s_lshr_b32 s5, s22, 31
	s_mul_i32 s5, s5, s4
	s_sub_i32 s5, 2, s5
	s_sub_i32 s22, s5, s4
	s_cmp_ge_u32 s5, s4
	s_cselect_b32 s5, s22, s5
	s_sub_i32 s22, s5, s4
	v_mul_hi_u32 v2, v0, v2
	s_cmp_ge_u32 s5, s4
	v_add_u32_e32 v55, v0, v2
	s_cselect_b32 s35, s22, s5
	v_cndmask_b32_e64 v0, 0, 1, s[2:3]
	s_mul_i32 s34, s34, s12
	s_mul_i32 s35, s35, s12
	v_add_u32_e32 v57, s9, v44
	v_cmp_ne_u32_e64 s[2:3], 1, v0
	s_mov_b32 s9, 0x7f800000
	s_movk_i32 s36, 0x7fff
	s_branch .LBB396_8
.LBB396_6:                              ;   in Loop: Header=BB396_8 Depth=1
	s_or_b64 exec, exec, s[4:5]
	v_add_u32_e32 v48, s13, v58
	v_lshl_add_u64 v[2:3], v[48:49], 1, s[18:19]
	global_store_short_d16_hi v[2:3], v0, off
.LBB396_7:                              ;   in Loop: Header=BB396_8 Depth=1
	s_or_b64 exec, exec, s[22:23]
	v_add_u32_e32 v46, s33, v46
	v_cmp_le_u32_e32 vcc, s11, v46
	s_or_b64 s[6:7], vcc, s[6:7]
	s_andn2_b64 exec, exec, s[6:7]
	s_cbranch_execz .LBB396_45
.LBB396_8:                              ; =>This Loop Header: Depth=1
                                        ;     Child Loop BB396_11 Depth 2
	s_and_b64 vcc, exec, s[2:3]
	v_or_b32_e32 v58, 1, v46
	v_mov_b32_e32 v23, v49
	v_mov_b32_e32 v22, v49
	;; [unrolled: 1-line block ×8, first 2 shown]
	s_waitcnt lgkmcnt(0)
	v_mov_b32_e32 v15, v49
	v_mov_b32_e32 v14, v49
	;; [unrolled: 1-line block ×13, first 2 shown]
	s_waitcnt vmcnt(3)
	v_mov_b32_e32 v6, v49
	v_mov_b32_e32 v5, v49
	;; [unrolled: 1-line block ×3, first 2 shown]
	s_cbranch_vccnz .LBB396_13
; %bb.9:                                ;   in Loop: Header=BB396_8 Depth=1
	v_min_u32_e32 v0, s31, v46
	v_mul_lo_u32 v50, v0, s10
	v_min_u32_e32 v0, s31, v58
	v_mov_b32_e32 v4, 0
	v_mov_b32_e32 v51, v49
	v_mul_lo_u32 v52, v0, s10
	v_mov_b32_e32 v53, v49
	s_mov_b32 s22, 0
	v_mov_b32_e32 v5, v4
	v_mov_b32_e32 v6, v4
	;; [unrolled: 1-line block ×23, first 2 shown]
	s_branch .LBB396_11
.LBB396_10:                             ;   in Loop: Header=BB396_11 Depth=2
	s_or_b64 exec, exec, s[4:5]
	s_waitcnt vmcnt(1) lgkmcnt(2)
	v_mfma_f32_16x16x32_fp8_fp8 v[20:23], v[36:37], v[28:29], v[20:23]
	s_addk_i32 s22, 0x400
	s_cmp_ge_u32 s22, s8
	s_waitcnt vmcnt(0)
	v_mfma_f32_16x16x32_fp8_fp8 v[16:19], v[36:37], v[24:25], v[16:19]
	s_waitcnt lgkmcnt(1)
	v_mfma_f32_16x16x32_fp8_fp8 v[12:15], v[40:41], v[28:29], v[12:15]
	v_mfma_f32_16x16x32_fp8_fp8 v[8:11], v[40:41], v[24:25], v[8:11]
	s_waitcnt lgkmcnt(0)
	v_mfma_f32_16x16x32_fp8_fp8 v[0:3], v[32:33], v[28:29], v[0:3]
	v_mfma_f32_16x16x32_fp8_fp8 v[4:7], v[32:33], v[24:25], v[4:7]
	;; [unrolled: 1-line block ×8, first 2 shown]
	s_cbranch_scc1 .LBB396_13
.LBB396_11:                             ;   Parent Loop BB396_8 Depth=1
                                        ; =>  This Inner Loop Header: Depth=2
	v_add_u32_e32 v47, s22, v44
	v_min_u32_e32 v48, s30, v47
	s_waitcnt lgkmcnt(0)
	v_lshl_add_u64 v[24:25], s[16:17], 0, v[48:49]
	v_lshl_add_u64 v[32:33], v[24:25], 0, v[50:51]
	;; [unrolled: 1-line block ×3, first 2 shown]
	global_load_dwordx4 v[28:31], v[32:33], off nt
	global_load_dwordx4 v[24:27], v[34:35], off nt
	v_mov_b64_e32 v[36:37], 0
	v_cmp_gt_u32_e32 vcc, s8, v47
	v_mov_b64_e32 v[38:39], v[36:37]
	v_mov_b64_e32 v[40:41], v[36:37]
	;; [unrolled: 1-line block ×5, first 2 shown]
	s_and_saveexec_b64 s[4:5], vcc
	s_cbranch_execz .LBB396_10
; %bb.12:                               ;   in Loop: Header=BB396_11 Depth=2
	v_add_u32_e32 v32, s22, v57
	ds_read_b128 v[36:39], v47
	ds_read_b128 v[40:43], v32
	v_add_u32_e32 v32, s22, v56
	ds_read_b128 v[32:35], v32
	s_branch .LBB396_10
.LBB396_13:                             ;   in Loop: Header=BB396_8 Depth=1
	s_nop 0
	v_cvt_i32_f32_e32 v21, v21
	v_cvt_i32_f32_e32 v22, v22
	;; [unrolled: 1-line block ×5, first 2 shown]
	v_cvt_f32_i32_dpp v21, v21 row_shl:1 row_mask:0xf bank_mask:0xf bound_ctrl:1
	v_cvt_i32_f32_e32 v13, v13
	v_cvt_f32_i32_dpp v22, v22 row_shl:2 row_mask:0xf bank_mask:0xf bound_ctrl:1
	v_cvt_f32_i32_dpp v17, v17 row_shl:1 row_mask:0xf bank_mask:0xf bound_ctrl:1
	v_cvt_i32_f32_e32 v14, v14
	v_cvt_f32_i32_dpp v23, v23 row_shl:3 row_mask:0xf bank_mask:0xf bound_ctrl:1
	v_cvt_f32_i32_dpp v18, v18 row_shl:2 row_mask:0xf bank_mask:0xf bound_ctrl:1
	v_cvt_i32_f32_e32 v19, v19
	v_cvt_i32_f32_e32 v15, v15
	v_add_f32_e32 v20, v20, v21
	v_cvt_f32_i32_dpp v13, v13 row_shl:1 row_mask:0xf bank_mask:0xf bound_ctrl:1
	v_add_f32_e32 v20, v20, v22
	v_add_f32_e32 v17, v16, v17
	v_cvt_f32_i32_dpp v14, v14 row_shl:2 row_mask:0xf bank_mask:0xf bound_ctrl:1
	v_add_f32_e32 v20, v20, v23
	v_add_f32_e32 v17, v17, v18
	v_cvt_f32_i32_dpp v18, v19 row_shl:3 row_mask:0xf bank_mask:0xf bound_ctrl:1
	v_cvt_f32_i32_dpp v15, v15 row_shl:3 row_mask:0xf bank_mask:0xf bound_ctrl:1
	v_cvt_i32_f32_e32 v1, v1
	ds_bpermute_b32 v21, v45, v20
	v_cvt_i32_f32_e32 v2, v2
	v_add_f32_e32 v12, v12, v13
	v_add_f32_e32 v12, v12, v14
	;; [unrolled: 1-line block ×4, first 2 shown]
	v_cvt_f32_i32_dpp v1, v1 row_shl:1 row_mask:0xf bank_mask:0xf bound_ctrl:1
	ds_bpermute_b32 v18, v45, v17
	ds_bpermute_b32 v19, v45, v14
	v_cvt_f32_i32_dpp v2, v2 row_shl:2 row_mask:0xf bank_mask:0xf bound_ctrl:1
	v_cvt_i32_f32_e32 v3, v3
	s_waitcnt lgkmcnt(0)
	v_add_f32_e32 v16, v20, v21
	v_cvt_i32_f32_e32 v20, v9
	v_add_f32_e32 v0, v0, v1
	v_add_f32_e32 v0, v0, v2
	v_cvt_f32_i32_dpp v1, v3 row_shl:3 row_mask:0xf bank_mask:0xf bound_ctrl:1
	v_cvt_i32_f32_e32 v2, v5
	v_add_f32_e32 v12, v17, v18
	v_add_f32_e32 v9, v14, v19
	v_cvt_f32_i32_dpp v14, v20 row_shl:1 row_mask:0xf bank_mask:0xf bound_ctrl:1
	v_cvt_i32_f32_e32 v17, v10
	v_cvt_i32_f32_e32 v3, v6
	v_cvt_i32_f32_e32 v11, v11
	v_cvt_i32_f32_e32 v5, v7
	v_add_f32_e32 v0, v0, v1
	v_cvt_f32_i32_dpp v1, v2 row_shl:1 row_mask:0xf bank_mask:0xf bound_ctrl:1
	v_add_f32_e32 v8, v8, v14
	v_cvt_f32_i32_dpp v14, v17 row_shl:2 row_mask:0xf bank_mask:0xf bound_ctrl:1
	v_cvt_f32_i32_dpp v2, v3 row_shl:2 row_mask:0xf bank_mask:0xf bound_ctrl:1
	v_cvt_f32_i32_dpp v11, v11 row_shl:3 row_mask:0xf bank_mask:0xf bound_ctrl:1
	v_cvt_f32_i32_dpp v3, v5 row_shl:3 row_mask:0xf bank_mask:0xf bound_ctrl:1
	v_add_f32_e32 v1, v4, v1
	v_add_f32_e32 v8, v8, v14
	;; [unrolled: 1-line block ×5, first 2 shown]
	ds_bpermute_b32 v11, v45, v8
	ds_bpermute_b32 v5, v45, v0
	ds_bpermute_b32 v2, v45, v1
	ds_bpermute_b32 v15, v54, v16
	ds_bpermute_b32 v13, v54, v12
	s_waitcnt lgkmcnt(4)
	v_add_f32_e32 v7, v8, v11
	s_waitcnt lgkmcnt(3)
	v_add_f32_e32 v4, v0, v5
	;; [unrolled: 2-line block ×3, first 2 shown]
	ds_bpermute_b32 v10, v54, v9
	ds_bpermute_b32 v8, v54, v7
	;; [unrolled: 1-line block ×4, first 2 shown]
	s_and_saveexec_b64 s[22:23], s[0:1]
	s_cbranch_execz .LBB396_7
; %bb.14:                               ;   in Loop: Header=BB396_8 Depth=1
	s_andn2_b64 vcc, exec, s[20:21]
	v_mov_b32_e32 v0, 0
	v_mov_b32_e32 v18, 0
	;; [unrolled: 1-line block ×6, first 2 shown]
	s_cbranch_vccnz .LBB396_16
; %bb.15:                               ;   in Loop: Header=BB396_8 Depth=1
	v_mul_hi_u32 v0, v46, v55
	v_mul_lo_u32 v0, v0, s12
	v_sub_u32_e32 v0, v46, v0
	v_subrev_u32_e32 v1, s12, v0
	v_cmp_le_u32_e32 vcc, s12, v0
	v_mov_b32_e32 v19, v49
	s_nop 0
	v_cndmask_b32_e32 v0, v0, v1, vcc
	v_subrev_u32_e32 v1, s12, v0
	v_cmp_le_u32_e32 vcc, s12, v0
	s_nop 1
	v_cndmask_b32_e32 v48, v0, v1, vcc
	v_mul_hi_u32 v0, v58, v55
	v_mul_lo_u32 v0, v0, s12
	v_sub_u32_e32 v0, v58, v0
	v_subrev_u32_e32 v1, s12, v0
	v_cmp_le_u32_e32 vcc, s12, v0
	v_lshl_add_u64 v[20:21], v[48:49], 1, s[14:15]
	v_add_u32_e32 v18, s34, v48
	v_cndmask_b32_e32 v0, v0, v1, vcc
	v_subrev_u32_e32 v1, s12, v0
	v_cmp_le_u32_e32 vcc, s12, v0
	v_add_u32_e32 v48, s35, v48
	v_lshl_add_u64 v[24:25], v[18:19], 1, s[14:15]
	v_cndmask_b32_e32 v0, v0, v1, vcc
	v_mov_b32_e32 v1, v49
	v_add_u32_e32 v18, s34, v0
	v_lshl_add_u64 v[28:29], v[48:49], 1, s[14:15]
	v_add_u32_e32 v48, s35, v0
	v_lshl_add_u64 v[22:23], v[0:1], 1, s[14:15]
	v_lshl_add_u64 v[26:27], v[18:19], 1, s[14:15]
	;; [unrolled: 1-line block ×3, first 2 shown]
	global_load_ushort v0, v[20:21], off
	global_load_ushort v18, v[22:23], off
	;; [unrolled: 1-line block ×6, first 2 shown]
.LBB396_16:                             ;   in Loop: Header=BB396_8 Depth=1
	s_waitcnt lgkmcnt(5)
	v_add_f32_e32 v1, v16, v15
	v_mul_f32_e32 v1, s28, v1
	s_waitcnt vmcnt(5)
	v_lshlrev_b32_e32 v0, 16, v0
	v_fmac_f32_e32 v0, s29, v1
	v_and_b32_e32 v1, 0x7f800000, v0
	v_cmp_ne_u32_e32 vcc, s9, v1
                                        ; implicit-def: $vgpr15
	s_and_saveexec_b64 s[4:5], vcc
	s_xor_b64 s[4:5], exec, s[4:5]
; %bb.17:                               ;   in Loop: Header=BB396_8 Depth=1
	v_bfe_u32 v1, v0, 16, 1
	v_add3_u32 v15, v0, v1, s36
                                        ; implicit-def: $vgpr0
; %bb.18:                               ;   in Loop: Header=BB396_8 Depth=1
	s_andn2_saveexec_b64 s[4:5], s[4:5]
; %bb.19:                               ;   in Loop: Header=BB396_8 Depth=1
	v_or_b32_e32 v1, 0x10000, v0
	v_cmp_eq_u32_sdwa vcc, v0, v49 src0_sel:WORD_0 src1_sel:DWORD
	s_nop 1
	v_cndmask_b32_e32 v15, v1, v0, vcc
; %bb.20:                               ;   in Loop: Header=BB396_8 Depth=1
	s_or_b64 exec, exec, s[4:5]
	v_mov_b32_e32 v47, v49
	v_lshl_add_u64 v[0:1], v[46:47], 1, s[18:19]
	v_cmp_gt_u32_e32 vcc, s11, v58
	global_store_short_d16_hi v[0:1], v15, off
	s_and_saveexec_b64 s[24:25], vcc
	s_cbranch_execz .LBB396_26
; %bb.21:                               ;   in Loop: Header=BB396_8 Depth=1
	s_waitcnt lgkmcnt(4)
	v_add_f32_e32 v12, v12, v13
	v_mul_f32_e32 v13, s28, v12
	s_waitcnt vmcnt(5)
	v_lshlrev_b32_e32 v12, 16, v18
	v_fmac_f32_e32 v12, s29, v13
	v_and_b32_e32 v13, 0x7f800000, v12
	v_cmp_ne_u32_e64 s[4:5], s9, v13
                                        ; implicit-def: $vgpr13
	s_and_saveexec_b64 s[26:27], s[4:5]
	s_xor_b64 s[4:5], exec, s[26:27]
; %bb.22:                               ;   in Loop: Header=BB396_8 Depth=1
	v_bfe_u32 v13, v12, 16, 1
	v_add3_u32 v13, v12, v13, s36
                                        ; implicit-def: $vgpr12
; %bb.23:                               ;   in Loop: Header=BB396_8 Depth=1
	s_andn2_saveexec_b64 s[26:27], s[4:5]
; %bb.24:                               ;   in Loop: Header=BB396_8 Depth=1
	v_or_b32_e32 v13, 0x10000, v12
	v_cmp_eq_u32_sdwa s[4:5], v12, v49 src0_sel:WORD_0 src1_sel:DWORD
	s_nop 1
	v_cndmask_b32_e64 v13, v13, v12, s[4:5]
; %bb.25:                               ;   in Loop: Header=BB396_8 Depth=1
	s_or_b64 exec, exec, s[26:27]
	global_store_short_d16_hi v[0:1], v13, off offset:2
.LBB396_26:                             ;   in Loop: Header=BB396_8 Depth=1
	s_or_b64 exec, exec, s[24:25]
	s_waitcnt lgkmcnt(3)
	v_add_f32_e32 v0, v9, v10
	v_mul_f32_e32 v1, s28, v0
	s_waitcnt vmcnt(4)
	v_lshlrev_b32_e32 v0, 16, v17
	v_fmac_f32_e32 v0, s29, v1
	v_and_b32_e32 v1, 0x7f800000, v0
	v_cmp_ne_u32_e64 s[4:5], s9, v1
                                        ; implicit-def: $vgpr1
	s_and_saveexec_b64 s[24:25], s[4:5]
	s_xor_b64 s[4:5], exec, s[24:25]
; %bb.27:                               ;   in Loop: Header=BB396_8 Depth=1
	v_bfe_u32 v1, v0, 16, 1
	v_add3_u32 v1, v0, v1, s36
                                        ; implicit-def: $vgpr0
; %bb.28:                               ;   in Loop: Header=BB396_8 Depth=1
	s_andn2_saveexec_b64 s[24:25], s[4:5]
; %bb.29:                               ;   in Loop: Header=BB396_8 Depth=1
	v_or_b32_e32 v1, 0x10000, v0
	v_cmp_eq_u32_sdwa s[4:5], v0, v49 src0_sel:WORD_0 src1_sel:DWORD
	s_nop 1
	v_cndmask_b32_e64 v1, v1, v0, s[4:5]
; %bb.30:                               ;   in Loop: Header=BB396_8 Depth=1
	s_or_b64 exec, exec, s[24:25]
	v_add_u32_e32 v48, s11, v46
	v_lshl_add_u64 v[12:13], v[48:49], 1, s[18:19]
	global_store_short_d16_hi v[12:13], v1, off
	s_and_saveexec_b64 s[24:25], vcc
	s_cbranch_execz .LBB396_36
; %bb.31:                               ;   in Loop: Header=BB396_8 Depth=1
	s_waitcnt lgkmcnt(2)
	v_add_f32_e32 v0, v7, v8
	v_mul_f32_e32 v0, s28, v0
	s_waitcnt vmcnt(4)
	v_lshlrev_b32_e32 v1, 16, v14
	v_fmac_f32_e32 v1, s29, v0
	v_and_b32_e32 v0, 0x7f800000, v1
	v_cmp_ne_u32_e64 s[4:5], s9, v0
                                        ; implicit-def: $vgpr0
	s_and_saveexec_b64 s[26:27], s[4:5]
	s_xor_b64 s[4:5], exec, s[26:27]
; %bb.32:                               ;   in Loop: Header=BB396_8 Depth=1
	v_bfe_u32 v0, v1, 16, 1
	v_add3_u32 v0, v1, v0, s36
                                        ; implicit-def: $vgpr1
; %bb.33:                               ;   in Loop: Header=BB396_8 Depth=1
	s_andn2_saveexec_b64 s[26:27], s[4:5]
; %bb.34:                               ;   in Loop: Header=BB396_8 Depth=1
	v_or_b32_e32 v0, 0x10000, v1
	v_cmp_eq_u32_sdwa s[4:5], v1, v49 src0_sel:WORD_0 src1_sel:DWORD
	s_nop 1
	v_cndmask_b32_e64 v0, v0, v1, s[4:5]
; %bb.35:                               ;   in Loop: Header=BB396_8 Depth=1
	s_or_b64 exec, exec, s[26:27]
	v_add_u32_e32 v8, s11, v58
	v_mov_b32_e32 v9, v49
	v_lshl_add_u64 v[8:9], v[8:9], 1, s[18:19]
	global_store_short_d16_hi v[8:9], v0, off
.LBB396_36:                             ;   in Loop: Header=BB396_8 Depth=1
	s_or_b64 exec, exec, s[24:25]
	s_waitcnt lgkmcnt(1)
	v_add_f32_e32 v0, v4, v5
	v_mul_f32_e32 v1, s28, v0
	s_waitcnt vmcnt(3)
	v_lshlrev_b32_e32 v0, 16, v11
	v_fmac_f32_e32 v0, s29, v1
	v_and_b32_e32 v1, 0x7f800000, v0
	v_cmp_ne_u32_e64 s[4:5], s9, v1
                                        ; implicit-def: $vgpr1
	s_and_saveexec_b64 s[24:25], s[4:5]
	s_xor_b64 s[4:5], exec, s[24:25]
; %bb.37:                               ;   in Loop: Header=BB396_8 Depth=1
	v_bfe_u32 v1, v0, 16, 1
	v_add3_u32 v1, v0, v1, s36
                                        ; implicit-def: $vgpr0
; %bb.38:                               ;   in Loop: Header=BB396_8 Depth=1
	s_andn2_saveexec_b64 s[24:25], s[4:5]
; %bb.39:                               ;   in Loop: Header=BB396_8 Depth=1
	v_or_b32_e32 v1, 0x10000, v0
	v_cmp_eq_u32_sdwa s[4:5], v0, v49 src0_sel:WORD_0 src1_sel:DWORD
	s_nop 1
	v_cndmask_b32_e64 v1, v1, v0, s[4:5]
; %bb.40:                               ;   in Loop: Header=BB396_8 Depth=1
	s_or_b64 exec, exec, s[24:25]
	v_add_u32_e32 v48, s11, v48
	v_lshl_add_u64 v[4:5], v[48:49], 1, s[18:19]
	global_store_short_d16_hi v[4:5], v1, off
	s_and_b64 exec, exec, vcc
	s_cbranch_execz .LBB396_7
; %bb.41:                               ;   in Loop: Header=BB396_8 Depth=1
	s_waitcnt lgkmcnt(0)
	v_add_f32_e32 v0, v2, v3
	v_mul_f32_e32 v0, s28, v0
	s_waitcnt vmcnt(3)
	v_lshlrev_b32_e32 v1, 16, v6
	v_fmac_f32_e32 v1, s29, v0
	v_and_b32_e32 v0, 0x7f800000, v1
	v_cmp_ne_u32_e32 vcc, s9, v0
                                        ; implicit-def: $vgpr0
	s_and_saveexec_b64 s[4:5], vcc
	s_xor_b64 s[4:5], exec, s[4:5]
; %bb.42:                               ;   in Loop: Header=BB396_8 Depth=1
	v_bfe_u32 v0, v1, 16, 1
	v_add3_u32 v0, v1, v0, s36
                                        ; implicit-def: $vgpr1
; %bb.43:                               ;   in Loop: Header=BB396_8 Depth=1
	s_andn2_saveexec_b64 s[4:5], s[4:5]
	s_cbranch_execz .LBB396_6
; %bb.44:                               ;   in Loop: Header=BB396_8 Depth=1
	v_or_b32_e32 v0, 0x10000, v1
	v_cmp_eq_u32_sdwa vcc, v1, v49 src0_sel:WORD_0 src1_sel:DWORD
	s_nop 1
	v_cndmask_b32_e32 v0, v0, v1, vcc
	s_branch .LBB396_6
.LBB396_45:
	s_endpgm
	.section	.rodata,"a",@progbits
	.p2align	6, 0x0
	.amdhsa_kernel _Z17wvSplitKQ_hf_sml_I14__hip_bfloat16N3c1015Float8_e4m3fnuzELi64ELi2ELi16ELi16ELi1ELi3EEviiiiiiPKT0_S5_PKT_PS6_PKfSB_ii
		.amdhsa_group_segment_fixed_size 65536
		.amdhsa_private_segment_fixed_size 0
		.amdhsa_kernarg_size 80
		.amdhsa_user_sgpr_count 2
		.amdhsa_user_sgpr_dispatch_ptr 0
		.amdhsa_user_sgpr_queue_ptr 0
		.amdhsa_user_sgpr_kernarg_segment_ptr 1
		.amdhsa_user_sgpr_dispatch_id 0
		.amdhsa_user_sgpr_kernarg_preload_length 0
		.amdhsa_user_sgpr_kernarg_preload_offset 0
		.amdhsa_user_sgpr_private_segment_size 0
		.amdhsa_uses_dynamic_stack 0
		.amdhsa_enable_private_segment 0
		.amdhsa_system_sgpr_workgroup_id_x 1
		.amdhsa_system_sgpr_workgroup_id_y 0
		.amdhsa_system_sgpr_workgroup_id_z 0
		.amdhsa_system_sgpr_workgroup_info 0
		.amdhsa_system_vgpr_workitem_id 1
		.amdhsa_next_free_vgpr 59
		.amdhsa_next_free_sgpr 37
		.amdhsa_accum_offset 60
		.amdhsa_reserve_vcc 1
		.amdhsa_float_round_mode_32 0
		.amdhsa_float_round_mode_16_64 0
		.amdhsa_float_denorm_mode_32 3
		.amdhsa_float_denorm_mode_16_64 3
		.amdhsa_dx10_clamp 1
		.amdhsa_ieee_mode 1
		.amdhsa_fp16_overflow 0
		.amdhsa_tg_split 0
		.amdhsa_exception_fp_ieee_invalid_op 0
		.amdhsa_exception_fp_denorm_src 0
		.amdhsa_exception_fp_ieee_div_zero 0
		.amdhsa_exception_fp_ieee_overflow 0
		.amdhsa_exception_fp_ieee_underflow 0
		.amdhsa_exception_fp_ieee_inexact 0
		.amdhsa_exception_int_div_zero 0
	.end_amdhsa_kernel
	.section	.text._Z17wvSplitKQ_hf_sml_I14__hip_bfloat16N3c1015Float8_e4m3fnuzELi64ELi2ELi16ELi16ELi1ELi3EEviiiiiiPKT0_S5_PKT_PS6_PKfSB_ii,"axG",@progbits,_Z17wvSplitKQ_hf_sml_I14__hip_bfloat16N3c1015Float8_e4m3fnuzELi64ELi2ELi16ELi16ELi1ELi3EEviiiiiiPKT0_S5_PKT_PS6_PKfSB_ii,comdat
.Lfunc_end396:
	.size	_Z17wvSplitKQ_hf_sml_I14__hip_bfloat16N3c1015Float8_e4m3fnuzELi64ELi2ELi16ELi16ELi1ELi3EEviiiiiiPKT0_S5_PKT_PS6_PKfSB_ii, .Lfunc_end396-_Z17wvSplitKQ_hf_sml_I14__hip_bfloat16N3c1015Float8_e4m3fnuzELi64ELi2ELi16ELi16ELi1ELi3EEviiiiiiPKT0_S5_PKT_PS6_PKfSB_ii
                                        ; -- End function
	.section	.AMDGPU.csdata,"",@progbits
; Kernel info:
; codeLenInByte = 2556
; NumSgprs: 43
; NumVgprs: 59
; NumAgprs: 0
; TotalNumVgprs: 59
; ScratchSize: 0
; MemoryBound: 0
; FloatMode: 240
; IeeeMode: 1
; LDSByteSize: 65536 bytes/workgroup (compile time only)
; SGPRBlocks: 5
; VGPRBlocks: 7
; NumSGPRsForWavesPerEU: 43
; NumVGPRsForWavesPerEU: 59
; AccumOffset: 60
; Occupancy: 4
; WaveLimiterHint : 0
; COMPUTE_PGM_RSRC2:SCRATCH_EN: 0
; COMPUTE_PGM_RSRC2:USER_SGPR: 2
; COMPUTE_PGM_RSRC2:TRAP_HANDLER: 0
; COMPUTE_PGM_RSRC2:TGID_X_EN: 1
; COMPUTE_PGM_RSRC2:TGID_Y_EN: 0
; COMPUTE_PGM_RSRC2:TGID_Z_EN: 0
; COMPUTE_PGM_RSRC2:TIDIG_COMP_CNT: 1
; COMPUTE_PGM_RSRC3_GFX90A:ACCUM_OFFSET: 14
; COMPUTE_PGM_RSRC3_GFX90A:TG_SPLIT: 0
	.section	.text._Z13wvSplitKQ_hf_I14__hip_bfloat16N3c1015Float8_e4m3fnuzELi64ELi2ELi16ELi16ELi1ELi3EEviiiiiiPKT0_S5_PKT_PS6_PKfSB_ii,"axG",@progbits,_Z13wvSplitKQ_hf_I14__hip_bfloat16N3c1015Float8_e4m3fnuzELi64ELi2ELi16ELi16ELi1ELi3EEviiiiiiPKT0_S5_PKT_PS6_PKfSB_ii,comdat
	.protected	_Z13wvSplitKQ_hf_I14__hip_bfloat16N3c1015Float8_e4m3fnuzELi64ELi2ELi16ELi16ELi1ELi3EEviiiiiiPKT0_S5_PKT_PS6_PKfSB_ii ; -- Begin function _Z13wvSplitKQ_hf_I14__hip_bfloat16N3c1015Float8_e4m3fnuzELi64ELi2ELi16ELi16ELi1ELi3EEviiiiiiPKT0_S5_PKT_PS6_PKfSB_ii
	.globl	_Z13wvSplitKQ_hf_I14__hip_bfloat16N3c1015Float8_e4m3fnuzELi64ELi2ELi16ELi16ELi1ELi3EEviiiiiiPKT0_S5_PKT_PS6_PKfSB_ii
	.p2align	8
	.type	_Z13wvSplitKQ_hf_I14__hip_bfloat16N3c1015Float8_e4m3fnuzELi64ELi2ELi16ELi16ELi1ELi3EEviiiiiiPKT0_S5_PKT_PS6_PKfSB_ii,@function
_Z13wvSplitKQ_hf_I14__hip_bfloat16N3c1015Float8_e4m3fnuzELi64ELi2ELi16ELi16ELi1ELi3EEviiiiiiPKT0_S5_PKT_PS6_PKfSB_ii: ; @_Z13wvSplitKQ_hf_I14__hip_bfloat16N3c1015Float8_e4m3fnuzELi64ELi2ELi16ELi16ELi1ELi3EEviiiiiiPKT0_S5_PKT_PS6_PKfSB_ii
; %bb.0:
	s_load_dwordx4 s[8:11], s[0:1], 0x0
	s_load_dwordx2 s[16:17], s[0:1], 0x10
	s_load_dwordx4 s[4:7], s[0:1], 0x38
	s_load_dwordx4 s[12:15], s[0:1], 0x20
	v_and_b32_e32 v2, 0x3ff, v0
	v_bfe_u32 v3, v0, 10, 10
	v_lshlrev_b32_e32 v44, 4, v2
	s_waitcnt lgkmcnt(0)
	s_mul_i32 s3, s9, 3
	v_lshl_add_u32 v4, v3, 10, v44
	s_min_u32 s3, s3, 0x10000
	v_cmp_gt_u32_e32 vcc, s3, v4
	s_and_saveexec_b64 s[18:19], vcc
	s_cbranch_execz .LBB397_3
; %bb.1:
	v_mov_b32_e32 v1, 0
	v_lshlrev_b32_e32 v0, 10, v3
	v_mov_b32_e32 v45, v1
	v_lshl_add_u64 v[0:1], v[0:1], 0, v[44:45]
	v_lshl_add_u64 v[0:1], s[12:13], 0, v[0:1]
	s_mov_b64 s[20:21], 0
	s_mov_b64 s[22:23], 0x4000
.LBB397_2:                              ; =>This Inner Loop Header: Depth=1
	global_load_dwordx4 v[6:9], v[0:1], off
	v_lshl_add_u64 v[0:1], v[0:1], 0, s[22:23]
	s_waitcnt vmcnt(0)
	ds_write_b128 v4, v[6:9]
	v_add_u32_e32 v4, 0x4000, v4
	v_cmp_le_u32_e32 vcc, s3, v4
	s_or_b64 s[20:21], vcc, s[20:21]
	s_andn2_b64 exec, exec, s[20:21]
	s_cbranch_execnz .LBB397_2
.LBB397_3:
	s_or_b64 exec, exec, s[18:19]
	s_load_dwordx2 s[22:23], s[0:1], 0x48
	;;#ASMSTART
	s_waitcnt vmcnt(0)
	;;#ASMEND
	s_waitcnt lgkmcnt(0)
	s_barrier
	v_cmp_gt_u32_e32 vcc, s22, v3
	s_and_saveexec_b64 s[18:19], vcc
	s_cbranch_execz .LBB397_57
; %bb.4:
	s_mul_i32 s2, s2, s22
	v_add_lshl_u32 v46, s2, v3, 1
	v_cmp_gt_u32_e32 vcc, s11, v46
	s_and_b64 exec, exec, vcc
	s_cbranch_execz .LBB397_57
; %bb.5:
	v_mbcnt_lo_u32_b32 v0, -1, 0
	v_mbcnt_hi_u32_b32 v0, -1, v0
	s_cmp_lg_u32 s8, 0
	v_and_b32_e32 v1, 63, v0
	s_cselect_b64 s[2:3], -1, 0
	s_add_i32 s33, s8, -16
	s_add_i32 s34, s11, -1
	v_cmp_lt_u32_e32 vcc, 43, v1
	s_load_dword s30, s[4:5], 0x0
	s_load_dword s31, s[6:7], 0x0
	s_load_dwordx2 s[18:19], s[0:1], 0x18
	s_load_dwordx2 s[20:21], s[0:1], 0x30
	s_mul_i32 s4, s22, s23
	v_cndmask_b32_e64 v3, 20, 0, vcc
	v_cmp_lt_u32_e32 vcc, 23, v1
	s_cmp_lg_u64 s[14:15], 0
	s_cselect_b64 s[22:23], -1, 0
	v_cndmask_b32_e64 v1, 40, 0, vcc
	s_lshl_b32 s35, s4, 1
	s_abs_i32 s4, s17
	v_add_lshl_u32 v45, v3, v0, 2
	v_add_lshl_u32 v54, v1, v0, 2
	v_cvt_f32_u32_e32 v0, s16
	v_cvt_f32_u32_e32 v1, s4
	s_sub_i32 s5, 0, s16
	v_cmp_eq_u32_e64 s[0:1], 0, v2
	v_rcp_iflag_f32_e32 v0, v0
	v_rcp_iflag_f32_e32 v1, v1
	s_lshl_b32 s17, s11, 1
	s_mov_b64 s[6:7], 0
	v_mul_f32_e32 v0, 0x4f7ffffe, v0
	v_mul_f32_e32 v1, 0x4f7ffffe, v1
	v_cvt_u32_f32_e32 v0, v0
	v_cvt_u32_f32_e32 v1, v1
	v_mov_b32_e32 v49, 0
	v_lshl_add_u32 v56, s9, 1, v44
	v_mul_lo_u32 v2, s5, v0
	s_sub_i32 s5, 0, s4
	v_readfirstlane_b32 s24, v1
	s_mul_i32 s5, s5, s24
	s_mul_hi_u32 s5, s24, s5
	s_add_i32 s24, s24, s5
	s_sub_i32 s5, 1, s4
	s_cmp_lt_u32 s4, 2
	s_cselect_b32 s5, s5, 1
	s_sub_i32 s25, s5, s4
	s_cmp_ge_u32 s5, s4
	s_cselect_b32 s36, s25, s5
	s_lshr_b32 s5, s24, 31
	s_mul_i32 s5, s5, s4
	s_sub_i32 s5, 2, s5
	s_sub_i32 s24, s5, s4
	s_cmp_ge_u32 s5, s4
	s_cselect_b32 s5, s24, s5
	s_sub_i32 s24, s5, s4
	v_mul_hi_u32 v2, v0, v2
	s_cmp_ge_u32 s5, s4
	v_add_u32_e32 v55, v0, v2
	s_cselect_b32 s37, s24, s5
	v_cndmask_b32_e64 v0, 0, 1, s[2:3]
	s_mul_i32 s36, s36, s16
	s_mul_i32 s37, s37, s16
	v_add_u32_e32 v57, s9, v44
	v_cmp_ne_u32_e64 s[2:3], 1, v0
	s_mov_b32 s9, 0xffff
	s_mov_b32 s38, 0x7f800000
	s_movk_i32 s39, 0x7fff
	s_branch .LBB397_8
.LBB397_6:                              ;   in Loop: Header=BB397_8 Depth=1
	s_or_b64 exec, exec, s[4:5]
	v_add_u32_e32 v48, s17, v58
	v_lshl_add_u64 v[2:3], v[48:49], 1, s[20:21]
	global_store_short_d16_hi v[2:3], v0, off
.LBB397_7:                              ;   in Loop: Header=BB397_8 Depth=1
	s_or_b64 exec, exec, s[24:25]
	v_add_u32_e32 v46, s35, v46
	v_cmp_le_u32_e32 vcc, s11, v46
	s_or_b64 s[6:7], vcc, s[6:7]
	s_andn2_b64 exec, exec, s[6:7]
	s_cbranch_execz .LBB397_57
.LBB397_8:                              ; =>This Loop Header: Depth=1
                                        ;     Child Loop BB397_12 Depth 2
	s_and_b64 vcc, exec, s[2:3]
	v_or_b32_e32 v58, 1, v46
	v_mov_b32_e32 v23, v49
	v_mov_b32_e32 v22, v49
	;; [unrolled: 1-line block ×8, first 2 shown]
	s_waitcnt lgkmcnt(0)
	v_mov_b32_e32 v15, v49
	v_mov_b32_e32 v14, v49
	;; [unrolled: 1-line block ×13, first 2 shown]
	s_waitcnt vmcnt(3)
	v_mov_b32_e32 v6, v49
	v_mov_b32_e32 v5, v49
	;; [unrolled: 1-line block ×3, first 2 shown]
	s_cbranch_vccnz .LBB397_25
; %bb.9:                                ;   in Loop: Header=BB397_8 Depth=1
	v_min_u32_e32 v0, s34, v46
	v_mul_lo_u32 v50, v0, s10
	v_min_u32_e32 v0, s34, v58
	v_mov_b32_e32 v4, 0
	v_mov_b32_e32 v51, v49
	v_mul_lo_u32 v52, v0, s10
	v_mov_b32_e32 v53, v49
	s_mov_b32 s26, 0
	v_mov_b32_e32 v5, v4
	v_mov_b32_e32 v6, v4
	;; [unrolled: 1-line block ×23, first 2 shown]
	s_branch .LBB397_12
.LBB397_10:                             ;   in Loop: Header=BB397_12 Depth=2
	s_or_b64 exec, exec, s[24:25]
.LBB397_11:                             ;   in Loop: Header=BB397_12 Depth=2
	s_or_b64 exec, exec, s[4:5]
	s_waitcnt vmcnt(0) lgkmcnt(0)
	v_mfma_f32_16x16x32_fp8_fp8 v[20:23], v[32:33], v[28:29], v[20:23]
	s_addk_i32 s26, 0x400
	s_cmp_ge_u32 s26, s8
	v_mfma_f32_16x16x32_fp8_fp8 v[16:19], v[32:33], v[24:25], v[16:19]
	v_mfma_f32_16x16x32_fp8_fp8 v[12:15], v[36:37], v[28:29], v[12:15]
	;; [unrolled: 1-line block ×11, first 2 shown]
	s_cbranch_scc1 .LBB397_25
.LBB397_12:                             ;   Parent Loop BB397_8 Depth=1
                                        ; =>  This Inner Loop Header: Depth=2
	v_add_u32_e32 v47, s26, v44
	v_min_u32_e32 v48, s33, v47
	s_waitcnt lgkmcnt(0)
	v_lshl_add_u64 v[24:25], s[18:19], 0, v[48:49]
	v_lshl_add_u64 v[32:33], v[24:25], 0, v[50:51]
	;; [unrolled: 1-line block ×3, first 2 shown]
	global_load_dwordx4 v[28:31], v[32:33], off nt
	global_load_dwordx4 v[24:27], v[34:35], off nt
	v_mov_b64_e32 v[42:43], 0
	v_cmp_gt_u32_e32 vcc, s8, v47
	v_mov_b64_e32 v[40:41], v[42:43]
	v_mov_b64_e32 v[38:39], v[42:43]
	;; [unrolled: 1-line block ×5, first 2 shown]
	s_and_saveexec_b64 s[4:5], vcc
	s_cbranch_execz .LBB397_11
; %bb.13:                               ;   in Loop: Header=BB397_12 Depth=2
	v_cmp_lt_u32_e32 vcc, s9, v47
                                        ; implicit-def: $vgpr34_vgpr35
	s_and_saveexec_b64 s[24:25], vcc
	s_xor_b64 s[24:25], exec, s[24:25]
	s_cbranch_execz .LBB397_15
; %bb.14:                               ;   in Loop: Header=BB397_12 Depth=2
	global_load_dwordx4 v[32:35], v47, s[12:13]
                                        ; implicit-def: $vgpr47
.LBB397_15:                             ;   in Loop: Header=BB397_12 Depth=2
	s_andn2_saveexec_b64 s[24:25], s[24:25]
	s_cbranch_execz .LBB397_17
; %bb.16:                               ;   in Loop: Header=BB397_12 Depth=2
	s_waitcnt vmcnt(0)
	ds_read_b128 v[32:35], v47
.LBB397_17:                             ;   in Loop: Header=BB397_12 Depth=2
	s_or_b64 exec, exec, s[24:25]
	v_add_u32_e32 v40, s26, v57
	v_cmp_lt_u32_e32 vcc, s9, v40
                                        ; implicit-def: $vgpr38_vgpr39
	s_and_saveexec_b64 s[24:25], vcc
	s_xor_b64 s[24:25], exec, s[24:25]
	s_cbranch_execz .LBB397_19
; %bb.18:                               ;   in Loop: Header=BB397_12 Depth=2
	global_load_dwordx4 v[36:39], v40, s[12:13]
                                        ; implicit-def: $vgpr40
.LBB397_19:                             ;   in Loop: Header=BB397_12 Depth=2
	s_andn2_saveexec_b64 s[24:25], s[24:25]
	s_cbranch_execz .LBB397_21
; %bb.20:                               ;   in Loop: Header=BB397_12 Depth=2
	s_waitcnt vmcnt(0)
	ds_read_b128 v[36:39], v40
.LBB397_21:                             ;   in Loop: Header=BB397_12 Depth=2
	s_or_b64 exec, exec, s[24:25]
	v_add_u32_e32 v47, s26, v56
	v_cmp_lt_u32_e32 vcc, s9, v47
                                        ; implicit-def: $vgpr42_vgpr43
	s_and_saveexec_b64 s[24:25], vcc
	s_xor_b64 s[24:25], exec, s[24:25]
	s_cbranch_execz .LBB397_23
; %bb.22:                               ;   in Loop: Header=BB397_12 Depth=2
	global_load_dwordx4 v[40:43], v47, s[12:13]
                                        ; implicit-def: $vgpr47
.LBB397_23:                             ;   in Loop: Header=BB397_12 Depth=2
	s_andn2_saveexec_b64 s[24:25], s[24:25]
	s_cbranch_execz .LBB397_10
; %bb.24:                               ;   in Loop: Header=BB397_12 Depth=2
	s_waitcnt vmcnt(0)
	ds_read_b128 v[40:43], v47
	s_branch .LBB397_10
.LBB397_25:                             ;   in Loop: Header=BB397_8 Depth=1
	s_nop 0
	v_cvt_i32_f32_e32 v21, v21
	v_cvt_i32_f32_e32 v22, v22
	;; [unrolled: 1-line block ×5, first 2 shown]
	v_cvt_f32_i32_dpp v21, v21 row_shl:1 row_mask:0xf bank_mask:0xf bound_ctrl:1
	v_cvt_i32_f32_e32 v13, v13
	v_cvt_f32_i32_dpp v22, v22 row_shl:2 row_mask:0xf bank_mask:0xf bound_ctrl:1
	v_cvt_f32_i32_dpp v17, v17 row_shl:1 row_mask:0xf bank_mask:0xf bound_ctrl:1
	v_cvt_i32_f32_e32 v14, v14
	v_cvt_f32_i32_dpp v23, v23 row_shl:3 row_mask:0xf bank_mask:0xf bound_ctrl:1
	v_cvt_f32_i32_dpp v18, v18 row_shl:2 row_mask:0xf bank_mask:0xf bound_ctrl:1
	v_cvt_i32_f32_e32 v19, v19
	v_cvt_i32_f32_e32 v15, v15
	v_add_f32_e32 v20, v20, v21
	v_cvt_f32_i32_dpp v13, v13 row_shl:1 row_mask:0xf bank_mask:0xf bound_ctrl:1
	v_add_f32_e32 v20, v20, v22
	v_add_f32_e32 v17, v16, v17
	v_cvt_f32_i32_dpp v14, v14 row_shl:2 row_mask:0xf bank_mask:0xf bound_ctrl:1
	v_add_f32_e32 v20, v20, v23
	v_add_f32_e32 v17, v17, v18
	v_cvt_f32_i32_dpp v18, v19 row_shl:3 row_mask:0xf bank_mask:0xf bound_ctrl:1
	v_cvt_f32_i32_dpp v15, v15 row_shl:3 row_mask:0xf bank_mask:0xf bound_ctrl:1
	v_cvt_i32_f32_e32 v1, v1
	ds_bpermute_b32 v21, v45, v20
	v_cvt_i32_f32_e32 v2, v2
	v_add_f32_e32 v12, v12, v13
	v_add_f32_e32 v12, v12, v14
	;; [unrolled: 1-line block ×4, first 2 shown]
	v_cvt_f32_i32_dpp v1, v1 row_shl:1 row_mask:0xf bank_mask:0xf bound_ctrl:1
	ds_bpermute_b32 v18, v45, v17
	ds_bpermute_b32 v19, v45, v14
	v_cvt_f32_i32_dpp v2, v2 row_shl:2 row_mask:0xf bank_mask:0xf bound_ctrl:1
	v_cvt_i32_f32_e32 v3, v3
	s_waitcnt lgkmcnt(0)
	v_add_f32_e32 v16, v20, v21
	v_cvt_i32_f32_e32 v20, v9
	v_add_f32_e32 v0, v0, v1
	v_add_f32_e32 v0, v0, v2
	v_cvt_f32_i32_dpp v1, v3 row_shl:3 row_mask:0xf bank_mask:0xf bound_ctrl:1
	v_cvt_i32_f32_e32 v2, v5
	v_add_f32_e32 v12, v17, v18
	v_add_f32_e32 v9, v14, v19
	v_cvt_f32_i32_dpp v14, v20 row_shl:1 row_mask:0xf bank_mask:0xf bound_ctrl:1
	v_cvt_i32_f32_e32 v17, v10
	v_cvt_i32_f32_e32 v3, v6
	;; [unrolled: 1-line block ×4, first 2 shown]
	v_add_f32_e32 v0, v0, v1
	v_cvt_f32_i32_dpp v1, v2 row_shl:1 row_mask:0xf bank_mask:0xf bound_ctrl:1
	v_add_f32_e32 v8, v8, v14
	v_cvt_f32_i32_dpp v14, v17 row_shl:2 row_mask:0xf bank_mask:0xf bound_ctrl:1
	v_cvt_f32_i32_dpp v2, v3 row_shl:2 row_mask:0xf bank_mask:0xf bound_ctrl:1
	;; [unrolled: 1-line block ×4, first 2 shown]
	v_add_f32_e32 v1, v4, v1
	v_add_f32_e32 v8, v8, v14
	;; [unrolled: 1-line block ×5, first 2 shown]
	ds_bpermute_b32 v11, v45, v8
	ds_bpermute_b32 v5, v45, v0
	;; [unrolled: 1-line block ×5, first 2 shown]
	s_waitcnt lgkmcnt(4)
	v_add_f32_e32 v7, v8, v11
	s_waitcnt lgkmcnt(3)
	v_add_f32_e32 v4, v0, v5
	;; [unrolled: 2-line block ×3, first 2 shown]
	ds_bpermute_b32 v10, v54, v9
	ds_bpermute_b32 v8, v54, v7
	;; [unrolled: 1-line block ×4, first 2 shown]
	s_and_saveexec_b64 s[24:25], s[0:1]
	s_cbranch_execz .LBB397_7
; %bb.26:                               ;   in Loop: Header=BB397_8 Depth=1
	s_andn2_b64 vcc, exec, s[22:23]
	v_mov_b32_e32 v0, 0
	v_mov_b32_e32 v18, 0
	;; [unrolled: 1-line block ×6, first 2 shown]
	s_cbranch_vccnz .LBB397_28
; %bb.27:                               ;   in Loop: Header=BB397_8 Depth=1
	v_mul_hi_u32 v0, v46, v55
	v_mul_lo_u32 v0, v0, s16
	v_sub_u32_e32 v0, v46, v0
	v_subrev_u32_e32 v1, s16, v0
	v_cmp_le_u32_e32 vcc, s16, v0
	v_mov_b32_e32 v19, v49
	s_nop 0
	v_cndmask_b32_e32 v0, v0, v1, vcc
	v_subrev_u32_e32 v1, s16, v0
	v_cmp_le_u32_e32 vcc, s16, v0
	s_nop 1
	v_cndmask_b32_e32 v48, v0, v1, vcc
	v_mul_hi_u32 v0, v58, v55
	v_mul_lo_u32 v0, v0, s16
	v_sub_u32_e32 v0, v58, v0
	v_subrev_u32_e32 v1, s16, v0
	v_cmp_le_u32_e32 vcc, s16, v0
	v_lshl_add_u64 v[20:21], v[48:49], 1, s[14:15]
	v_add_u32_e32 v18, s36, v48
	v_cndmask_b32_e32 v0, v0, v1, vcc
	v_subrev_u32_e32 v1, s16, v0
	v_cmp_le_u32_e32 vcc, s16, v0
	v_add_u32_e32 v48, s37, v48
	v_lshl_add_u64 v[24:25], v[18:19], 1, s[14:15]
	v_cndmask_b32_e32 v0, v0, v1, vcc
	v_mov_b32_e32 v1, v49
	v_add_u32_e32 v18, s36, v0
	v_lshl_add_u64 v[28:29], v[48:49], 1, s[14:15]
	v_add_u32_e32 v48, s37, v0
	v_lshl_add_u64 v[22:23], v[0:1], 1, s[14:15]
	v_lshl_add_u64 v[26:27], v[18:19], 1, s[14:15]
	;; [unrolled: 1-line block ×3, first 2 shown]
	global_load_ushort v0, v[20:21], off
	global_load_ushort v18, v[22:23], off
	;; [unrolled: 1-line block ×6, first 2 shown]
.LBB397_28:                             ;   in Loop: Header=BB397_8 Depth=1
	s_waitcnt lgkmcnt(5)
	v_add_f32_e32 v1, v16, v15
	v_mul_f32_e32 v1, s30, v1
	s_waitcnt vmcnt(5)
	v_lshlrev_b32_e32 v0, 16, v0
	v_fmac_f32_e32 v0, s31, v1
	v_and_b32_e32 v1, 0x7f800000, v0
	v_cmp_ne_u32_e32 vcc, s38, v1
                                        ; implicit-def: $vgpr15
	s_and_saveexec_b64 s[4:5], vcc
	s_xor_b64 s[4:5], exec, s[4:5]
; %bb.29:                               ;   in Loop: Header=BB397_8 Depth=1
	v_bfe_u32 v1, v0, 16, 1
	v_add3_u32 v15, v0, v1, s39
                                        ; implicit-def: $vgpr0
; %bb.30:                               ;   in Loop: Header=BB397_8 Depth=1
	s_andn2_saveexec_b64 s[4:5], s[4:5]
; %bb.31:                               ;   in Loop: Header=BB397_8 Depth=1
	v_or_b32_e32 v1, 0x10000, v0
	v_cmp_eq_u32_sdwa vcc, v0, v49 src0_sel:WORD_0 src1_sel:DWORD
	s_nop 1
	v_cndmask_b32_e32 v15, v1, v0, vcc
; %bb.32:                               ;   in Loop: Header=BB397_8 Depth=1
	s_or_b64 exec, exec, s[4:5]
	v_mov_b32_e32 v47, v49
	v_lshl_add_u64 v[0:1], v[46:47], 1, s[20:21]
	v_cmp_gt_u32_e32 vcc, s11, v58
	global_store_short_d16_hi v[0:1], v15, off
	s_and_saveexec_b64 s[26:27], vcc
	s_cbranch_execz .LBB397_38
; %bb.33:                               ;   in Loop: Header=BB397_8 Depth=1
	s_waitcnt lgkmcnt(4)
	v_add_f32_e32 v12, v12, v13
	v_mul_f32_e32 v13, s30, v12
	s_waitcnt vmcnt(5)
	v_lshlrev_b32_e32 v12, 16, v18
	v_fmac_f32_e32 v12, s31, v13
	v_and_b32_e32 v13, 0x7f800000, v12
	v_cmp_ne_u32_e64 s[4:5], s38, v13
                                        ; implicit-def: $vgpr13
	s_and_saveexec_b64 s[28:29], s[4:5]
	s_xor_b64 s[4:5], exec, s[28:29]
; %bb.34:                               ;   in Loop: Header=BB397_8 Depth=1
	v_bfe_u32 v13, v12, 16, 1
	v_add3_u32 v13, v12, v13, s39
                                        ; implicit-def: $vgpr12
; %bb.35:                               ;   in Loop: Header=BB397_8 Depth=1
	s_andn2_saveexec_b64 s[28:29], s[4:5]
; %bb.36:                               ;   in Loop: Header=BB397_8 Depth=1
	v_or_b32_e32 v13, 0x10000, v12
	v_cmp_eq_u32_sdwa s[4:5], v12, v49 src0_sel:WORD_0 src1_sel:DWORD
	s_nop 1
	v_cndmask_b32_e64 v13, v13, v12, s[4:5]
; %bb.37:                               ;   in Loop: Header=BB397_8 Depth=1
	s_or_b64 exec, exec, s[28:29]
	global_store_short_d16_hi v[0:1], v13, off offset:2
.LBB397_38:                             ;   in Loop: Header=BB397_8 Depth=1
	s_or_b64 exec, exec, s[26:27]
	s_waitcnt lgkmcnt(3)
	v_add_f32_e32 v0, v9, v10
	v_mul_f32_e32 v1, s30, v0
	s_waitcnt vmcnt(4)
	v_lshlrev_b32_e32 v0, 16, v17
	v_fmac_f32_e32 v0, s31, v1
	v_and_b32_e32 v1, 0x7f800000, v0
	v_cmp_ne_u32_e64 s[4:5], s38, v1
                                        ; implicit-def: $vgpr1
	s_and_saveexec_b64 s[26:27], s[4:5]
	s_xor_b64 s[4:5], exec, s[26:27]
; %bb.39:                               ;   in Loop: Header=BB397_8 Depth=1
	v_bfe_u32 v1, v0, 16, 1
	v_add3_u32 v1, v0, v1, s39
                                        ; implicit-def: $vgpr0
; %bb.40:                               ;   in Loop: Header=BB397_8 Depth=1
	s_andn2_saveexec_b64 s[26:27], s[4:5]
; %bb.41:                               ;   in Loop: Header=BB397_8 Depth=1
	v_or_b32_e32 v1, 0x10000, v0
	v_cmp_eq_u32_sdwa s[4:5], v0, v49 src0_sel:WORD_0 src1_sel:DWORD
	s_nop 1
	v_cndmask_b32_e64 v1, v1, v0, s[4:5]
; %bb.42:                               ;   in Loop: Header=BB397_8 Depth=1
	s_or_b64 exec, exec, s[26:27]
	v_add_u32_e32 v48, s11, v46
	v_lshl_add_u64 v[12:13], v[48:49], 1, s[20:21]
	global_store_short_d16_hi v[12:13], v1, off
	s_and_saveexec_b64 s[26:27], vcc
	s_cbranch_execz .LBB397_48
; %bb.43:                               ;   in Loop: Header=BB397_8 Depth=1
	s_waitcnt lgkmcnt(2)
	v_add_f32_e32 v0, v7, v8
	v_mul_f32_e32 v0, s30, v0
	s_waitcnt vmcnt(4)
	v_lshlrev_b32_e32 v1, 16, v14
	v_fmac_f32_e32 v1, s31, v0
	v_and_b32_e32 v0, 0x7f800000, v1
	v_cmp_ne_u32_e64 s[4:5], s38, v0
                                        ; implicit-def: $vgpr0
	s_and_saveexec_b64 s[28:29], s[4:5]
	s_xor_b64 s[4:5], exec, s[28:29]
; %bb.44:                               ;   in Loop: Header=BB397_8 Depth=1
	v_bfe_u32 v0, v1, 16, 1
	v_add3_u32 v0, v1, v0, s39
                                        ; implicit-def: $vgpr1
; %bb.45:                               ;   in Loop: Header=BB397_8 Depth=1
	s_andn2_saveexec_b64 s[28:29], s[4:5]
; %bb.46:                               ;   in Loop: Header=BB397_8 Depth=1
	v_or_b32_e32 v0, 0x10000, v1
	v_cmp_eq_u32_sdwa s[4:5], v1, v49 src0_sel:WORD_0 src1_sel:DWORD
	s_nop 1
	v_cndmask_b32_e64 v0, v0, v1, s[4:5]
; %bb.47:                               ;   in Loop: Header=BB397_8 Depth=1
	s_or_b64 exec, exec, s[28:29]
	v_add_u32_e32 v8, s11, v58
	v_mov_b32_e32 v9, v49
	v_lshl_add_u64 v[8:9], v[8:9], 1, s[20:21]
	global_store_short_d16_hi v[8:9], v0, off
.LBB397_48:                             ;   in Loop: Header=BB397_8 Depth=1
	s_or_b64 exec, exec, s[26:27]
	s_waitcnt lgkmcnt(1)
	v_add_f32_e32 v0, v4, v5
	v_mul_f32_e32 v1, s30, v0
	s_waitcnt vmcnt(3)
	v_lshlrev_b32_e32 v0, 16, v11
	v_fmac_f32_e32 v0, s31, v1
	v_and_b32_e32 v1, 0x7f800000, v0
	v_cmp_ne_u32_e64 s[4:5], s38, v1
                                        ; implicit-def: $vgpr1
	s_and_saveexec_b64 s[26:27], s[4:5]
	s_xor_b64 s[4:5], exec, s[26:27]
; %bb.49:                               ;   in Loop: Header=BB397_8 Depth=1
	v_bfe_u32 v1, v0, 16, 1
	v_add3_u32 v1, v0, v1, s39
                                        ; implicit-def: $vgpr0
; %bb.50:                               ;   in Loop: Header=BB397_8 Depth=1
	s_andn2_saveexec_b64 s[26:27], s[4:5]
; %bb.51:                               ;   in Loop: Header=BB397_8 Depth=1
	v_or_b32_e32 v1, 0x10000, v0
	v_cmp_eq_u32_sdwa s[4:5], v0, v49 src0_sel:WORD_0 src1_sel:DWORD
	s_nop 1
	v_cndmask_b32_e64 v1, v1, v0, s[4:5]
; %bb.52:                               ;   in Loop: Header=BB397_8 Depth=1
	s_or_b64 exec, exec, s[26:27]
	v_add_u32_e32 v48, s11, v48
	v_lshl_add_u64 v[4:5], v[48:49], 1, s[20:21]
	global_store_short_d16_hi v[4:5], v1, off
	s_and_b64 exec, exec, vcc
	s_cbranch_execz .LBB397_7
; %bb.53:                               ;   in Loop: Header=BB397_8 Depth=1
	s_waitcnt lgkmcnt(0)
	v_add_f32_e32 v0, v2, v3
	v_mul_f32_e32 v0, s30, v0
	s_waitcnt vmcnt(3)
	v_lshlrev_b32_e32 v1, 16, v6
	v_fmac_f32_e32 v1, s31, v0
	v_and_b32_e32 v0, 0x7f800000, v1
	v_cmp_ne_u32_e32 vcc, s38, v0
                                        ; implicit-def: $vgpr0
	s_and_saveexec_b64 s[4:5], vcc
	s_xor_b64 s[4:5], exec, s[4:5]
; %bb.54:                               ;   in Loop: Header=BB397_8 Depth=1
	v_bfe_u32 v0, v1, 16, 1
	v_add3_u32 v0, v1, v0, s39
                                        ; implicit-def: $vgpr1
; %bb.55:                               ;   in Loop: Header=BB397_8 Depth=1
	s_andn2_saveexec_b64 s[4:5], s[4:5]
	s_cbranch_execz .LBB397_6
; %bb.56:                               ;   in Loop: Header=BB397_8 Depth=1
	v_or_b32_e32 v0, 0x10000, v1
	v_cmp_eq_u32_sdwa vcc, v1, v49 src0_sel:WORD_0 src1_sel:DWORD
	s_nop 1
	v_cndmask_b32_e32 v0, v0, v1, vcc
	s_branch .LBB397_6
.LBB397_57:
	s_endpgm
	.section	.rodata,"a",@progbits
	.p2align	6, 0x0
	.amdhsa_kernel _Z13wvSplitKQ_hf_I14__hip_bfloat16N3c1015Float8_e4m3fnuzELi64ELi2ELi16ELi16ELi1ELi3EEviiiiiiPKT0_S5_PKT_PS6_PKfSB_ii
		.amdhsa_group_segment_fixed_size 65536
		.amdhsa_private_segment_fixed_size 0
		.amdhsa_kernarg_size 80
		.amdhsa_user_sgpr_count 2
		.amdhsa_user_sgpr_dispatch_ptr 0
		.amdhsa_user_sgpr_queue_ptr 0
		.amdhsa_user_sgpr_kernarg_segment_ptr 1
		.amdhsa_user_sgpr_dispatch_id 0
		.amdhsa_user_sgpr_kernarg_preload_length 0
		.amdhsa_user_sgpr_kernarg_preload_offset 0
		.amdhsa_user_sgpr_private_segment_size 0
		.amdhsa_uses_dynamic_stack 0
		.amdhsa_enable_private_segment 0
		.amdhsa_system_sgpr_workgroup_id_x 1
		.amdhsa_system_sgpr_workgroup_id_y 0
		.amdhsa_system_sgpr_workgroup_id_z 0
		.amdhsa_system_sgpr_workgroup_info 0
		.amdhsa_system_vgpr_workitem_id 1
		.amdhsa_next_free_vgpr 59
		.amdhsa_next_free_sgpr 40
		.amdhsa_accum_offset 60
		.amdhsa_reserve_vcc 1
		.amdhsa_float_round_mode_32 0
		.amdhsa_float_round_mode_16_64 0
		.amdhsa_float_denorm_mode_32 3
		.amdhsa_float_denorm_mode_16_64 3
		.amdhsa_dx10_clamp 1
		.amdhsa_ieee_mode 1
		.amdhsa_fp16_overflow 0
		.amdhsa_tg_split 0
		.amdhsa_exception_fp_ieee_invalid_op 0
		.amdhsa_exception_fp_denorm_src 0
		.amdhsa_exception_fp_ieee_div_zero 0
		.amdhsa_exception_fp_ieee_overflow 0
		.amdhsa_exception_fp_ieee_underflow 0
		.amdhsa_exception_fp_ieee_inexact 0
		.amdhsa_exception_int_div_zero 0
	.end_amdhsa_kernel
	.section	.text._Z13wvSplitKQ_hf_I14__hip_bfloat16N3c1015Float8_e4m3fnuzELi64ELi2ELi16ELi16ELi1ELi3EEviiiiiiPKT0_S5_PKT_PS6_PKfSB_ii,"axG",@progbits,_Z13wvSplitKQ_hf_I14__hip_bfloat16N3c1015Float8_e4m3fnuzELi64ELi2ELi16ELi16ELi1ELi3EEviiiiiiPKT0_S5_PKT_PS6_PKfSB_ii,comdat
.Lfunc_end397:
	.size	_Z13wvSplitKQ_hf_I14__hip_bfloat16N3c1015Float8_e4m3fnuzELi64ELi2ELi16ELi16ELi1ELi3EEviiiiiiPKT0_S5_PKT_PS6_PKfSB_ii, .Lfunc_end397-_Z13wvSplitKQ_hf_I14__hip_bfloat16N3c1015Float8_e4m3fnuzELi64ELi2ELi16ELi16ELi1ELi3EEviiiiiiPKT0_S5_PKT_PS6_PKfSB_ii
                                        ; -- End function
	.section	.AMDGPU.csdata,"",@progbits
; Kernel info:
; codeLenInByte = 2660
; NumSgprs: 46
; NumVgprs: 59
; NumAgprs: 0
; TotalNumVgprs: 59
; ScratchSize: 0
; MemoryBound: 1
; FloatMode: 240
; IeeeMode: 1
; LDSByteSize: 65536 bytes/workgroup (compile time only)
; SGPRBlocks: 5
; VGPRBlocks: 7
; NumSGPRsForWavesPerEU: 46
; NumVGPRsForWavesPerEU: 59
; AccumOffset: 60
; Occupancy: 4
; WaveLimiterHint : 0
; COMPUTE_PGM_RSRC2:SCRATCH_EN: 0
; COMPUTE_PGM_RSRC2:USER_SGPR: 2
; COMPUTE_PGM_RSRC2:TRAP_HANDLER: 0
; COMPUTE_PGM_RSRC2:TGID_X_EN: 1
; COMPUTE_PGM_RSRC2:TGID_Y_EN: 0
; COMPUTE_PGM_RSRC2:TGID_Z_EN: 0
; COMPUTE_PGM_RSRC2:TIDIG_COMP_CNT: 1
; COMPUTE_PGM_RSRC3_GFX90A:ACCUM_OFFSET: 14
; COMPUTE_PGM_RSRC3_GFX90A:TG_SPLIT: 0
	.section	.text._Z17wvSplitKQ_hf_sml_I14__hip_bfloat16N3c1015Float8_e4m3fnuzELi32ELi2ELi16ELi16ELi1ELi4EEviiiiiiPKT0_S5_PKT_PS6_PKfSB_ii,"axG",@progbits,_Z17wvSplitKQ_hf_sml_I14__hip_bfloat16N3c1015Float8_e4m3fnuzELi32ELi2ELi16ELi16ELi1ELi4EEviiiiiiPKT0_S5_PKT_PS6_PKfSB_ii,comdat
	.protected	_Z17wvSplitKQ_hf_sml_I14__hip_bfloat16N3c1015Float8_e4m3fnuzELi32ELi2ELi16ELi16ELi1ELi4EEviiiiiiPKT0_S5_PKT_PS6_PKfSB_ii ; -- Begin function _Z17wvSplitKQ_hf_sml_I14__hip_bfloat16N3c1015Float8_e4m3fnuzELi32ELi2ELi16ELi16ELi1ELi4EEviiiiiiPKT0_S5_PKT_PS6_PKfSB_ii
	.globl	_Z17wvSplitKQ_hf_sml_I14__hip_bfloat16N3c1015Float8_e4m3fnuzELi32ELi2ELi16ELi16ELi1ELi4EEviiiiiiPKT0_S5_PKT_PS6_PKfSB_ii
	.p2align	8
	.type	_Z17wvSplitKQ_hf_sml_I14__hip_bfloat16N3c1015Float8_e4m3fnuzELi32ELi2ELi16ELi16ELi1ELi4EEviiiiiiPKT0_S5_PKT_PS6_PKfSB_ii,@function
_Z17wvSplitKQ_hf_sml_I14__hip_bfloat16N3c1015Float8_e4m3fnuzELi32ELi2ELi16ELi16ELi1ELi4EEviiiiiiPKT0_S5_PKT_PS6_PKfSB_ii: ; @_Z17wvSplitKQ_hf_sml_I14__hip_bfloat16N3c1015Float8_e4m3fnuzELi32ELi2ELi16ELi16ELi1ELi4EEviiiiiiPKT0_S5_PKT_PS6_PKfSB_ii
; %bb.0:
	s_load_dwordx4 s[16:19], s[0:1], 0x0
	v_and_b32_e32 v4, 0x3ff, v0
	v_bfe_u32 v5, v0, 10, 10
	v_lshlrev_b32_e32 v56, 4, v4
	v_lshl_add_u32 v0, v5, 9, v56
	s_waitcnt lgkmcnt(0)
	s_lshl_b32 s3, s17, 2
	s_min_u32 s3, s3, 0x10000
	v_cmp_gt_u32_e32 vcc, s3, v0
	s_and_saveexec_b64 s[4:5], vcc
	s_cbranch_execz .LBB398_9
; %bb.1:
	s_load_dwordx2 s[6:7], s[0:1], 0x20
	v_add_u32_e32 v1, 0x2000, v0
	v_cmp_gt_u32_e32 vcc, s3, v1
	s_waitcnt lgkmcnt(0)
	global_load_dwordx4 v[6:9], v0, s[6:7]
	s_waitcnt vmcnt(0)
	ds_write_b128 v0, v[6:9]
	s_and_saveexec_b64 s[8:9], vcc
	s_xor_b64 s[8:9], exec, s[8:9]
	s_cbranch_execz .LBB398_9
; %bb.2:
	v_mov_b32_e32 v1, 0
	v_lshl_add_u64 v[2:3], s[6:7], 0, v[0:1]
	v_add_co_u32_e32 v6, vcc, 0x2000, v2
	v_add_u32_e32 v1, 0x4000, v0
	s_nop 0
	v_addc_co_u32_e32 v7, vcc, 0, v3, vcc
	global_load_dwordx4 v[6:9], v[6:7], off
	v_cmp_gt_u32_e32 vcc, s3, v1
	s_waitcnt vmcnt(0)
	ds_write_b128 v0, v[6:9] offset:8192
	s_and_saveexec_b64 s[6:7], vcc
	s_xor_b64 s[6:7], exec, s[6:7]
	s_cbranch_execz .LBB398_9
; %bb.3:
	v_add_co_u32_e32 v6, vcc, 0x4000, v2
	v_add_u32_e32 v1, 0x6000, v0
	s_nop 0
	v_addc_co_u32_e32 v7, vcc, 0, v3, vcc
	global_load_dwordx4 v[6:9], v[6:7], off
	v_cmp_gt_u32_e32 vcc, s3, v1
	s_waitcnt vmcnt(0)
	ds_write_b128 v0, v[6:9] offset:16384
	s_and_saveexec_b64 s[6:7], vcc
	s_xor_b64 s[6:7], exec, s[6:7]
	s_cbranch_execz .LBB398_9
; %bb.4:
	;; [unrolled: 12-line block ×6, first 2 shown]
	v_add_co_u32_e32 v2, vcc, 0xe000, v2
	s_nop 1
	v_addc_co_u32_e32 v3, vcc, 0, v3, vcc
	global_load_dwordx4 v[6:9], v[2:3], off
	s_waitcnt vmcnt(0)
	ds_write_b128 v0, v[6:9] offset:57344
.LBB398_9:
	s_or_b64 exec, exec, s[4:5]
	s_load_dwordx2 s[4:5], s[0:1], 0x48
	;;#ASMSTART
	s_waitcnt vmcnt(0)
	;;#ASMEND
	s_waitcnt lgkmcnt(0)
	s_barrier
	v_cmp_gt_u32_e32 vcc, s4, v5
	s_and_saveexec_b64 s[6:7], vcc
	s_cbranch_execz .LBB398_61
; %bb.10:
	s_load_dwordx2 s[20:21], s[0:1], 0x10
	s_mul_i32 s2, s2, s4
	v_add_lshl_u32 v58, s2, v5, 1
	v_cmp_gt_u32_e32 vcc, s19, v58
	s_and_b64 exec, exec, vcc
	s_cbranch_execz .LBB398_61
; %bb.11:
	s_load_dwordx8 s[8:15], s[0:1], 0x28
	s_load_dwordx2 s[22:23], s[0:1], 0x18
	v_mbcnt_lo_u32_b32 v0, -1, 0
	v_mbcnt_hi_u32_b32 v0, -1, v0
	s_cmp_lg_u32 s16, 0
	v_and_b32_e32 v1, 63, v0
	s_cselect_b64 s[2:3], -1, 0
	s_add_i32 s30, s16, -16
	s_add_i32 s31, s19, -1
	v_cmp_lt_u32_e32 vcc, 43, v1
	s_mul_i32 s6, s4, s5
	s_waitcnt lgkmcnt(0)
	s_cmp_lg_u64 s[8:9], 0
	v_cndmask_b32_e64 v2, 20, 0, vcc
	v_cmp_lt_u32_e32 vcc, 23, v1
	s_cselect_b64 s[4:5], -1, 0
	s_lshl_b32 s33, s6, 1
	v_cndmask_b32_e64 v1, 40, 0, vcc
	s_abs_i32 s6, s21
	v_add_lshl_u32 v57, v2, v0, 2
	v_add_lshl_u32 v68, v1, v0, 2
	v_cvt_f32_u32_e32 v0, s20
	v_cvt_f32_u32_e32 v1, s6
	s_sub_i32 s7, 0, s20
	s_load_dword s28, s[12:13], 0x0
	s_load_dword s29, s[14:15], 0x0
	v_rcp_iflag_f32_e32 v0, v0
	v_rcp_iflag_f32_e32 v1, v1
	s_lshl_b32 s34, s19, 1
	v_cmp_eq_u32_e64 s[0:1], 0, v4
	v_mul_f32_e32 v0, 0x4f7ffffe, v0
	v_mul_f32_e32 v1, 0x4f7ffffe, v1
	v_cvt_u32_f32_e32 v0, v0
	v_cvt_u32_f32_e32 v1, v1
	s_mov_b64 s[12:13], 0
	s_mul_i32 s21, s19, 3
	v_mul_lo_u32 v2, s7, v0
	s_sub_i32 s7, 0, s6
	v_readfirstlane_b32 s14, v1
	s_mul_i32 s7, s7, s14
	s_mul_hi_u32 s7, s14, s7
	s_add_i32 s14, s14, s7
	s_sub_i32 s7, 1, s6
	s_cmp_lt_u32 s6, 2
	s_cselect_b32 s7, s7, 1
	s_sub_i32 s15, s7, s6
	s_cmp_ge_u32 s7, s6
	s_cselect_b32 s35, s15, s7
	s_lshr_b32 s7, s14, 31
	s_mul_i32 s7, s7, s6
	s_sub_i32 s7, 2, s7
	s_sub_i32 s15, s7, s6
	s_cmp_ge_u32 s7, s6
	s_cselect_b32 s7, s15, s7
	s_sub_i32 s15, s7, s6
	s_cmp_ge_u32 s7, s6
	s_cselect_b32 s36, s15, s7
	s_mul_hi_u32 s7, s14, 3
	s_mul_i32 s7, s7, s6
	s_sub_i32 s7, 3, s7
	s_sub_i32 s14, s7, s6
	s_cmp_ge_u32 s7, s6
	s_cselect_b32 s7, s14, s7
	v_mul_hi_u32 v2, v0, v2
	s_sub_i32 s14, s7, s6
	v_add_u32_e32 v69, v0, v2
	s_cmp_ge_u32 s7, s6
	v_cndmask_b32_e64 v0, 0, 1, s[2:3]
	s_cselect_b32 s37, s14, s7
	v_mad_u64_u32 v[62:63], s[6:7], s17, 3, v[56:57]
	v_cmp_ne_u32_e64 s[2:3], 1, v0
	v_cndmask_b32_e64 v0, 0, 1, s[4:5]
	v_mov_b32_e32 v61, 0
	s_mul_i32 s35, s35, s20
	s_mul_i32 s36, s36, s20
	;; [unrolled: 1-line block ×3, first 2 shown]
	v_lshl_add_u32 v63, s17, 1, v56
	v_add_u32_e32 v70, s17, v56
	s_mov_b32 s17, 0x7f800000
	s_movk_i32 s38, 0x7fff
	v_cmp_ne_u32_e64 s[4:5], 1, v0
	s_branch .LBB398_14
.LBB398_12:                             ;   in Loop: Header=BB398_14 Depth=1
	s_or_b64 exec, exec, s[6:7]
	v_add_u32_e32 v60, s21, v71
	v_lshl_add_u64 v[2:3], v[60:61], 1, s[10:11]
	global_store_short_d16_hi v[2:3], v0, off
.LBB398_13:                             ;   in Loop: Header=BB398_14 Depth=1
	s_or_b64 exec, exec, s[14:15]
	v_add_u32_e32 v58, s33, v58
	v_cmp_le_u32_e32 vcc, s19, v58
	s_or_b64 s[12:13], vcc, s[12:13]
	s_andn2_b64 exec, exec, s[12:13]
	s_cbranch_execz .LBB398_61
.LBB398_14:                             ; =>This Loop Header: Depth=1
                                        ;     Child Loop BB398_17 Depth 2
	s_and_b64 vcc, exec, s[2:3]
	v_or_b32_e32 v71, 1, v58
	v_mov_b32_e32 v31, v61
	v_mov_b32_e32 v30, v61
	;; [unrolled: 1-line block ×9, first 2 shown]
	s_waitcnt lgkmcnt(0)
	v_mov_b32_e32 v22, v61
	v_mov_b32_e32 v21, v61
	;; [unrolled: 1-line block ×20, first 2 shown]
	s_waitcnt vmcnt(4)
	v_mov_b32_e32 v6, v61
	v_mov_b32_e32 v5, v61
	;; [unrolled: 1-line block ×3, first 2 shown]
	s_cbranch_vccnz .LBB398_19
; %bb.15:                               ;   in Loop: Header=BB398_14 Depth=1
	v_min_u32_e32 v0, s31, v58
	v_mul_lo_u32 v64, v0, s18
	v_min_u32_e32 v0, s31, v71
	v_mov_b32_e32 v4, 0
	v_mov_b32_e32 v65, v61
	v_mul_lo_u32 v66, v0, s18
	v_mov_b32_e32 v67, v61
	s_mov_b32 s14, 0
	v_mov_b32_e32 v5, v4
	v_mov_b32_e32 v6, v4
	;; [unrolled: 1-line block ×31, first 2 shown]
	s_branch .LBB398_17
.LBB398_16:                             ;   in Loop: Header=BB398_17 Depth=2
	s_or_b64 exec, exec, s[6:7]
	s_waitcnt vmcnt(1) lgkmcnt(0)
	v_mfma_f32_16x16x32_fp8_fp8 v[28:31], v[44:45], v[36:37], v[28:31]
	s_addk_i32 s14, 0x200
	s_cmp_ge_u32 s14, s16
	s_waitcnt vmcnt(0)
	v_mfma_f32_16x16x32_fp8_fp8 v[24:27], v[44:45], v[32:33], v[24:27]
	v_mfma_f32_16x16x32_fp8_fp8 v[20:23], v[48:49], v[36:37], v[20:23]
	;; [unrolled: 1-line block ×15, first 2 shown]
	s_cbranch_scc1 .LBB398_19
.LBB398_17:                             ;   Parent Loop BB398_14 Depth=1
                                        ; =>  This Inner Loop Header: Depth=2
	v_add_u32_e32 v59, s14, v56
	v_min_u32_e32 v60, s30, v59
	v_lshl_add_u64 v[32:33], s[22:23], 0, v[60:61]
	v_lshl_add_u64 v[40:41], v[32:33], 0, v[64:65]
	;; [unrolled: 1-line block ×3, first 2 shown]
	global_load_dwordx4 v[36:39], v[40:41], off nt
	global_load_dwordx4 v[32:35], v[42:43], off nt
	v_mov_b64_e32 v[44:45], 0
	v_cmp_gt_u32_e32 vcc, s16, v59
	v_mov_b64_e32 v[46:47], v[44:45]
	v_mov_b64_e32 v[48:49], v[44:45]
	;; [unrolled: 1-line block ×7, first 2 shown]
	s_and_saveexec_b64 s[6:7], vcc
	s_cbranch_execz .LBB398_16
; %bb.18:                               ;   in Loop: Header=BB398_17 Depth=2
	v_add_u32_e32 v40, s14, v70
	ds_read_b128 v[44:47], v59
	ds_read_b128 v[48:51], v40
	v_add_u32_e32 v40, s14, v63
	v_add_u32_e32 v41, s14, v62
	ds_read_b128 v[52:55], v40
	ds_read_b128 v[40:43], v41
	s_branch .LBB398_16
.LBB398_19:                             ;   in Loop: Header=BB398_14 Depth=1
	v_cvt_i32_f32_e32 v29, v29
	v_cvt_i32_f32_e32 v30, v30
	v_cvt_i32_f32_e32 v31, v31
	v_cvt_i32_f32_e32 v25, v25
	v_cvt_f32_i32_dpp v29, v29 row_shl:1 row_mask:0xf bank_mask:0xf bound_ctrl:1
	v_cvt_f32_i32_dpp v30, v30 row_shl:2 row_mask:0xf bank_mask:0xf bound_ctrl:1
	v_cvt_i32_f32_e32 v26, v26
	v_cvt_i32_f32_e32 v27, v27
	v_cvt_f32_i32_dpp v31, v31 row_shl:3 row_mask:0xf bank_mask:0xf bound_ctrl:1
	v_add_f32_e32 v28, v28, v29
	v_add_f32_e32 v28, v28, v30
	v_cvt_f32_i32_dpp v30, v25 row_shl:1 row_mask:0xf bank_mask:0xf bound_ctrl:1
	v_cvt_f32_i32_dpp v26, v26 row_shl:2 row_mask:0xf bank_mask:0xf bound_ctrl:1
	;; [unrolled: 1-line block ×3, first 2 shown]
	v_add_f32_e32 v28, v28, v31
	ds_bpermute_b32 v29, v57, v28
	v_add_f32_e32 v24, v24, v30
	v_add_f32_e32 v24, v24, v26
	v_cvt_i32_f32_e32 v21, v21
	v_add_f32_e32 v24, v24, v27
	v_cvt_i32_f32_e32 v27, v22
	v_cvt_i32_f32_e32 v23, v23
	s_waitcnt lgkmcnt(0)
	v_add_f32_e32 v25, v28, v29
	v_cvt_f32_i32_dpp v28, v21 row_shl:1 row_mask:0xf bank_mask:0xf bound_ctrl:1
	v_cvt_f32_i32_dpp v27, v27 row_shl:2 row_mask:0xf bank_mask:0xf bound_ctrl:1
	;; [unrolled: 1-line block ×3, first 2 shown]
	ds_bpermute_b32 v26, v57, v24
	v_add_f32_e32 v20, v20, v28
	v_add_f32_e32 v20, v20, v27
	v_cvt_i32_f32_e32 v17, v17
	v_cvt_i32_f32_e32 v13, v13
	v_add_f32_e32 v20, v20, v23
	v_cvt_i32_f32_e32 v23, v18
	v_cvt_i32_f32_e32 v14, v14
	;; [unrolled: 1-line block ×4, first 2 shown]
	s_waitcnt lgkmcnt(0)
	v_add_f32_e32 v21, v24, v26
	v_cvt_f32_i32_dpp v26, v17 row_shl:1 row_mask:0xf bank_mask:0xf bound_ctrl:1
	v_cvt_f32_i32_dpp v13, v13 row_shl:1 row_mask:0xf bank_mask:0xf bound_ctrl:1
	;; [unrolled: 1-line block ×4, first 2 shown]
	ds_bpermute_b32 v24, v57, v20
	v_cvt_f32_i32_dpp v19, v19 row_shl:3 row_mask:0xf bank_mask:0xf bound_ctrl:1
	v_cvt_f32_i32_dpp v15, v15 row_shl:3 row_mask:0xf bank_mask:0xf bound_ctrl:1
	v_cvt_i32_f32_e32 v1, v1
	v_cvt_i32_f32_e32 v2, v2
	v_add_f32_e32 v16, v16, v26
	v_add_f32_e32 v12, v12, v13
	;; [unrolled: 1-line block ×6, first 2 shown]
	v_cvt_f32_i32_dpp v1, v1 row_shl:1 row_mask:0xf bank_mask:0xf bound_ctrl:1
	s_waitcnt lgkmcnt(0)
	v_add_f32_e32 v17, v20, v24
	ds_bpermute_b32 v19, v57, v16
	ds_bpermute_b32 v20, v57, v14
	v_cvt_f32_i32_dpp v2, v2 row_shl:2 row_mask:0xf bank_mask:0xf bound_ctrl:1
	v_cvt_i32_f32_e32 v3, v3
	v_cvt_i32_f32_e32 v23, v9
	v_add_f32_e32 v0, v0, v1
	v_add_f32_e32 v0, v0, v2
	v_cvt_f32_i32_dpp v1, v3 row_shl:3 row_mask:0xf bank_mask:0xf bound_ctrl:1
	v_cvt_i32_f32_e32 v2, v5
	s_waitcnt lgkmcnt(1)
	v_add_f32_e32 v12, v16, v19
	s_waitcnt lgkmcnt(0)
	v_add_f32_e32 v9, v14, v20
	v_cvt_f32_i32_dpp v14, v23 row_shl:1 row_mask:0xf bank_mask:0xf bound_ctrl:1
	v_cvt_i32_f32_e32 v16, v10
	v_cvt_i32_f32_e32 v3, v6
	;; [unrolled: 1-line block ×4, first 2 shown]
	v_add_f32_e32 v0, v0, v1
	v_cvt_f32_i32_dpp v1, v2 row_shl:1 row_mask:0xf bank_mask:0xf bound_ctrl:1
	v_add_f32_e32 v8, v8, v14
	v_cvt_f32_i32_dpp v14, v16 row_shl:2 row_mask:0xf bank_mask:0xf bound_ctrl:1
	v_cvt_f32_i32_dpp v2, v3 row_shl:2 row_mask:0xf bank_mask:0xf bound_ctrl:1
	;; [unrolled: 1-line block ×4, first 2 shown]
	v_add_f32_e32 v1, v4, v1
	v_add_f32_e32 v8, v8, v14
	;; [unrolled: 1-line block ×5, first 2 shown]
	ds_bpermute_b32 v11, v57, v8
	ds_bpermute_b32 v5, v57, v0
	;; [unrolled: 1-line block ×5, first 2 shown]
	s_waitcnt lgkmcnt(4)
	v_add_f32_e32 v7, v8, v11
	s_waitcnt lgkmcnt(3)
	v_add_f32_e32 v4, v0, v5
	;; [unrolled: 2-line block ×3, first 2 shown]
	ds_bpermute_b32 v15, v68, v17
	ds_bpermute_b32 v13, v68, v12
	;; [unrolled: 1-line block ×6, first 2 shown]
	s_and_saveexec_b64 s[14:15], s[0:1]
	s_cbranch_execz .LBB398_13
; %bb.20:                               ;   in Loop: Header=BB398_14 Depth=1
	s_and_b64 vcc, exec, s[4:5]
	v_mov_b32_e32 v0, 0
	v_mov_b32_e32 v23, 0
	;; [unrolled: 1-line block ×8, first 2 shown]
	s_cbranch_vccnz .LBB398_22
; %bb.21:                               ;   in Loop: Header=BB398_14 Depth=1
	v_mul_hi_u32 v0, v58, v69
	v_mul_lo_u32 v0, v0, s20
	v_sub_u32_e32 v0, v58, v0
	v_subrev_u32_e32 v1, s20, v0
	v_cmp_le_u32_e32 vcc, s20, v0
	v_mov_b32_e32 v31, v61
	v_mov_b32_e32 v33, v61
	v_cndmask_b32_e32 v0, v0, v1, vcc
	v_subrev_u32_e32 v1, s20, v0
	v_cmp_le_u32_e32 vcc, s20, v0
	v_mov_b32_e32 v35, v61
	v_mov_b32_e32 v37, v61
	v_cndmask_b32_e32 v60, v0, v1, vcc
	v_mul_hi_u32 v0, v71, v69
	v_mul_lo_u32 v0, v0, s20
	v_sub_u32_e32 v0, v71, v0
	v_subrev_u32_e32 v1, s20, v0
	v_cmp_le_u32_e32 vcc, s20, v0
	v_lshl_add_u64 v[26:27], v[60:61], 1, s[8:9]
	v_add_u32_e32 v30, s35, v60
	v_cndmask_b32_e32 v0, v0, v1, vcc
	v_subrev_u32_e32 v1, s20, v0
	v_cmp_le_u32_e32 vcc, s20, v0
	v_add_u32_e32 v34, s36, v60
	v_add_u32_e32 v60, s37, v60
	v_cndmask_b32_e32 v0, v0, v1, vcc
	v_mov_b32_e32 v1, v61
	v_add_u32_e32 v32, s35, v0
	v_add_u32_e32 v36, s36, v0
	v_lshl_add_u64 v[38:39], v[60:61], 1, s[8:9]
	v_add_u32_e32 v60, s37, v0
	v_lshl_add_u64 v[28:29], v[0:1], 1, s[8:9]
	v_lshl_add_u64 v[30:31], v[30:31], 1, s[8:9]
	v_lshl_add_u64 v[32:33], v[32:33], 1, s[8:9]
	v_lshl_add_u64 v[34:35], v[34:35], 1, s[8:9]
	v_lshl_add_u64 v[36:37], v[36:37], 1, s[8:9]
	v_lshl_add_u64 v[40:41], v[60:61], 1, s[8:9]
	global_load_ushort v0, v[26:27], off
	global_load_ushort v23, v[28:29], off
	;; [unrolled: 1-line block ×8, first 2 shown]
.LBB398_22:                             ;   in Loop: Header=BB398_14 Depth=1
	s_waitcnt lgkmcnt(7)
	v_add_f32_e32 v1, v25, v22
	v_mul_f32_e32 v1, s28, v1
	s_waitcnt vmcnt(7)
	v_lshlrev_b32_e32 v0, 16, v0
	v_fmac_f32_e32 v0, s29, v1
	v_and_b32_e32 v1, 0x7f800000, v0
	v_cmp_ne_u32_e32 vcc, s17, v1
                                        ; implicit-def: $vgpr22
	s_and_saveexec_b64 s[6:7], vcc
	s_xor_b64 s[6:7], exec, s[6:7]
; %bb.23:                               ;   in Loop: Header=BB398_14 Depth=1
	v_bfe_u32 v1, v0, 16, 1
	v_add3_u32 v22, v0, v1, s38
                                        ; implicit-def: $vgpr0
; %bb.24:                               ;   in Loop: Header=BB398_14 Depth=1
	s_andn2_saveexec_b64 s[6:7], s[6:7]
; %bb.25:                               ;   in Loop: Header=BB398_14 Depth=1
	v_or_b32_e32 v1, 0x10000, v0
	v_cmp_eq_u32_sdwa vcc, v0, v61 src0_sel:WORD_0 src1_sel:DWORD
	s_nop 1
	v_cndmask_b32_e32 v22, v1, v0, vcc
; %bb.26:                               ;   in Loop: Header=BB398_14 Depth=1
	s_or_b64 exec, exec, s[6:7]
	v_mov_b32_e32 v59, v61
	v_lshl_add_u64 v[0:1], v[58:59], 1, s[10:11]
	v_cmp_gt_u32_e32 vcc, s19, v71
	global_store_short_d16_hi v[0:1], v22, off
	s_and_saveexec_b64 s[24:25], vcc
	s_cbranch_execz .LBB398_32
; %bb.27:                               ;   in Loop: Header=BB398_14 Depth=1
	s_waitcnt lgkmcnt(6)
	v_add_f32_e32 v18, v21, v18
	v_mul_f32_e32 v21, s28, v18
	s_waitcnt vmcnt(7)
	v_lshlrev_b32_e32 v18, 16, v23
	v_fmac_f32_e32 v18, s29, v21
	v_and_b32_e32 v21, 0x7f800000, v18
	v_cmp_ne_u32_e64 s[6:7], s17, v21
                                        ; implicit-def: $vgpr21
	s_and_saveexec_b64 s[26:27], s[6:7]
	s_xor_b64 s[6:7], exec, s[26:27]
; %bb.28:                               ;   in Loop: Header=BB398_14 Depth=1
	v_bfe_u32 v21, v18, 16, 1
	v_add3_u32 v21, v18, v21, s38
                                        ; implicit-def: $vgpr18
; %bb.29:                               ;   in Loop: Header=BB398_14 Depth=1
	s_andn2_saveexec_b64 s[26:27], s[6:7]
; %bb.30:                               ;   in Loop: Header=BB398_14 Depth=1
	v_or_b32_e32 v21, 0x10000, v18
	v_cmp_eq_u32_sdwa s[6:7], v18, v61 src0_sel:WORD_0 src1_sel:DWORD
	s_nop 1
	v_cndmask_b32_e64 v21, v21, v18, s[6:7]
; %bb.31:                               ;   in Loop: Header=BB398_14 Depth=1
	s_or_b64 exec, exec, s[26:27]
	global_store_short_d16_hi v[0:1], v21, off offset:2
.LBB398_32:                             ;   in Loop: Header=BB398_14 Depth=1
	s_or_b64 exec, exec, s[24:25]
	s_waitcnt lgkmcnt(5)
	v_add_f32_e32 v0, v17, v15
	v_mul_f32_e32 v1, s28, v0
	s_waitcnt vmcnt(6)
	v_lshlrev_b32_e32 v0, 16, v20
	v_fmac_f32_e32 v0, s29, v1
	v_and_b32_e32 v1, 0x7f800000, v0
	v_cmp_ne_u32_e64 s[6:7], s17, v1
                                        ; implicit-def: $vgpr1
	s_and_saveexec_b64 s[24:25], s[6:7]
	s_xor_b64 s[6:7], exec, s[24:25]
; %bb.33:                               ;   in Loop: Header=BB398_14 Depth=1
	v_bfe_u32 v1, v0, 16, 1
	v_add3_u32 v1, v0, v1, s38
                                        ; implicit-def: $vgpr0
; %bb.34:                               ;   in Loop: Header=BB398_14 Depth=1
	s_andn2_saveexec_b64 s[24:25], s[6:7]
; %bb.35:                               ;   in Loop: Header=BB398_14 Depth=1
	v_or_b32_e32 v1, 0x10000, v0
	v_cmp_eq_u32_sdwa s[6:7], v0, v61 src0_sel:WORD_0 src1_sel:DWORD
	s_nop 1
	v_cndmask_b32_e64 v1, v1, v0, s[6:7]
; %bb.36:                               ;   in Loop: Header=BB398_14 Depth=1
	s_or_b64 exec, exec, s[24:25]
	v_add_u32_e32 v60, s19, v58
	v_lshl_add_u64 v[20:21], v[60:61], 1, s[10:11]
	global_store_short_d16_hi v[20:21], v1, off
	s_and_saveexec_b64 s[24:25], vcc
	s_cbranch_execz .LBB398_42
; %bb.37:                               ;   in Loop: Header=BB398_14 Depth=1
	s_waitcnt lgkmcnt(4)
	v_add_f32_e32 v0, v12, v13
	v_mul_f32_e32 v0, s28, v0
	s_waitcnt vmcnt(6)
	v_lshlrev_b32_e32 v1, 16, v19
	v_fmac_f32_e32 v1, s29, v0
	v_and_b32_e32 v0, 0x7f800000, v1
	v_cmp_ne_u32_e64 s[6:7], s17, v0
                                        ; implicit-def: $vgpr0
	s_and_saveexec_b64 s[26:27], s[6:7]
	s_xor_b64 s[6:7], exec, s[26:27]
; %bb.38:                               ;   in Loop: Header=BB398_14 Depth=1
	v_bfe_u32 v0, v1, 16, 1
	v_add3_u32 v0, v1, v0, s38
                                        ; implicit-def: $vgpr1
; %bb.39:                               ;   in Loop: Header=BB398_14 Depth=1
	s_andn2_saveexec_b64 s[26:27], s[6:7]
; %bb.40:                               ;   in Loop: Header=BB398_14 Depth=1
	v_or_b32_e32 v0, 0x10000, v1
	v_cmp_eq_u32_sdwa s[6:7], v1, v61 src0_sel:WORD_0 src1_sel:DWORD
	s_nop 1
	v_cndmask_b32_e64 v0, v0, v1, s[6:7]
; %bb.41:                               ;   in Loop: Header=BB398_14 Depth=1
	s_or_b64 exec, exec, s[26:27]
	v_add_u32_e32 v12, s19, v71
	v_mov_b32_e32 v13, v61
	v_lshl_add_u64 v[12:13], v[12:13], 1, s[10:11]
	global_store_short_d16_hi v[12:13], v0, off
.LBB398_42:                             ;   in Loop: Header=BB398_14 Depth=1
	s_or_b64 exec, exec, s[24:25]
	s_waitcnt lgkmcnt(3)
	v_add_f32_e32 v0, v9, v10
	v_mul_f32_e32 v1, s28, v0
	s_waitcnt vmcnt(5)
	v_lshlrev_b32_e32 v0, 16, v16
	v_fmac_f32_e32 v0, s29, v1
	v_and_b32_e32 v1, 0x7f800000, v0
	v_cmp_ne_u32_e64 s[6:7], s17, v1
                                        ; implicit-def: $vgpr1
	s_and_saveexec_b64 s[24:25], s[6:7]
	s_xor_b64 s[6:7], exec, s[24:25]
; %bb.43:                               ;   in Loop: Header=BB398_14 Depth=1
	v_bfe_u32 v1, v0, 16, 1
	v_add3_u32 v1, v0, v1, s38
                                        ; implicit-def: $vgpr0
; %bb.44:                               ;   in Loop: Header=BB398_14 Depth=1
	s_andn2_saveexec_b64 s[24:25], s[6:7]
; %bb.45:                               ;   in Loop: Header=BB398_14 Depth=1
	v_or_b32_e32 v1, 0x10000, v0
	v_cmp_eq_u32_sdwa s[6:7], v0, v61 src0_sel:WORD_0 src1_sel:DWORD
	s_nop 1
	v_cndmask_b32_e64 v1, v1, v0, s[6:7]
; %bb.46:                               ;   in Loop: Header=BB398_14 Depth=1
	s_or_b64 exec, exec, s[24:25]
	v_add_u32_e32 v60, s19, v60
	v_lshl_add_u64 v[12:13], v[60:61], 1, s[10:11]
	global_store_short_d16_hi v[12:13], v1, off
	s_and_saveexec_b64 s[24:25], vcc
	s_cbranch_execz .LBB398_52
; %bb.47:                               ;   in Loop: Header=BB398_14 Depth=1
	s_waitcnt lgkmcnt(2)
	v_add_f32_e32 v0, v7, v8
	v_mul_f32_e32 v0, s28, v0
	s_waitcnt vmcnt(5)
	v_lshlrev_b32_e32 v1, 16, v14
	v_fmac_f32_e32 v1, s29, v0
	v_and_b32_e32 v0, 0x7f800000, v1
	v_cmp_ne_u32_e64 s[6:7], s17, v0
                                        ; implicit-def: $vgpr0
	s_and_saveexec_b64 s[26:27], s[6:7]
	s_xor_b64 s[6:7], exec, s[26:27]
; %bb.48:                               ;   in Loop: Header=BB398_14 Depth=1
	v_bfe_u32 v0, v1, 16, 1
	v_add3_u32 v0, v1, v0, s38
                                        ; implicit-def: $vgpr1
; %bb.49:                               ;   in Loop: Header=BB398_14 Depth=1
	s_andn2_saveexec_b64 s[26:27], s[6:7]
; %bb.50:                               ;   in Loop: Header=BB398_14 Depth=1
	v_or_b32_e32 v0, 0x10000, v1
	v_cmp_eq_u32_sdwa s[6:7], v1, v61 src0_sel:WORD_0 src1_sel:DWORD
	s_nop 1
	v_cndmask_b32_e64 v0, v0, v1, s[6:7]
; %bb.51:                               ;   in Loop: Header=BB398_14 Depth=1
	s_or_b64 exec, exec, s[26:27]
	v_add_u32_e32 v8, s34, v71
	v_mov_b32_e32 v9, v61
	v_lshl_add_u64 v[8:9], v[8:9], 1, s[10:11]
	global_store_short_d16_hi v[8:9], v0, off
.LBB398_52:                             ;   in Loop: Header=BB398_14 Depth=1
	s_or_b64 exec, exec, s[24:25]
	s_waitcnt lgkmcnt(1)
	v_add_f32_e32 v0, v4, v5
	v_mul_f32_e32 v1, s28, v0
	s_waitcnt vmcnt(4)
	v_lshlrev_b32_e32 v0, 16, v11
	v_fmac_f32_e32 v0, s29, v1
	v_and_b32_e32 v1, 0x7f800000, v0
	v_cmp_ne_u32_e64 s[6:7], s17, v1
                                        ; implicit-def: $vgpr1
	s_and_saveexec_b64 s[24:25], s[6:7]
	s_xor_b64 s[6:7], exec, s[24:25]
; %bb.53:                               ;   in Loop: Header=BB398_14 Depth=1
	v_bfe_u32 v1, v0, 16, 1
	v_add3_u32 v1, v0, v1, s38
                                        ; implicit-def: $vgpr0
; %bb.54:                               ;   in Loop: Header=BB398_14 Depth=1
	s_andn2_saveexec_b64 s[24:25], s[6:7]
; %bb.55:                               ;   in Loop: Header=BB398_14 Depth=1
	v_or_b32_e32 v1, 0x10000, v0
	v_cmp_eq_u32_sdwa s[6:7], v0, v61 src0_sel:WORD_0 src1_sel:DWORD
	s_nop 1
	v_cndmask_b32_e64 v1, v1, v0, s[6:7]
; %bb.56:                               ;   in Loop: Header=BB398_14 Depth=1
	s_or_b64 exec, exec, s[24:25]
	v_add_u32_e32 v60, s19, v60
	v_lshl_add_u64 v[4:5], v[60:61], 1, s[10:11]
	global_store_short_d16_hi v[4:5], v1, off
	s_and_b64 exec, exec, vcc
	s_cbranch_execz .LBB398_13
; %bb.57:                               ;   in Loop: Header=BB398_14 Depth=1
	s_waitcnt lgkmcnt(0)
	v_add_f32_e32 v0, v2, v3
	v_mul_f32_e32 v0, s28, v0
	s_waitcnt vmcnt(4)
	v_lshlrev_b32_e32 v1, 16, v6
	v_fmac_f32_e32 v1, s29, v0
	v_and_b32_e32 v0, 0x7f800000, v1
	v_cmp_ne_u32_e32 vcc, s17, v0
                                        ; implicit-def: $vgpr0
	s_and_saveexec_b64 s[6:7], vcc
	s_xor_b64 s[6:7], exec, s[6:7]
; %bb.58:                               ;   in Loop: Header=BB398_14 Depth=1
	v_bfe_u32 v0, v1, 16, 1
	v_add3_u32 v0, v1, v0, s38
                                        ; implicit-def: $vgpr1
; %bb.59:                               ;   in Loop: Header=BB398_14 Depth=1
	s_andn2_saveexec_b64 s[6:7], s[6:7]
	s_cbranch_execz .LBB398_12
; %bb.60:                               ;   in Loop: Header=BB398_14 Depth=1
	v_or_b32_e32 v0, 0x10000, v1
	v_cmp_eq_u32_sdwa vcc, v1, v61 src0_sel:WORD_0 src1_sel:DWORD
	s_nop 1
	v_cndmask_b32_e32 v0, v0, v1, vcc
	s_branch .LBB398_12
.LBB398_61:
	s_endpgm
	.section	.rodata,"a",@progbits
	.p2align	6, 0x0
	.amdhsa_kernel _Z17wvSplitKQ_hf_sml_I14__hip_bfloat16N3c1015Float8_e4m3fnuzELi32ELi2ELi16ELi16ELi1ELi4EEviiiiiiPKT0_S5_PKT_PS6_PKfSB_ii
		.amdhsa_group_segment_fixed_size 65536
		.amdhsa_private_segment_fixed_size 0
		.amdhsa_kernarg_size 80
		.amdhsa_user_sgpr_count 2
		.amdhsa_user_sgpr_dispatch_ptr 0
		.amdhsa_user_sgpr_queue_ptr 0
		.amdhsa_user_sgpr_kernarg_segment_ptr 1
		.amdhsa_user_sgpr_dispatch_id 0
		.amdhsa_user_sgpr_kernarg_preload_length 0
		.amdhsa_user_sgpr_kernarg_preload_offset 0
		.amdhsa_user_sgpr_private_segment_size 0
		.amdhsa_uses_dynamic_stack 0
		.amdhsa_enable_private_segment 0
		.amdhsa_system_sgpr_workgroup_id_x 1
		.amdhsa_system_sgpr_workgroup_id_y 0
		.amdhsa_system_sgpr_workgroup_id_z 0
		.amdhsa_system_sgpr_workgroup_info 0
		.amdhsa_system_vgpr_workitem_id 1
		.amdhsa_next_free_vgpr 72
		.amdhsa_next_free_sgpr 39
		.amdhsa_accum_offset 72
		.amdhsa_reserve_vcc 1
		.amdhsa_float_round_mode_32 0
		.amdhsa_float_round_mode_16_64 0
		.amdhsa_float_denorm_mode_32 3
		.amdhsa_float_denorm_mode_16_64 3
		.amdhsa_dx10_clamp 1
		.amdhsa_ieee_mode 1
		.amdhsa_fp16_overflow 0
		.amdhsa_tg_split 0
		.amdhsa_exception_fp_ieee_invalid_op 0
		.amdhsa_exception_fp_denorm_src 0
		.amdhsa_exception_fp_ieee_div_zero 0
		.amdhsa_exception_fp_ieee_overflow 0
		.amdhsa_exception_fp_ieee_underflow 0
		.amdhsa_exception_fp_ieee_inexact 0
		.amdhsa_exception_int_div_zero 0
	.end_amdhsa_kernel
	.section	.text._Z17wvSplitKQ_hf_sml_I14__hip_bfloat16N3c1015Float8_e4m3fnuzELi32ELi2ELi16ELi16ELi1ELi4EEviiiiiiPKT0_S5_PKT_PS6_PKfSB_ii,"axG",@progbits,_Z17wvSplitKQ_hf_sml_I14__hip_bfloat16N3c1015Float8_e4m3fnuzELi32ELi2ELi16ELi16ELi1ELi4EEviiiiiiPKT0_S5_PKT_PS6_PKfSB_ii,comdat
.Lfunc_end398:
	.size	_Z17wvSplitKQ_hf_sml_I14__hip_bfloat16N3c1015Float8_e4m3fnuzELi32ELi2ELi16ELi16ELi1ELi4EEviiiiiiPKT0_S5_PKT_PS6_PKfSB_ii, .Lfunc_end398-_Z17wvSplitKQ_hf_sml_I14__hip_bfloat16N3c1015Float8_e4m3fnuzELi32ELi2ELi16ELi16ELi1ELi4EEviiiiiiPKT0_S5_PKT_PS6_PKfSB_ii
                                        ; -- End function
	.section	.AMDGPU.csdata,"",@progbits
; Kernel info:
; codeLenInByte = 3532
; NumSgprs: 45
; NumVgprs: 72
; NumAgprs: 0
; TotalNumVgprs: 72
; ScratchSize: 0
; MemoryBound: 0
; FloatMode: 240
; IeeeMode: 1
; LDSByteSize: 65536 bytes/workgroup (compile time only)
; SGPRBlocks: 5
; VGPRBlocks: 8
; NumSGPRsForWavesPerEU: 45
; NumVGPRsForWavesPerEU: 72
; AccumOffset: 72
; Occupancy: 2
; WaveLimiterHint : 0
; COMPUTE_PGM_RSRC2:SCRATCH_EN: 0
; COMPUTE_PGM_RSRC2:USER_SGPR: 2
; COMPUTE_PGM_RSRC2:TRAP_HANDLER: 0
; COMPUTE_PGM_RSRC2:TGID_X_EN: 1
; COMPUTE_PGM_RSRC2:TGID_Y_EN: 0
; COMPUTE_PGM_RSRC2:TGID_Z_EN: 0
; COMPUTE_PGM_RSRC2:TIDIG_COMP_CNT: 1
; COMPUTE_PGM_RSRC3_GFX90A:ACCUM_OFFSET: 17
; COMPUTE_PGM_RSRC3_GFX90A:TG_SPLIT: 0
	.section	.text._Z13wvSplitKQ_hf_I14__hip_bfloat16N3c1015Float8_e4m3fnuzELi32ELi2ELi16ELi16ELi1ELi4EEviiiiiiPKT0_S5_PKT_PS6_PKfSB_ii,"axG",@progbits,_Z13wvSplitKQ_hf_I14__hip_bfloat16N3c1015Float8_e4m3fnuzELi32ELi2ELi16ELi16ELi1ELi4EEviiiiiiPKT0_S5_PKT_PS6_PKfSB_ii,comdat
	.protected	_Z13wvSplitKQ_hf_I14__hip_bfloat16N3c1015Float8_e4m3fnuzELi32ELi2ELi16ELi16ELi1ELi4EEviiiiiiPKT0_S5_PKT_PS6_PKfSB_ii ; -- Begin function _Z13wvSplitKQ_hf_I14__hip_bfloat16N3c1015Float8_e4m3fnuzELi32ELi2ELi16ELi16ELi1ELi4EEviiiiiiPKT0_S5_PKT_PS6_PKfSB_ii
	.globl	_Z13wvSplitKQ_hf_I14__hip_bfloat16N3c1015Float8_e4m3fnuzELi32ELi2ELi16ELi16ELi1ELi4EEviiiiiiPKT0_S5_PKT_PS6_PKfSB_ii
	.p2align	8
	.type	_Z13wvSplitKQ_hf_I14__hip_bfloat16N3c1015Float8_e4m3fnuzELi32ELi2ELi16ELi16ELi1ELi4EEviiiiiiPKT0_S5_PKT_PS6_PKfSB_ii,@function
_Z13wvSplitKQ_hf_I14__hip_bfloat16N3c1015Float8_e4m3fnuzELi32ELi2ELi16ELi16ELi1ELi4EEviiiiiiPKT0_S5_PKT_PS6_PKfSB_ii: ; @_Z13wvSplitKQ_hf_I14__hip_bfloat16N3c1015Float8_e4m3fnuzELi32ELi2ELi16ELi16ELi1ELi4EEviiiiiiPKT0_S5_PKT_PS6_PKfSB_ii
; %bb.0:
	s_load_dwordx4 s[16:19], s[0:1], 0x0
	s_load_dwordx2 s[6:7], s[0:1], 0x20
	v_and_b32_e32 v4, 0x3ff, v0
	v_bfe_u32 v5, v0, 10, 10
	v_lshlrev_b32_e32 v56, 4, v4
	s_waitcnt lgkmcnt(0)
	s_lshl_b32 s3, s17, 2
	v_lshl_add_u32 v0, v5, 9, v56
	s_min_u32 s3, s3, 0x10000
	v_cmp_gt_u32_e32 vcc, s3, v0
	s_and_saveexec_b64 s[4:5], vcc
	s_cbranch_execz .LBB399_9
; %bb.1:
	global_load_dwordx4 v[6:9], v0, s[6:7]
	v_add_u32_e32 v1, 0x2000, v0
	v_cmp_gt_u32_e32 vcc, s3, v1
	s_waitcnt vmcnt(0)
	ds_write_b128 v0, v[6:9]
	s_and_saveexec_b64 s[8:9], vcc
	s_xor_b64 s[8:9], exec, s[8:9]
	s_cbranch_execz .LBB399_9
; %bb.2:
	v_mov_b32_e32 v1, 0
	v_lshl_add_u64 v[2:3], s[6:7], 0, v[0:1]
	v_add_co_u32_e32 v6, vcc, 0x2000, v2
	v_add_u32_e32 v1, 0x4000, v0
	s_nop 0
	v_addc_co_u32_e32 v7, vcc, 0, v3, vcc
	global_load_dwordx4 v[6:9], v[6:7], off
	v_cmp_gt_u32_e32 vcc, s3, v1
	s_waitcnt vmcnt(0)
	ds_write_b128 v0, v[6:9] offset:8192
	s_and_saveexec_b64 s[8:9], vcc
	s_xor_b64 s[8:9], exec, s[8:9]
	s_cbranch_execz .LBB399_9
; %bb.3:
	v_add_co_u32_e32 v6, vcc, 0x4000, v2
	v_add_u32_e32 v1, 0x6000, v0
	s_nop 0
	v_addc_co_u32_e32 v7, vcc, 0, v3, vcc
	global_load_dwordx4 v[6:9], v[6:7], off
	v_cmp_gt_u32_e32 vcc, s3, v1
	s_waitcnt vmcnt(0)
	ds_write_b128 v0, v[6:9] offset:16384
	s_and_saveexec_b64 s[8:9], vcc
	s_xor_b64 s[8:9], exec, s[8:9]
	s_cbranch_execz .LBB399_9
; %bb.4:
	;; [unrolled: 12-line block ×6, first 2 shown]
	v_add_co_u32_e32 v2, vcc, 0xe000, v2
	s_nop 1
	v_addc_co_u32_e32 v3, vcc, 0, v3, vcc
	global_load_dwordx4 v[6:9], v[2:3], off
	s_waitcnt vmcnt(0)
	ds_write_b128 v0, v[6:9] offset:57344
.LBB399_9:
	s_or_b64 exec, exec, s[4:5]
	s_load_dwordx2 s[4:5], s[0:1], 0x48
	;;#ASMSTART
	s_waitcnt vmcnt(0)
	;;#ASMEND
	s_waitcnt lgkmcnt(0)
	s_barrier
	v_cmp_gt_u32_e32 vcc, s4, v5
	s_and_saveexec_b64 s[8:9], vcc
	s_cbranch_execz .LBB399_77
; %bb.10:
	s_load_dwordx2 s[20:21], s[0:1], 0x10
	s_mul_i32 s2, s2, s4
	v_add_lshl_u32 v58, s2, v5, 1
	v_cmp_gt_u32_e32 vcc, s19, v58
	s_and_b64 exec, exec, vcc
	s_cbranch_execz .LBB399_77
; %bb.11:
	s_load_dwordx8 s[8:15], s[0:1], 0x28
	s_load_dwordx2 s[22:23], s[0:1], 0x18
	v_mbcnt_lo_u32_b32 v0, -1, 0
	v_mbcnt_hi_u32_b32 v0, -1, v0
	s_cmp_lg_u32 s16, 0
	v_and_b32_e32 v1, 63, v0
	s_cselect_b64 s[2:3], -1, 0
	s_add_i32 s33, s16, -16
	s_add_i32 s34, s19, -1
	v_cmp_lt_u32_e32 vcc, 43, v1
	s_mul_i32 s4, s4, s5
	s_waitcnt lgkmcnt(0)
	s_cmp_lg_u64 s[8:9], 0
	v_cndmask_b32_e64 v2, 20, 0, vcc
	v_cmp_lt_u32_e32 vcc, 23, v1
	s_load_dword s30, s[12:13], 0x0
	s_load_dword s31, s[14:15], 0x0
	v_cndmask_b32_e64 v1, 40, 0, vcc
	s_cselect_b64 s[14:15], -1, 0
	s_lshl_b32 s35, s4, 1
	s_abs_i32 s4, s21
	v_add_lshl_u32 v57, v2, v0, 2
	v_add_lshl_u32 v68, v1, v0, 2
	v_cvt_f32_u32_e32 v0, s20
	v_cvt_f32_u32_e32 v1, s4
	s_sub_i32 s5, 0, s20
	s_lshl_b32 s36, s19, 1
	v_rcp_iflag_f32_e32 v0, v0
	v_rcp_iflag_f32_e32 v1, v1
	v_cmp_eq_u32_e64 s[0:1], 0, v4
	s_mov_b64 s[12:13], 0
	v_mul_f32_e32 v0, 0x4f7ffffe, v0
	v_mul_f32_e32 v1, 0x4f7ffffe, v1
	v_cvt_u32_f32_e32 v0, v0
	v_cvt_u32_f32_e32 v1, v1
	s_mul_i32 s21, s19, 3
	v_mov_b32_e32 v61, 0
	v_mul_lo_u32 v2, s5, v0
	s_sub_i32 s5, 0, s4
	v_readfirstlane_b32 s24, v1
	s_mul_i32 s5, s5, s24
	s_mul_hi_u32 s5, s24, s5
	s_add_i32 s24, s24, s5
	s_sub_i32 s5, 1, s4
	s_cmp_lt_u32 s4, 2
	s_cselect_b32 s5, s5, 1
	s_sub_i32 s25, s5, s4
	s_cmp_ge_u32 s5, s4
	s_cselect_b32 s37, s25, s5
	s_lshr_b32 s5, s24, 31
	s_mul_i32 s5, s5, s4
	s_sub_i32 s5, 2, s5
	s_sub_i32 s25, s5, s4
	s_cmp_ge_u32 s5, s4
	s_cselect_b32 s5, s25, s5
	s_sub_i32 s25, s5, s4
	s_cmp_ge_u32 s5, s4
	s_cselect_b32 s38, s25, s5
	s_mul_hi_u32 s5, s24, 3
	s_mul_i32 s5, s5, s4
	s_sub_i32 s5, 3, s5
	s_sub_i32 s24, s5, s4
	s_cmp_ge_u32 s5, s4
	s_cselect_b32 s5, s24, s5
	s_sub_i32 s24, s5, s4
	v_mul_hi_u32 v2, v0, v2
	s_cmp_ge_u32 s5, s4
	v_add_u32_e32 v69, v0, v2
	s_cselect_b32 s39, s24, s5
	v_mad_u64_u32 v[62:63], s[4:5], s17, 3, v[56:57]
	v_cndmask_b32_e64 v0, 0, 1, s[2:3]
	s_mul_i32 s37, s37, s20
	s_mul_i32 s38, s38, s20
	;; [unrolled: 1-line block ×3, first 2 shown]
	v_lshl_add_u32 v70, s17, 1, v56
	v_add_u32_e32 v63, s17, v56
	v_cmp_ne_u32_e64 s[2:3], 1, v0
	s_mov_b32 s17, 0xffff
	s_mov_b32 s40, 0x7f800000
	s_movk_i32 s41, 0x7fff
	s_branch .LBB399_14
.LBB399_12:                             ;   in Loop: Header=BB399_14 Depth=1
	s_or_b64 exec, exec, s[4:5]
	v_add_u32_e32 v60, s21, v71
	v_lshl_add_u64 v[2:3], v[60:61], 1, s[10:11]
	global_store_short_d16_hi v[2:3], v0, off
.LBB399_13:                             ;   in Loop: Header=BB399_14 Depth=1
	s_or_b64 exec, exec, s[24:25]
	v_add_u32_e32 v58, s35, v58
	v_cmp_le_u32_e32 vcc, s19, v58
	s_or_b64 s[12:13], vcc, s[12:13]
	s_andn2_b64 exec, exec, s[12:13]
	s_cbranch_execz .LBB399_77
.LBB399_14:                             ; =>This Loop Header: Depth=1
                                        ;     Child Loop BB399_18 Depth 2
	s_and_b64 vcc, exec, s[2:3]
	v_or_b32_e32 v71, 1, v58
	v_mov_b32_e32 v31, v61
	v_mov_b32_e32 v30, v61
	;; [unrolled: 1-line block ×9, first 2 shown]
	s_waitcnt lgkmcnt(0)
	v_mov_b32_e32 v22, v61
	v_mov_b32_e32 v21, v61
	;; [unrolled: 1-line block ×20, first 2 shown]
	s_waitcnt vmcnt(4)
	v_mov_b32_e32 v6, v61
	v_mov_b32_e32 v5, v61
	;; [unrolled: 1-line block ×3, first 2 shown]
	s_cbranch_vccnz .LBB399_35
; %bb.15:                               ;   in Loop: Header=BB399_14 Depth=1
	v_min_u32_e32 v0, s34, v58
	v_mul_lo_u32 v64, v0, s18
	v_min_u32_e32 v0, s34, v71
	v_mov_b32_e32 v4, 0
	v_mov_b32_e32 v65, v61
	v_mul_lo_u32 v66, v0, s18
	v_mov_b32_e32 v67, v61
	s_mov_b32 s26, 0
	v_mov_b32_e32 v5, v4
	v_mov_b32_e32 v6, v4
	;; [unrolled: 1-line block ×31, first 2 shown]
	s_branch .LBB399_18
.LBB399_16:                             ;   in Loop: Header=BB399_18 Depth=2
	s_or_b64 exec, exec, s[24:25]
.LBB399_17:                             ;   in Loop: Header=BB399_18 Depth=2
	s_or_b64 exec, exec, s[4:5]
	s_waitcnt vmcnt(0) lgkmcnt(0)
	v_mfma_f32_16x16x32_fp8_fp8 v[28:31], v[40:41], v[36:37], v[28:31]
	s_addk_i32 s26, 0x200
	s_cmp_ge_u32 s26, s16
	v_mfma_f32_16x16x32_fp8_fp8 v[24:27], v[40:41], v[32:33], v[24:27]
	v_mfma_f32_16x16x32_fp8_fp8 v[20:23], v[44:45], v[36:37], v[20:23]
	;; [unrolled: 1-line block ×15, first 2 shown]
	s_cbranch_scc1 .LBB399_35
.LBB399_18:                             ;   Parent Loop BB399_14 Depth=1
                                        ; =>  This Inner Loop Header: Depth=2
	v_add_u32_e32 v59, s26, v56
	v_min_u32_e32 v60, s33, v59
	v_lshl_add_u64 v[32:33], s[22:23], 0, v[60:61]
	v_lshl_add_u64 v[40:41], v[32:33], 0, v[64:65]
	;; [unrolled: 1-line block ×3, first 2 shown]
	global_load_dwordx4 v[36:39], v[40:41], off nt
	global_load_dwordx4 v[32:35], v[42:43], off nt
	v_mov_b64_e32 v[54:55], 0
	v_cmp_gt_u32_e32 vcc, s16, v59
	v_mov_b64_e32 v[52:53], v[54:55]
	v_mov_b64_e32 v[50:51], v[54:55]
	;; [unrolled: 1-line block ×7, first 2 shown]
	s_and_saveexec_b64 s[4:5], vcc
	s_cbranch_execz .LBB399_17
; %bb.19:                               ;   in Loop: Header=BB399_18 Depth=2
	v_cmp_lt_u32_e32 vcc, s17, v59
                                        ; implicit-def: $vgpr42_vgpr43
	s_and_saveexec_b64 s[24:25], vcc
	s_xor_b64 s[24:25], exec, s[24:25]
	s_cbranch_execz .LBB399_21
; %bb.20:                               ;   in Loop: Header=BB399_18 Depth=2
	global_load_dwordx4 v[40:43], v59, s[6:7]
                                        ; implicit-def: $vgpr59
.LBB399_21:                             ;   in Loop: Header=BB399_18 Depth=2
	s_andn2_saveexec_b64 s[24:25], s[24:25]
	s_cbranch_execz .LBB399_23
; %bb.22:                               ;   in Loop: Header=BB399_18 Depth=2
	s_waitcnt vmcnt(0)
	ds_read_b128 v[40:43], v59
.LBB399_23:                             ;   in Loop: Header=BB399_18 Depth=2
	s_or_b64 exec, exec, s[24:25]
	v_add_u32_e32 v48, s26, v63
	v_cmp_lt_u32_e32 vcc, s17, v48
                                        ; implicit-def: $vgpr46_vgpr47
	s_and_saveexec_b64 s[24:25], vcc
	s_xor_b64 s[24:25], exec, s[24:25]
	s_cbranch_execz .LBB399_25
; %bb.24:                               ;   in Loop: Header=BB399_18 Depth=2
	global_load_dwordx4 v[44:47], v48, s[6:7]
                                        ; implicit-def: $vgpr48
.LBB399_25:                             ;   in Loop: Header=BB399_18 Depth=2
	s_andn2_saveexec_b64 s[24:25], s[24:25]
	s_cbranch_execz .LBB399_27
; %bb.26:                               ;   in Loop: Header=BB399_18 Depth=2
	s_waitcnt vmcnt(0)
	ds_read_b128 v[44:47], v48
.LBB399_27:                             ;   in Loop: Header=BB399_18 Depth=2
	s_or_b64 exec, exec, s[24:25]
	v_add_u32_e32 v52, s26, v70
	v_cmp_lt_u32_e32 vcc, s17, v52
                                        ; implicit-def: $vgpr50_vgpr51
	s_and_saveexec_b64 s[24:25], vcc
	s_xor_b64 s[24:25], exec, s[24:25]
	s_cbranch_execz .LBB399_29
; %bb.28:                               ;   in Loop: Header=BB399_18 Depth=2
	global_load_dwordx4 v[48:51], v52, s[6:7]
                                        ; implicit-def: $vgpr52
.LBB399_29:                             ;   in Loop: Header=BB399_18 Depth=2
	s_andn2_saveexec_b64 s[24:25], s[24:25]
	s_cbranch_execz .LBB399_31
; %bb.30:                               ;   in Loop: Header=BB399_18 Depth=2
	s_waitcnt vmcnt(0)
	ds_read_b128 v[48:51], v52
.LBB399_31:                             ;   in Loop: Header=BB399_18 Depth=2
	s_or_b64 exec, exec, s[24:25]
	v_add_u32_e32 v59, s26, v62
	v_cmp_lt_u32_e32 vcc, s17, v59
                                        ; implicit-def: $vgpr54_vgpr55
	s_and_saveexec_b64 s[24:25], vcc
	s_xor_b64 s[24:25], exec, s[24:25]
	s_cbranch_execz .LBB399_33
; %bb.32:                               ;   in Loop: Header=BB399_18 Depth=2
	global_load_dwordx4 v[52:55], v59, s[6:7]
                                        ; implicit-def: $vgpr59
.LBB399_33:                             ;   in Loop: Header=BB399_18 Depth=2
	s_andn2_saveexec_b64 s[24:25], s[24:25]
	s_cbranch_execz .LBB399_16
; %bb.34:                               ;   in Loop: Header=BB399_18 Depth=2
	s_waitcnt vmcnt(0)
	ds_read_b128 v[52:55], v59
	s_branch .LBB399_16
.LBB399_35:                             ;   in Loop: Header=BB399_14 Depth=1
	v_cvt_i32_f32_e32 v29, v29
	v_cvt_i32_f32_e32 v30, v30
	v_cvt_i32_f32_e32 v31, v31
	v_cvt_i32_f32_e32 v25, v25
	v_cvt_f32_i32_dpp v29, v29 row_shl:1 row_mask:0xf bank_mask:0xf bound_ctrl:1
	v_cvt_f32_i32_dpp v30, v30 row_shl:2 row_mask:0xf bank_mask:0xf bound_ctrl:1
	v_cvt_i32_f32_e32 v26, v26
	v_cvt_i32_f32_e32 v27, v27
	v_cvt_f32_i32_dpp v31, v31 row_shl:3 row_mask:0xf bank_mask:0xf bound_ctrl:1
	v_add_f32_e32 v28, v28, v29
	v_add_f32_e32 v28, v28, v30
	v_cvt_f32_i32_dpp v30, v25 row_shl:1 row_mask:0xf bank_mask:0xf bound_ctrl:1
	v_cvt_f32_i32_dpp v26, v26 row_shl:2 row_mask:0xf bank_mask:0xf bound_ctrl:1
	;; [unrolled: 1-line block ×3, first 2 shown]
	v_add_f32_e32 v28, v28, v31
	ds_bpermute_b32 v29, v57, v28
	v_add_f32_e32 v24, v24, v30
	v_add_f32_e32 v24, v24, v26
	v_cvt_i32_f32_e32 v21, v21
	v_add_f32_e32 v24, v24, v27
	v_cvt_i32_f32_e32 v27, v22
	v_cvt_i32_f32_e32 v23, v23
	s_waitcnt lgkmcnt(0)
	v_add_f32_e32 v25, v28, v29
	v_cvt_f32_i32_dpp v28, v21 row_shl:1 row_mask:0xf bank_mask:0xf bound_ctrl:1
	v_cvt_f32_i32_dpp v27, v27 row_shl:2 row_mask:0xf bank_mask:0xf bound_ctrl:1
	;; [unrolled: 1-line block ×3, first 2 shown]
	ds_bpermute_b32 v26, v57, v24
	v_add_f32_e32 v20, v20, v28
	v_add_f32_e32 v20, v20, v27
	v_cvt_i32_f32_e32 v17, v17
	v_cvt_i32_f32_e32 v13, v13
	v_add_f32_e32 v20, v20, v23
	v_cvt_i32_f32_e32 v23, v18
	v_cvt_i32_f32_e32 v14, v14
	;; [unrolled: 1-line block ×4, first 2 shown]
	s_waitcnt lgkmcnt(0)
	v_add_f32_e32 v21, v24, v26
	v_cvt_f32_i32_dpp v26, v17 row_shl:1 row_mask:0xf bank_mask:0xf bound_ctrl:1
	v_cvt_f32_i32_dpp v13, v13 row_shl:1 row_mask:0xf bank_mask:0xf bound_ctrl:1
	;; [unrolled: 1-line block ×4, first 2 shown]
	ds_bpermute_b32 v24, v57, v20
	v_cvt_f32_i32_dpp v19, v19 row_shl:3 row_mask:0xf bank_mask:0xf bound_ctrl:1
	v_cvt_f32_i32_dpp v15, v15 row_shl:3 row_mask:0xf bank_mask:0xf bound_ctrl:1
	v_cvt_i32_f32_e32 v1, v1
	v_cvt_i32_f32_e32 v2, v2
	v_add_f32_e32 v16, v16, v26
	v_add_f32_e32 v12, v12, v13
	;; [unrolled: 1-line block ×6, first 2 shown]
	v_cvt_f32_i32_dpp v1, v1 row_shl:1 row_mask:0xf bank_mask:0xf bound_ctrl:1
	s_waitcnt lgkmcnt(0)
	v_add_f32_e32 v17, v20, v24
	ds_bpermute_b32 v19, v57, v16
	ds_bpermute_b32 v20, v57, v14
	v_cvt_f32_i32_dpp v2, v2 row_shl:2 row_mask:0xf bank_mask:0xf bound_ctrl:1
	v_cvt_i32_f32_e32 v3, v3
	v_cvt_i32_f32_e32 v23, v9
	v_add_f32_e32 v0, v0, v1
	v_add_f32_e32 v0, v0, v2
	v_cvt_f32_i32_dpp v1, v3 row_shl:3 row_mask:0xf bank_mask:0xf bound_ctrl:1
	v_cvt_i32_f32_e32 v2, v5
	s_waitcnt lgkmcnt(1)
	v_add_f32_e32 v12, v16, v19
	s_waitcnt lgkmcnt(0)
	v_add_f32_e32 v9, v14, v20
	v_cvt_f32_i32_dpp v14, v23 row_shl:1 row_mask:0xf bank_mask:0xf bound_ctrl:1
	v_cvt_i32_f32_e32 v16, v10
	v_cvt_i32_f32_e32 v3, v6
	;; [unrolled: 1-line block ×4, first 2 shown]
	v_add_f32_e32 v0, v0, v1
	v_cvt_f32_i32_dpp v1, v2 row_shl:1 row_mask:0xf bank_mask:0xf bound_ctrl:1
	v_add_f32_e32 v8, v8, v14
	v_cvt_f32_i32_dpp v14, v16 row_shl:2 row_mask:0xf bank_mask:0xf bound_ctrl:1
	v_cvt_f32_i32_dpp v2, v3 row_shl:2 row_mask:0xf bank_mask:0xf bound_ctrl:1
	;; [unrolled: 1-line block ×4, first 2 shown]
	v_add_f32_e32 v1, v4, v1
	v_add_f32_e32 v8, v8, v14
	v_add_f32_e32 v1, v1, v2
	v_add_f32_e32 v8, v8, v11
	v_add_f32_e32 v1, v1, v3
	ds_bpermute_b32 v11, v57, v8
	ds_bpermute_b32 v5, v57, v0
	;; [unrolled: 1-line block ×5, first 2 shown]
	s_waitcnt lgkmcnt(4)
	v_add_f32_e32 v7, v8, v11
	s_waitcnt lgkmcnt(3)
	v_add_f32_e32 v4, v0, v5
	;; [unrolled: 2-line block ×3, first 2 shown]
	ds_bpermute_b32 v15, v68, v17
	ds_bpermute_b32 v13, v68, v12
	;; [unrolled: 1-line block ×6, first 2 shown]
	s_and_saveexec_b64 s[24:25], s[0:1]
	s_cbranch_execz .LBB399_13
; %bb.36:                               ;   in Loop: Header=BB399_14 Depth=1
	s_andn2_b64 vcc, exec, s[14:15]
	v_mov_b32_e32 v0, 0
	v_mov_b32_e32 v23, 0
	;; [unrolled: 1-line block ×8, first 2 shown]
	s_cbranch_vccnz .LBB399_38
; %bb.37:                               ;   in Loop: Header=BB399_14 Depth=1
	v_mul_hi_u32 v0, v58, v69
	v_mul_lo_u32 v0, v0, s20
	v_sub_u32_e32 v0, v58, v0
	v_subrev_u32_e32 v1, s20, v0
	v_cmp_le_u32_e32 vcc, s20, v0
	v_mov_b32_e32 v31, v61
	v_mov_b32_e32 v33, v61
	v_cndmask_b32_e32 v0, v0, v1, vcc
	v_subrev_u32_e32 v1, s20, v0
	v_cmp_le_u32_e32 vcc, s20, v0
	v_mov_b32_e32 v35, v61
	v_mov_b32_e32 v37, v61
	v_cndmask_b32_e32 v60, v0, v1, vcc
	v_mul_hi_u32 v0, v71, v69
	v_mul_lo_u32 v0, v0, s20
	v_sub_u32_e32 v0, v71, v0
	v_subrev_u32_e32 v1, s20, v0
	v_cmp_le_u32_e32 vcc, s20, v0
	v_lshl_add_u64 v[26:27], v[60:61], 1, s[8:9]
	v_add_u32_e32 v30, s37, v60
	v_cndmask_b32_e32 v0, v0, v1, vcc
	v_subrev_u32_e32 v1, s20, v0
	v_cmp_le_u32_e32 vcc, s20, v0
	v_add_u32_e32 v34, s38, v60
	v_add_u32_e32 v60, s39, v60
	v_cndmask_b32_e32 v0, v0, v1, vcc
	v_mov_b32_e32 v1, v61
	v_add_u32_e32 v32, s37, v0
	v_add_u32_e32 v36, s38, v0
	v_lshl_add_u64 v[38:39], v[60:61], 1, s[8:9]
	v_add_u32_e32 v60, s39, v0
	v_lshl_add_u64 v[28:29], v[0:1], 1, s[8:9]
	v_lshl_add_u64 v[30:31], v[30:31], 1, s[8:9]
	;; [unrolled: 1-line block ×6, first 2 shown]
	global_load_ushort v0, v[26:27], off
	global_load_ushort v23, v[28:29], off
	;; [unrolled: 1-line block ×8, first 2 shown]
.LBB399_38:                             ;   in Loop: Header=BB399_14 Depth=1
	s_waitcnt lgkmcnt(7)
	v_add_f32_e32 v1, v25, v22
	v_mul_f32_e32 v1, s30, v1
	s_waitcnt vmcnt(7)
	v_lshlrev_b32_e32 v0, 16, v0
	v_fmac_f32_e32 v0, s31, v1
	v_and_b32_e32 v1, 0x7f800000, v0
	v_cmp_ne_u32_e32 vcc, s40, v1
                                        ; implicit-def: $vgpr22
	s_and_saveexec_b64 s[4:5], vcc
	s_xor_b64 s[4:5], exec, s[4:5]
; %bb.39:                               ;   in Loop: Header=BB399_14 Depth=1
	v_bfe_u32 v1, v0, 16, 1
	v_add3_u32 v22, v0, v1, s41
                                        ; implicit-def: $vgpr0
; %bb.40:                               ;   in Loop: Header=BB399_14 Depth=1
	s_andn2_saveexec_b64 s[4:5], s[4:5]
; %bb.41:                               ;   in Loop: Header=BB399_14 Depth=1
	v_or_b32_e32 v1, 0x10000, v0
	v_cmp_eq_u32_sdwa vcc, v0, v61 src0_sel:WORD_0 src1_sel:DWORD
	s_nop 1
	v_cndmask_b32_e32 v22, v1, v0, vcc
; %bb.42:                               ;   in Loop: Header=BB399_14 Depth=1
	s_or_b64 exec, exec, s[4:5]
	v_mov_b32_e32 v59, v61
	v_lshl_add_u64 v[0:1], v[58:59], 1, s[10:11]
	v_cmp_gt_u32_e32 vcc, s19, v71
	global_store_short_d16_hi v[0:1], v22, off
	s_and_saveexec_b64 s[26:27], vcc
	s_cbranch_execz .LBB399_48
; %bb.43:                               ;   in Loop: Header=BB399_14 Depth=1
	s_waitcnt lgkmcnt(6)
	v_add_f32_e32 v18, v21, v18
	v_mul_f32_e32 v21, s30, v18
	s_waitcnt vmcnt(7)
	v_lshlrev_b32_e32 v18, 16, v23
	v_fmac_f32_e32 v18, s31, v21
	v_and_b32_e32 v21, 0x7f800000, v18
	v_cmp_ne_u32_e64 s[4:5], s40, v21
                                        ; implicit-def: $vgpr21
	s_and_saveexec_b64 s[28:29], s[4:5]
	s_xor_b64 s[4:5], exec, s[28:29]
; %bb.44:                               ;   in Loop: Header=BB399_14 Depth=1
	v_bfe_u32 v21, v18, 16, 1
	v_add3_u32 v21, v18, v21, s41
                                        ; implicit-def: $vgpr18
; %bb.45:                               ;   in Loop: Header=BB399_14 Depth=1
	s_andn2_saveexec_b64 s[28:29], s[4:5]
; %bb.46:                               ;   in Loop: Header=BB399_14 Depth=1
	v_or_b32_e32 v21, 0x10000, v18
	v_cmp_eq_u32_sdwa s[4:5], v18, v61 src0_sel:WORD_0 src1_sel:DWORD
	s_nop 1
	v_cndmask_b32_e64 v21, v21, v18, s[4:5]
; %bb.47:                               ;   in Loop: Header=BB399_14 Depth=1
	s_or_b64 exec, exec, s[28:29]
	global_store_short_d16_hi v[0:1], v21, off offset:2
.LBB399_48:                             ;   in Loop: Header=BB399_14 Depth=1
	s_or_b64 exec, exec, s[26:27]
	s_waitcnt lgkmcnt(5)
	v_add_f32_e32 v0, v17, v15
	v_mul_f32_e32 v1, s30, v0
	s_waitcnt vmcnt(6)
	v_lshlrev_b32_e32 v0, 16, v20
	v_fmac_f32_e32 v0, s31, v1
	v_and_b32_e32 v1, 0x7f800000, v0
	v_cmp_ne_u32_e64 s[4:5], s40, v1
                                        ; implicit-def: $vgpr1
	s_and_saveexec_b64 s[26:27], s[4:5]
	s_xor_b64 s[4:5], exec, s[26:27]
; %bb.49:                               ;   in Loop: Header=BB399_14 Depth=1
	v_bfe_u32 v1, v0, 16, 1
	v_add3_u32 v1, v0, v1, s41
                                        ; implicit-def: $vgpr0
; %bb.50:                               ;   in Loop: Header=BB399_14 Depth=1
	s_andn2_saveexec_b64 s[26:27], s[4:5]
; %bb.51:                               ;   in Loop: Header=BB399_14 Depth=1
	v_or_b32_e32 v1, 0x10000, v0
	v_cmp_eq_u32_sdwa s[4:5], v0, v61 src0_sel:WORD_0 src1_sel:DWORD
	s_nop 1
	v_cndmask_b32_e64 v1, v1, v0, s[4:5]
; %bb.52:                               ;   in Loop: Header=BB399_14 Depth=1
	s_or_b64 exec, exec, s[26:27]
	v_add_u32_e32 v60, s19, v58
	v_lshl_add_u64 v[20:21], v[60:61], 1, s[10:11]
	global_store_short_d16_hi v[20:21], v1, off
	s_and_saveexec_b64 s[26:27], vcc
	s_cbranch_execz .LBB399_58
; %bb.53:                               ;   in Loop: Header=BB399_14 Depth=1
	s_waitcnt lgkmcnt(4)
	v_add_f32_e32 v0, v12, v13
	v_mul_f32_e32 v0, s30, v0
	s_waitcnt vmcnt(6)
	v_lshlrev_b32_e32 v1, 16, v19
	v_fmac_f32_e32 v1, s31, v0
	v_and_b32_e32 v0, 0x7f800000, v1
	v_cmp_ne_u32_e64 s[4:5], s40, v0
                                        ; implicit-def: $vgpr0
	s_and_saveexec_b64 s[28:29], s[4:5]
	s_xor_b64 s[4:5], exec, s[28:29]
; %bb.54:                               ;   in Loop: Header=BB399_14 Depth=1
	v_bfe_u32 v0, v1, 16, 1
	v_add3_u32 v0, v1, v0, s41
                                        ; implicit-def: $vgpr1
; %bb.55:                               ;   in Loop: Header=BB399_14 Depth=1
	s_andn2_saveexec_b64 s[28:29], s[4:5]
; %bb.56:                               ;   in Loop: Header=BB399_14 Depth=1
	v_or_b32_e32 v0, 0x10000, v1
	v_cmp_eq_u32_sdwa s[4:5], v1, v61 src0_sel:WORD_0 src1_sel:DWORD
	s_nop 1
	v_cndmask_b32_e64 v0, v0, v1, s[4:5]
; %bb.57:                               ;   in Loop: Header=BB399_14 Depth=1
	s_or_b64 exec, exec, s[28:29]
	v_add_u32_e32 v12, s19, v71
	v_mov_b32_e32 v13, v61
	v_lshl_add_u64 v[12:13], v[12:13], 1, s[10:11]
	global_store_short_d16_hi v[12:13], v0, off
.LBB399_58:                             ;   in Loop: Header=BB399_14 Depth=1
	s_or_b64 exec, exec, s[26:27]
	s_waitcnt lgkmcnt(3)
	v_add_f32_e32 v0, v9, v10
	v_mul_f32_e32 v1, s30, v0
	s_waitcnt vmcnt(5)
	v_lshlrev_b32_e32 v0, 16, v16
	v_fmac_f32_e32 v0, s31, v1
	v_and_b32_e32 v1, 0x7f800000, v0
	v_cmp_ne_u32_e64 s[4:5], s40, v1
                                        ; implicit-def: $vgpr1
	s_and_saveexec_b64 s[26:27], s[4:5]
	s_xor_b64 s[4:5], exec, s[26:27]
; %bb.59:                               ;   in Loop: Header=BB399_14 Depth=1
	v_bfe_u32 v1, v0, 16, 1
	v_add3_u32 v1, v0, v1, s41
                                        ; implicit-def: $vgpr0
; %bb.60:                               ;   in Loop: Header=BB399_14 Depth=1
	s_andn2_saveexec_b64 s[26:27], s[4:5]
; %bb.61:                               ;   in Loop: Header=BB399_14 Depth=1
	v_or_b32_e32 v1, 0x10000, v0
	v_cmp_eq_u32_sdwa s[4:5], v0, v61 src0_sel:WORD_0 src1_sel:DWORD
	s_nop 1
	v_cndmask_b32_e64 v1, v1, v0, s[4:5]
; %bb.62:                               ;   in Loop: Header=BB399_14 Depth=1
	s_or_b64 exec, exec, s[26:27]
	v_add_u32_e32 v60, s19, v60
	v_lshl_add_u64 v[12:13], v[60:61], 1, s[10:11]
	global_store_short_d16_hi v[12:13], v1, off
	s_and_saveexec_b64 s[26:27], vcc
	s_cbranch_execz .LBB399_68
; %bb.63:                               ;   in Loop: Header=BB399_14 Depth=1
	s_waitcnt lgkmcnt(2)
	v_add_f32_e32 v0, v7, v8
	v_mul_f32_e32 v0, s30, v0
	s_waitcnt vmcnt(5)
	v_lshlrev_b32_e32 v1, 16, v14
	v_fmac_f32_e32 v1, s31, v0
	v_and_b32_e32 v0, 0x7f800000, v1
	v_cmp_ne_u32_e64 s[4:5], s40, v0
                                        ; implicit-def: $vgpr0
	s_and_saveexec_b64 s[28:29], s[4:5]
	s_xor_b64 s[4:5], exec, s[28:29]
; %bb.64:                               ;   in Loop: Header=BB399_14 Depth=1
	v_bfe_u32 v0, v1, 16, 1
	v_add3_u32 v0, v1, v0, s41
                                        ; implicit-def: $vgpr1
; %bb.65:                               ;   in Loop: Header=BB399_14 Depth=1
	s_andn2_saveexec_b64 s[28:29], s[4:5]
; %bb.66:                               ;   in Loop: Header=BB399_14 Depth=1
	v_or_b32_e32 v0, 0x10000, v1
	v_cmp_eq_u32_sdwa s[4:5], v1, v61 src0_sel:WORD_0 src1_sel:DWORD
	s_nop 1
	v_cndmask_b32_e64 v0, v0, v1, s[4:5]
; %bb.67:                               ;   in Loop: Header=BB399_14 Depth=1
	s_or_b64 exec, exec, s[28:29]
	v_add_u32_e32 v8, s36, v71
	v_mov_b32_e32 v9, v61
	v_lshl_add_u64 v[8:9], v[8:9], 1, s[10:11]
	global_store_short_d16_hi v[8:9], v0, off
.LBB399_68:                             ;   in Loop: Header=BB399_14 Depth=1
	s_or_b64 exec, exec, s[26:27]
	s_waitcnt lgkmcnt(1)
	v_add_f32_e32 v0, v4, v5
	v_mul_f32_e32 v1, s30, v0
	s_waitcnt vmcnt(4)
	v_lshlrev_b32_e32 v0, 16, v11
	v_fmac_f32_e32 v0, s31, v1
	v_and_b32_e32 v1, 0x7f800000, v0
	v_cmp_ne_u32_e64 s[4:5], s40, v1
                                        ; implicit-def: $vgpr1
	s_and_saveexec_b64 s[26:27], s[4:5]
	s_xor_b64 s[4:5], exec, s[26:27]
; %bb.69:                               ;   in Loop: Header=BB399_14 Depth=1
	v_bfe_u32 v1, v0, 16, 1
	v_add3_u32 v1, v0, v1, s41
                                        ; implicit-def: $vgpr0
; %bb.70:                               ;   in Loop: Header=BB399_14 Depth=1
	s_andn2_saveexec_b64 s[26:27], s[4:5]
; %bb.71:                               ;   in Loop: Header=BB399_14 Depth=1
	v_or_b32_e32 v1, 0x10000, v0
	v_cmp_eq_u32_sdwa s[4:5], v0, v61 src0_sel:WORD_0 src1_sel:DWORD
	s_nop 1
	v_cndmask_b32_e64 v1, v1, v0, s[4:5]
; %bb.72:                               ;   in Loop: Header=BB399_14 Depth=1
	s_or_b64 exec, exec, s[26:27]
	v_add_u32_e32 v60, s19, v60
	v_lshl_add_u64 v[4:5], v[60:61], 1, s[10:11]
	global_store_short_d16_hi v[4:5], v1, off
	s_and_b64 exec, exec, vcc
	s_cbranch_execz .LBB399_13
; %bb.73:                               ;   in Loop: Header=BB399_14 Depth=1
	s_waitcnt lgkmcnt(0)
	v_add_f32_e32 v0, v2, v3
	v_mul_f32_e32 v0, s30, v0
	s_waitcnt vmcnt(4)
	v_lshlrev_b32_e32 v1, 16, v6
	v_fmac_f32_e32 v1, s31, v0
	v_and_b32_e32 v0, 0x7f800000, v1
	v_cmp_ne_u32_e32 vcc, s40, v0
                                        ; implicit-def: $vgpr0
	s_and_saveexec_b64 s[4:5], vcc
	s_xor_b64 s[4:5], exec, s[4:5]
; %bb.74:                               ;   in Loop: Header=BB399_14 Depth=1
	v_bfe_u32 v0, v1, 16, 1
	v_add3_u32 v0, v1, v0, s41
                                        ; implicit-def: $vgpr1
; %bb.75:                               ;   in Loop: Header=BB399_14 Depth=1
	s_andn2_saveexec_b64 s[4:5], s[4:5]
	s_cbranch_execz .LBB399_12
; %bb.76:                               ;   in Loop: Header=BB399_14 Depth=1
	v_or_b32_e32 v0, 0x10000, v1
	v_cmp_eq_u32_sdwa vcc, v1, v61 src0_sel:WORD_0 src1_sel:DWORD
	s_nop 1
	v_cndmask_b32_e32 v0, v0, v1, vcc
	s_branch .LBB399_12
.LBB399_77:
	s_endpgm
	.section	.rodata,"a",@progbits
	.p2align	6, 0x0
	.amdhsa_kernel _Z13wvSplitKQ_hf_I14__hip_bfloat16N3c1015Float8_e4m3fnuzELi32ELi2ELi16ELi16ELi1ELi4EEviiiiiiPKT0_S5_PKT_PS6_PKfSB_ii
		.amdhsa_group_segment_fixed_size 65536
		.amdhsa_private_segment_fixed_size 0
		.amdhsa_kernarg_size 80
		.amdhsa_user_sgpr_count 2
		.amdhsa_user_sgpr_dispatch_ptr 0
		.amdhsa_user_sgpr_queue_ptr 0
		.amdhsa_user_sgpr_kernarg_segment_ptr 1
		.amdhsa_user_sgpr_dispatch_id 0
		.amdhsa_user_sgpr_kernarg_preload_length 0
		.amdhsa_user_sgpr_kernarg_preload_offset 0
		.amdhsa_user_sgpr_private_segment_size 0
		.amdhsa_uses_dynamic_stack 0
		.amdhsa_enable_private_segment 0
		.amdhsa_system_sgpr_workgroup_id_x 1
		.amdhsa_system_sgpr_workgroup_id_y 0
		.amdhsa_system_sgpr_workgroup_id_z 0
		.amdhsa_system_sgpr_workgroup_info 0
		.amdhsa_system_vgpr_workitem_id 1
		.amdhsa_next_free_vgpr 72
		.amdhsa_next_free_sgpr 42
		.amdhsa_accum_offset 72
		.amdhsa_reserve_vcc 1
		.amdhsa_float_round_mode_32 0
		.amdhsa_float_round_mode_16_64 0
		.amdhsa_float_denorm_mode_32 3
		.amdhsa_float_denorm_mode_16_64 3
		.amdhsa_dx10_clamp 1
		.amdhsa_ieee_mode 1
		.amdhsa_fp16_overflow 0
		.amdhsa_tg_split 0
		.amdhsa_exception_fp_ieee_invalid_op 0
		.amdhsa_exception_fp_denorm_src 0
		.amdhsa_exception_fp_ieee_div_zero 0
		.amdhsa_exception_fp_ieee_overflow 0
		.amdhsa_exception_fp_ieee_underflow 0
		.amdhsa_exception_fp_ieee_inexact 0
		.amdhsa_exception_int_div_zero 0
	.end_amdhsa_kernel
	.section	.text._Z13wvSplitKQ_hf_I14__hip_bfloat16N3c1015Float8_e4m3fnuzELi32ELi2ELi16ELi16ELi1ELi4EEviiiiiiPKT0_S5_PKT_PS6_PKfSB_ii,"axG",@progbits,_Z13wvSplitKQ_hf_I14__hip_bfloat16N3c1015Float8_e4m3fnuzELi32ELi2ELi16ELi16ELi1ELi4EEviiiiiiPKT0_S5_PKT_PS6_PKfSB_ii,comdat
.Lfunc_end399:
	.size	_Z13wvSplitKQ_hf_I14__hip_bfloat16N3c1015Float8_e4m3fnuzELi32ELi2ELi16ELi16ELi1ELi4EEviiiiiiPKT0_S5_PKT_PS6_PKfSB_ii, .Lfunc_end399-_Z13wvSplitKQ_hf_I14__hip_bfloat16N3c1015Float8_e4m3fnuzELi32ELi2ELi16ELi16ELi1ELi4EEviiiiiiPKT0_S5_PKT_PS6_PKfSB_ii
                                        ; -- End function
	.section	.AMDGPU.csdata,"",@progbits
; Kernel info:
; codeLenInByte = 3676
; NumSgprs: 48
; NumVgprs: 72
; NumAgprs: 0
; TotalNumVgprs: 72
; ScratchSize: 0
; MemoryBound: 1
; FloatMode: 240
; IeeeMode: 1
; LDSByteSize: 65536 bytes/workgroup (compile time only)
; SGPRBlocks: 5
; VGPRBlocks: 8
; NumSGPRsForWavesPerEU: 48
; NumVGPRsForWavesPerEU: 72
; AccumOffset: 72
; Occupancy: 2
; WaveLimiterHint : 0
; COMPUTE_PGM_RSRC2:SCRATCH_EN: 0
; COMPUTE_PGM_RSRC2:USER_SGPR: 2
; COMPUTE_PGM_RSRC2:TRAP_HANDLER: 0
; COMPUTE_PGM_RSRC2:TGID_X_EN: 1
; COMPUTE_PGM_RSRC2:TGID_Y_EN: 0
; COMPUTE_PGM_RSRC2:TGID_Z_EN: 0
; COMPUTE_PGM_RSRC2:TIDIG_COMP_CNT: 1
; COMPUTE_PGM_RSRC3_GFX90A:ACCUM_OFFSET: 17
; COMPUTE_PGM_RSRC3_GFX90A:TG_SPLIT: 0
	.section	.text._Z17wvSplitKQ_hf_sml_I14__hip_bfloat16N3c1015Float8_e4m3fnuzELi64ELi2ELi16ELi16ELi1ELi4EEviiiiiiPKT0_S5_PKT_PS6_PKfSB_ii,"axG",@progbits,_Z17wvSplitKQ_hf_sml_I14__hip_bfloat16N3c1015Float8_e4m3fnuzELi64ELi2ELi16ELi16ELi1ELi4EEviiiiiiPKT0_S5_PKT_PS6_PKfSB_ii,comdat
	.protected	_Z17wvSplitKQ_hf_sml_I14__hip_bfloat16N3c1015Float8_e4m3fnuzELi64ELi2ELi16ELi16ELi1ELi4EEviiiiiiPKT0_S5_PKT_PS6_PKfSB_ii ; -- Begin function _Z17wvSplitKQ_hf_sml_I14__hip_bfloat16N3c1015Float8_e4m3fnuzELi64ELi2ELi16ELi16ELi1ELi4EEviiiiiiPKT0_S5_PKT_PS6_PKfSB_ii
	.globl	_Z17wvSplitKQ_hf_sml_I14__hip_bfloat16N3c1015Float8_e4m3fnuzELi64ELi2ELi16ELi16ELi1ELi4EEviiiiiiPKT0_S5_PKT_PS6_PKfSB_ii
	.p2align	8
	.type	_Z17wvSplitKQ_hf_sml_I14__hip_bfloat16N3c1015Float8_e4m3fnuzELi64ELi2ELi16ELi16ELi1ELi4EEviiiiiiPKT0_S5_PKT_PS6_PKfSB_ii,@function
_Z17wvSplitKQ_hf_sml_I14__hip_bfloat16N3c1015Float8_e4m3fnuzELi64ELi2ELi16ELi16ELi1ELi4EEviiiiiiPKT0_S5_PKT_PS6_PKfSB_ii: ; @_Z17wvSplitKQ_hf_sml_I14__hip_bfloat16N3c1015Float8_e4m3fnuzELi64ELi2ELi16ELi16ELi1ELi4EEviiiiiiPKT0_S5_PKT_PS6_PKfSB_ii
; %bb.0:
	s_load_dwordx4 s[8:11], s[0:1], 0x0
	s_load_dwordx2 s[12:13], s[0:1], 0x10
	s_load_dwordx4 s[4:7], s[0:1], 0x38
	s_load_dwordx2 s[14:15], s[0:1], 0x28
	v_and_b32_e32 v2, 0x3ff, v0
	v_bfe_u32 v3, v0, 10, 10
	v_lshlrev_b32_e32 v56, 4, v2
	s_waitcnt lgkmcnt(0)
	s_lshl_b32 s3, s9, 2
	v_lshl_add_u32 v4, v3, 10, v56
	s_min_u32 s3, s3, 0x10000
	v_cmp_gt_u32_e32 vcc, s3, v4
	s_and_saveexec_b64 s[16:17], vcc
	s_cbranch_execz .LBB400_3
; %bb.1:
	s_load_dwordx2 s[18:19], s[0:1], 0x20
	v_mov_b32_e32 v1, 0
	v_lshlrev_b32_e32 v0, 10, v3
	v_mov_b32_e32 v57, v1
	v_lshl_add_u64 v[0:1], v[0:1], 0, v[56:57]
	s_waitcnt lgkmcnt(0)
	v_lshl_add_u64 v[0:1], s[18:19], 0, v[0:1]
	s_mov_b64 s[18:19], 0
	s_mov_b64 s[20:21], 0x4000
.LBB400_2:                              ; =>This Inner Loop Header: Depth=1
	global_load_dwordx4 v[6:9], v[0:1], off
	v_lshl_add_u64 v[0:1], v[0:1], 0, s[20:21]
	s_waitcnt vmcnt(0)
	ds_write_b128 v4, v[6:9]
	v_add_u32_e32 v4, 0x4000, v4
	v_cmp_le_u32_e32 vcc, s3, v4
	s_or_b64 s[18:19], vcc, s[18:19]
	s_andn2_b64 exec, exec, s[18:19]
	s_cbranch_execnz .LBB400_2
.LBB400_3:
	s_or_b64 exec, exec, s[16:17]
	s_load_dwordx2 s[20:21], s[0:1], 0x48
	;;#ASMSTART
	s_waitcnt vmcnt(0)
	;;#ASMEND
	s_waitcnt lgkmcnt(0)
	s_barrier
	v_cmp_gt_u32_e32 vcc, s20, v3
	s_and_saveexec_b64 s[16:17], vcc
	s_cbranch_execz .LBB400_55
; %bb.4:
	s_mul_i32 s2, s2, s20
	v_add_lshl_u32 v58, s2, v3, 1
	v_cmp_gt_u32_e32 vcc, s11, v58
	s_and_b64 exec, exec, vcc
	s_cbranch_execz .LBB400_55
; %bb.5:
	v_mbcnt_lo_u32_b32 v0, -1, 0
	v_mbcnt_hi_u32_b32 v0, -1, v0
	s_cmp_lg_u32 s8, 0
	v_and_b32_e32 v1, 63, v0
	s_cselect_b64 s[2:3], -1, 0
	s_add_i32 s30, s8, -16
	s_add_i32 s31, s11, -1
	v_cmp_lt_u32_e32 vcc, 43, v1
	s_load_dword s28, s[4:5], 0x0
	s_load_dword s29, s[6:7], 0x0
	s_load_dwordx2 s[16:17], s[0:1], 0x18
	s_load_dwordx2 s[18:19], s[0:1], 0x30
	s_mul_i32 s4, s20, s21
	v_cndmask_b32_e64 v3, 20, 0, vcc
	v_cmp_lt_u32_e32 vcc, 23, v1
	s_cmp_lg_u64 s[14:15], 0
	s_cselect_b64 s[20:21], -1, 0
	v_cndmask_b32_e64 v1, 40, 0, vcc
	s_lshl_b32 s33, s4, 1
	s_abs_i32 s4, s13
	v_add_lshl_u32 v57, v3, v0, 2
	v_add_lshl_u32 v68, v1, v0, 2
	v_cvt_f32_u32_e32 v0, s12
	v_cvt_f32_u32_e32 v1, s4
	s_sub_i32 s5, 0, s12
	v_cmp_eq_u32_e64 s[0:1], 0, v2
	v_rcp_iflag_f32_e32 v0, v0
	v_rcp_iflag_f32_e32 v1, v1
	s_lshl_b32 s34, s11, 1
	s_mov_b64 s[6:7], 0
	v_mul_f32_e32 v0, 0x4f7ffffe, v0
	v_mul_f32_e32 v1, 0x4f7ffffe, v1
	v_cvt_u32_f32_e32 v0, v0
	v_cvt_u32_f32_e32 v1, v1
	s_mul_i32 s13, s11, 3
	v_mov_b32_e32 v61, 0
	v_mul_lo_u32 v2, s5, v0
	s_sub_i32 s5, 0, s4
	v_readfirstlane_b32 s22, v1
	s_mul_i32 s5, s5, s22
	s_mul_hi_u32 s5, s22, s5
	s_add_i32 s22, s22, s5
	s_sub_i32 s5, 1, s4
	s_cmp_lt_u32 s4, 2
	s_cselect_b32 s5, s5, 1
	s_sub_i32 s23, s5, s4
	s_cmp_ge_u32 s5, s4
	s_cselect_b32 s35, s23, s5
	s_lshr_b32 s5, s22, 31
	s_mul_i32 s5, s5, s4
	s_sub_i32 s5, 2, s5
	s_sub_i32 s23, s5, s4
	s_cmp_ge_u32 s5, s4
	s_cselect_b32 s5, s23, s5
	s_sub_i32 s23, s5, s4
	s_cmp_ge_u32 s5, s4
	s_cselect_b32 s36, s23, s5
	s_mul_hi_u32 s5, s22, 3
	s_mul_i32 s5, s5, s4
	s_sub_i32 s5, 3, s5
	s_sub_i32 s22, s5, s4
	s_cmp_ge_u32 s5, s4
	s_cselect_b32 s5, s22, s5
	s_sub_i32 s22, s5, s4
	v_mul_hi_u32 v2, v0, v2
	s_cmp_ge_u32 s5, s4
	v_add_u32_e32 v69, v0, v2
	s_cselect_b32 s37, s22, s5
	v_mad_u64_u32 v[62:63], s[4:5], s9, 3, v[56:57]
	v_cndmask_b32_e64 v0, 0, 1, s[2:3]
	s_mul_i32 s35, s35, s12
	s_mul_i32 s36, s36, s12
	;; [unrolled: 1-line block ×3, first 2 shown]
	v_lshl_add_u32 v63, s9, 1, v56
	v_add_u32_e32 v70, s9, v56
	v_cmp_ne_u32_e64 s[2:3], 1, v0
	s_mov_b32 s9, 0x7f800000
	s_movk_i32 s38, 0x7fff
	s_branch .LBB400_8
.LBB400_6:                              ;   in Loop: Header=BB400_8 Depth=1
	s_or_b64 exec, exec, s[4:5]
	v_add_u32_e32 v60, s13, v71
	v_lshl_add_u64 v[2:3], v[60:61], 1, s[18:19]
	global_store_short_d16_hi v[2:3], v0, off
.LBB400_7:                              ;   in Loop: Header=BB400_8 Depth=1
	s_or_b64 exec, exec, s[22:23]
	v_add_u32_e32 v58, s33, v58
	v_cmp_le_u32_e32 vcc, s11, v58
	s_or_b64 s[6:7], vcc, s[6:7]
	s_andn2_b64 exec, exec, s[6:7]
	s_cbranch_execz .LBB400_55
.LBB400_8:                              ; =>This Loop Header: Depth=1
                                        ;     Child Loop BB400_11 Depth 2
	s_and_b64 vcc, exec, s[2:3]
	v_or_b32_e32 v71, 1, v58
	v_mov_b32_e32 v31, v61
	v_mov_b32_e32 v30, v61
	;; [unrolled: 1-line block ×9, first 2 shown]
	s_waitcnt lgkmcnt(0)
	v_mov_b32_e32 v22, v61
	v_mov_b32_e32 v21, v61
	;; [unrolled: 1-line block ×20, first 2 shown]
	s_waitcnt vmcnt(4)
	v_mov_b32_e32 v6, v61
	v_mov_b32_e32 v5, v61
	;; [unrolled: 1-line block ×3, first 2 shown]
	s_cbranch_vccnz .LBB400_13
; %bb.9:                                ;   in Loop: Header=BB400_8 Depth=1
	v_min_u32_e32 v0, s31, v58
	v_mul_lo_u32 v64, v0, s10
	v_min_u32_e32 v0, s31, v71
	v_mov_b32_e32 v4, 0
	v_mov_b32_e32 v65, v61
	v_mul_lo_u32 v66, v0, s10
	v_mov_b32_e32 v67, v61
	s_mov_b32 s22, 0
	v_mov_b32_e32 v5, v4
	v_mov_b32_e32 v6, v4
	;; [unrolled: 1-line block ×31, first 2 shown]
	s_branch .LBB400_11
.LBB400_10:                             ;   in Loop: Header=BB400_11 Depth=2
	s_or_b64 exec, exec, s[4:5]
	s_waitcnt vmcnt(1) lgkmcnt(3)
	v_mfma_f32_16x16x32_fp8_fp8 v[28:31], v[44:45], v[36:37], v[28:31]
	s_addk_i32 s22, 0x400
	s_cmp_ge_u32 s22, s8
	s_waitcnt vmcnt(0)
	v_mfma_f32_16x16x32_fp8_fp8 v[24:27], v[44:45], v[32:33], v[24:27]
	s_waitcnt lgkmcnt(2)
	v_mfma_f32_16x16x32_fp8_fp8 v[20:23], v[48:49], v[36:37], v[20:23]
	v_mfma_f32_16x16x32_fp8_fp8 v[16:19], v[48:49], v[32:33], v[16:19]
	s_waitcnt lgkmcnt(1)
	v_mfma_f32_16x16x32_fp8_fp8 v[12:15], v[52:53], v[36:37], v[12:15]
	;; [unrolled: 3-line block ×3, first 2 shown]
	v_mfma_f32_16x16x32_fp8_fp8 v[4:7], v[40:41], v[32:33], v[4:7]
	v_mfma_f32_16x16x32_fp8_fp8 v[28:31], v[46:47], v[38:39], v[28:31]
	;; [unrolled: 1-line block ×9, first 2 shown]
	s_cbranch_scc1 .LBB400_13
.LBB400_11:                             ;   Parent Loop BB400_8 Depth=1
                                        ; =>  This Inner Loop Header: Depth=2
	v_add_u32_e32 v59, s22, v56
	v_min_u32_e32 v60, s30, v59
	s_waitcnt lgkmcnt(0)
	v_lshl_add_u64 v[32:33], s[16:17], 0, v[60:61]
	v_lshl_add_u64 v[40:41], v[32:33], 0, v[64:65]
	;; [unrolled: 1-line block ×3, first 2 shown]
	global_load_dwordx4 v[36:39], v[40:41], off nt
	global_load_dwordx4 v[32:35], v[42:43], off nt
	v_mov_b64_e32 v[44:45], 0
	v_cmp_gt_u32_e32 vcc, s8, v59
	v_mov_b64_e32 v[46:47], v[44:45]
	v_mov_b64_e32 v[48:49], v[44:45]
	;; [unrolled: 1-line block ×7, first 2 shown]
	s_and_saveexec_b64 s[4:5], vcc
	s_cbranch_execz .LBB400_10
; %bb.12:                               ;   in Loop: Header=BB400_11 Depth=2
	v_add_u32_e32 v40, s22, v70
	ds_read_b128 v[44:47], v59
	ds_read_b128 v[48:51], v40
	v_add_u32_e32 v40, s22, v63
	v_add_u32_e32 v41, s22, v62
	ds_read_b128 v[52:55], v40
	ds_read_b128 v[40:43], v41
	s_branch .LBB400_10
.LBB400_13:                             ;   in Loop: Header=BB400_8 Depth=1
	v_cvt_i32_f32_e32 v29, v29
	v_cvt_i32_f32_e32 v30, v30
	v_cvt_i32_f32_e32 v31, v31
	v_cvt_i32_f32_e32 v25, v25
	v_cvt_f32_i32_dpp v29, v29 row_shl:1 row_mask:0xf bank_mask:0xf bound_ctrl:1
	v_cvt_f32_i32_dpp v30, v30 row_shl:2 row_mask:0xf bank_mask:0xf bound_ctrl:1
	v_cvt_i32_f32_e32 v26, v26
	v_cvt_i32_f32_e32 v27, v27
	v_cvt_f32_i32_dpp v31, v31 row_shl:3 row_mask:0xf bank_mask:0xf bound_ctrl:1
	v_add_f32_e32 v28, v28, v29
	v_add_f32_e32 v28, v28, v30
	v_cvt_f32_i32_dpp v30, v25 row_shl:1 row_mask:0xf bank_mask:0xf bound_ctrl:1
	v_cvt_f32_i32_dpp v26, v26 row_shl:2 row_mask:0xf bank_mask:0xf bound_ctrl:1
	;; [unrolled: 1-line block ×3, first 2 shown]
	v_add_f32_e32 v28, v28, v31
	ds_bpermute_b32 v29, v57, v28
	v_add_f32_e32 v24, v24, v30
	v_add_f32_e32 v24, v24, v26
	v_cvt_i32_f32_e32 v21, v21
	v_add_f32_e32 v24, v24, v27
	v_cvt_i32_f32_e32 v27, v22
	v_cvt_i32_f32_e32 v23, v23
	s_waitcnt lgkmcnt(0)
	v_add_f32_e32 v25, v28, v29
	v_cvt_f32_i32_dpp v28, v21 row_shl:1 row_mask:0xf bank_mask:0xf bound_ctrl:1
	v_cvt_f32_i32_dpp v27, v27 row_shl:2 row_mask:0xf bank_mask:0xf bound_ctrl:1
	;; [unrolled: 1-line block ×3, first 2 shown]
	ds_bpermute_b32 v26, v57, v24
	v_add_f32_e32 v20, v20, v28
	v_add_f32_e32 v20, v20, v27
	v_cvt_i32_f32_e32 v17, v17
	v_cvt_i32_f32_e32 v13, v13
	v_add_f32_e32 v20, v20, v23
	v_cvt_i32_f32_e32 v23, v18
	v_cvt_i32_f32_e32 v14, v14
	;; [unrolled: 1-line block ×4, first 2 shown]
	s_waitcnt lgkmcnt(0)
	v_add_f32_e32 v21, v24, v26
	v_cvt_f32_i32_dpp v26, v17 row_shl:1 row_mask:0xf bank_mask:0xf bound_ctrl:1
	v_cvt_f32_i32_dpp v13, v13 row_shl:1 row_mask:0xf bank_mask:0xf bound_ctrl:1
	;; [unrolled: 1-line block ×4, first 2 shown]
	ds_bpermute_b32 v24, v57, v20
	v_cvt_f32_i32_dpp v19, v19 row_shl:3 row_mask:0xf bank_mask:0xf bound_ctrl:1
	v_cvt_f32_i32_dpp v15, v15 row_shl:3 row_mask:0xf bank_mask:0xf bound_ctrl:1
	v_cvt_i32_f32_e32 v1, v1
	v_cvt_i32_f32_e32 v2, v2
	v_add_f32_e32 v16, v16, v26
	v_add_f32_e32 v12, v12, v13
	;; [unrolled: 1-line block ×6, first 2 shown]
	v_cvt_f32_i32_dpp v1, v1 row_shl:1 row_mask:0xf bank_mask:0xf bound_ctrl:1
	s_waitcnt lgkmcnt(0)
	v_add_f32_e32 v17, v20, v24
	ds_bpermute_b32 v19, v57, v16
	ds_bpermute_b32 v20, v57, v14
	v_cvt_f32_i32_dpp v2, v2 row_shl:2 row_mask:0xf bank_mask:0xf bound_ctrl:1
	v_cvt_i32_f32_e32 v3, v3
	v_cvt_i32_f32_e32 v23, v9
	v_add_f32_e32 v0, v0, v1
	v_add_f32_e32 v0, v0, v2
	v_cvt_f32_i32_dpp v1, v3 row_shl:3 row_mask:0xf bank_mask:0xf bound_ctrl:1
	v_cvt_i32_f32_e32 v2, v5
	s_waitcnt lgkmcnt(1)
	v_add_f32_e32 v12, v16, v19
	s_waitcnt lgkmcnt(0)
	v_add_f32_e32 v9, v14, v20
	v_cvt_f32_i32_dpp v14, v23 row_shl:1 row_mask:0xf bank_mask:0xf bound_ctrl:1
	v_cvt_i32_f32_e32 v16, v10
	v_cvt_i32_f32_e32 v3, v6
	;; [unrolled: 1-line block ×4, first 2 shown]
	v_add_f32_e32 v0, v0, v1
	v_cvt_f32_i32_dpp v1, v2 row_shl:1 row_mask:0xf bank_mask:0xf bound_ctrl:1
	v_add_f32_e32 v8, v8, v14
	v_cvt_f32_i32_dpp v14, v16 row_shl:2 row_mask:0xf bank_mask:0xf bound_ctrl:1
	v_cvt_f32_i32_dpp v2, v3 row_shl:2 row_mask:0xf bank_mask:0xf bound_ctrl:1
	;; [unrolled: 1-line block ×4, first 2 shown]
	v_add_f32_e32 v1, v4, v1
	v_add_f32_e32 v8, v8, v14
	;; [unrolled: 1-line block ×5, first 2 shown]
	ds_bpermute_b32 v11, v57, v8
	ds_bpermute_b32 v5, v57, v0
	ds_bpermute_b32 v2, v57, v1
	ds_bpermute_b32 v22, v68, v25
	ds_bpermute_b32 v18, v68, v21
	s_waitcnt lgkmcnt(4)
	v_add_f32_e32 v7, v8, v11
	s_waitcnt lgkmcnt(3)
	v_add_f32_e32 v4, v0, v5
	;; [unrolled: 2-line block ×3, first 2 shown]
	ds_bpermute_b32 v15, v68, v17
	ds_bpermute_b32 v13, v68, v12
	;; [unrolled: 1-line block ×6, first 2 shown]
	s_and_saveexec_b64 s[22:23], s[0:1]
	s_cbranch_execz .LBB400_7
; %bb.14:                               ;   in Loop: Header=BB400_8 Depth=1
	s_andn2_b64 vcc, exec, s[20:21]
	v_mov_b32_e32 v0, 0
	v_mov_b32_e32 v23, 0
	;; [unrolled: 1-line block ×8, first 2 shown]
	s_cbranch_vccnz .LBB400_16
; %bb.15:                               ;   in Loop: Header=BB400_8 Depth=1
	v_mul_hi_u32 v0, v58, v69
	v_mul_lo_u32 v0, v0, s12
	v_sub_u32_e32 v0, v58, v0
	v_subrev_u32_e32 v1, s12, v0
	v_cmp_le_u32_e32 vcc, s12, v0
	v_mov_b32_e32 v31, v61
	v_mov_b32_e32 v33, v61
	v_cndmask_b32_e32 v0, v0, v1, vcc
	v_subrev_u32_e32 v1, s12, v0
	v_cmp_le_u32_e32 vcc, s12, v0
	v_mov_b32_e32 v35, v61
	v_mov_b32_e32 v37, v61
	v_cndmask_b32_e32 v60, v0, v1, vcc
	v_mul_hi_u32 v0, v71, v69
	v_mul_lo_u32 v0, v0, s12
	v_sub_u32_e32 v0, v71, v0
	v_subrev_u32_e32 v1, s12, v0
	v_cmp_le_u32_e32 vcc, s12, v0
	v_lshl_add_u64 v[26:27], v[60:61], 1, s[14:15]
	v_add_u32_e32 v30, s35, v60
	v_cndmask_b32_e32 v0, v0, v1, vcc
	v_subrev_u32_e32 v1, s12, v0
	v_cmp_le_u32_e32 vcc, s12, v0
	v_add_u32_e32 v34, s36, v60
	v_add_u32_e32 v60, s37, v60
	v_cndmask_b32_e32 v0, v0, v1, vcc
	v_mov_b32_e32 v1, v61
	v_add_u32_e32 v32, s35, v0
	v_add_u32_e32 v36, s36, v0
	v_lshl_add_u64 v[38:39], v[60:61], 1, s[14:15]
	v_add_u32_e32 v60, s37, v0
	v_lshl_add_u64 v[28:29], v[0:1], 1, s[14:15]
	v_lshl_add_u64 v[30:31], v[30:31], 1, s[14:15]
	;; [unrolled: 1-line block ×6, first 2 shown]
	global_load_ushort v0, v[26:27], off
	global_load_ushort v23, v[28:29], off
	;; [unrolled: 1-line block ×8, first 2 shown]
.LBB400_16:                             ;   in Loop: Header=BB400_8 Depth=1
	s_waitcnt lgkmcnt(7)
	v_add_f32_e32 v1, v25, v22
	v_mul_f32_e32 v1, s28, v1
	s_waitcnt vmcnt(7)
	v_lshlrev_b32_e32 v0, 16, v0
	v_fmac_f32_e32 v0, s29, v1
	v_and_b32_e32 v1, 0x7f800000, v0
	v_cmp_ne_u32_e32 vcc, s9, v1
                                        ; implicit-def: $vgpr22
	s_and_saveexec_b64 s[4:5], vcc
	s_xor_b64 s[4:5], exec, s[4:5]
; %bb.17:                               ;   in Loop: Header=BB400_8 Depth=1
	v_bfe_u32 v1, v0, 16, 1
	v_add3_u32 v22, v0, v1, s38
                                        ; implicit-def: $vgpr0
; %bb.18:                               ;   in Loop: Header=BB400_8 Depth=1
	s_andn2_saveexec_b64 s[4:5], s[4:5]
; %bb.19:                               ;   in Loop: Header=BB400_8 Depth=1
	v_or_b32_e32 v1, 0x10000, v0
	v_cmp_eq_u32_sdwa vcc, v0, v61 src0_sel:WORD_0 src1_sel:DWORD
	s_nop 1
	v_cndmask_b32_e32 v22, v1, v0, vcc
; %bb.20:                               ;   in Loop: Header=BB400_8 Depth=1
	s_or_b64 exec, exec, s[4:5]
	v_mov_b32_e32 v59, v61
	v_lshl_add_u64 v[0:1], v[58:59], 1, s[18:19]
	v_cmp_gt_u32_e32 vcc, s11, v71
	global_store_short_d16_hi v[0:1], v22, off
	s_and_saveexec_b64 s[24:25], vcc
	s_cbranch_execz .LBB400_26
; %bb.21:                               ;   in Loop: Header=BB400_8 Depth=1
	s_waitcnt lgkmcnt(6)
	v_add_f32_e32 v18, v21, v18
	v_mul_f32_e32 v21, s28, v18
	s_waitcnt vmcnt(7)
	v_lshlrev_b32_e32 v18, 16, v23
	v_fmac_f32_e32 v18, s29, v21
	v_and_b32_e32 v21, 0x7f800000, v18
	v_cmp_ne_u32_e64 s[4:5], s9, v21
                                        ; implicit-def: $vgpr21
	s_and_saveexec_b64 s[26:27], s[4:5]
	s_xor_b64 s[4:5], exec, s[26:27]
; %bb.22:                               ;   in Loop: Header=BB400_8 Depth=1
	v_bfe_u32 v21, v18, 16, 1
	v_add3_u32 v21, v18, v21, s38
                                        ; implicit-def: $vgpr18
; %bb.23:                               ;   in Loop: Header=BB400_8 Depth=1
	s_andn2_saveexec_b64 s[26:27], s[4:5]
; %bb.24:                               ;   in Loop: Header=BB400_8 Depth=1
	v_or_b32_e32 v21, 0x10000, v18
	v_cmp_eq_u32_sdwa s[4:5], v18, v61 src0_sel:WORD_0 src1_sel:DWORD
	s_nop 1
	v_cndmask_b32_e64 v21, v21, v18, s[4:5]
; %bb.25:                               ;   in Loop: Header=BB400_8 Depth=1
	s_or_b64 exec, exec, s[26:27]
	global_store_short_d16_hi v[0:1], v21, off offset:2
.LBB400_26:                             ;   in Loop: Header=BB400_8 Depth=1
	s_or_b64 exec, exec, s[24:25]
	s_waitcnt lgkmcnt(5)
	v_add_f32_e32 v0, v17, v15
	v_mul_f32_e32 v1, s28, v0
	s_waitcnt vmcnt(6)
	v_lshlrev_b32_e32 v0, 16, v20
	v_fmac_f32_e32 v0, s29, v1
	v_and_b32_e32 v1, 0x7f800000, v0
	v_cmp_ne_u32_e64 s[4:5], s9, v1
                                        ; implicit-def: $vgpr1
	s_and_saveexec_b64 s[24:25], s[4:5]
	s_xor_b64 s[4:5], exec, s[24:25]
; %bb.27:                               ;   in Loop: Header=BB400_8 Depth=1
	v_bfe_u32 v1, v0, 16, 1
	v_add3_u32 v1, v0, v1, s38
                                        ; implicit-def: $vgpr0
; %bb.28:                               ;   in Loop: Header=BB400_8 Depth=1
	s_andn2_saveexec_b64 s[24:25], s[4:5]
; %bb.29:                               ;   in Loop: Header=BB400_8 Depth=1
	v_or_b32_e32 v1, 0x10000, v0
	v_cmp_eq_u32_sdwa s[4:5], v0, v61 src0_sel:WORD_0 src1_sel:DWORD
	s_nop 1
	v_cndmask_b32_e64 v1, v1, v0, s[4:5]
; %bb.30:                               ;   in Loop: Header=BB400_8 Depth=1
	s_or_b64 exec, exec, s[24:25]
	v_add_u32_e32 v60, s11, v58
	v_lshl_add_u64 v[20:21], v[60:61], 1, s[18:19]
	global_store_short_d16_hi v[20:21], v1, off
	s_and_saveexec_b64 s[24:25], vcc
	s_cbranch_execz .LBB400_36
; %bb.31:                               ;   in Loop: Header=BB400_8 Depth=1
	s_waitcnt lgkmcnt(4)
	v_add_f32_e32 v0, v12, v13
	v_mul_f32_e32 v0, s28, v0
	s_waitcnt vmcnt(6)
	v_lshlrev_b32_e32 v1, 16, v19
	v_fmac_f32_e32 v1, s29, v0
	v_and_b32_e32 v0, 0x7f800000, v1
	v_cmp_ne_u32_e64 s[4:5], s9, v0
                                        ; implicit-def: $vgpr0
	s_and_saveexec_b64 s[26:27], s[4:5]
	s_xor_b64 s[4:5], exec, s[26:27]
; %bb.32:                               ;   in Loop: Header=BB400_8 Depth=1
	v_bfe_u32 v0, v1, 16, 1
	v_add3_u32 v0, v1, v0, s38
                                        ; implicit-def: $vgpr1
; %bb.33:                               ;   in Loop: Header=BB400_8 Depth=1
	s_andn2_saveexec_b64 s[26:27], s[4:5]
; %bb.34:                               ;   in Loop: Header=BB400_8 Depth=1
	v_or_b32_e32 v0, 0x10000, v1
	v_cmp_eq_u32_sdwa s[4:5], v1, v61 src0_sel:WORD_0 src1_sel:DWORD
	s_nop 1
	v_cndmask_b32_e64 v0, v0, v1, s[4:5]
; %bb.35:                               ;   in Loop: Header=BB400_8 Depth=1
	s_or_b64 exec, exec, s[26:27]
	v_add_u32_e32 v12, s11, v71
	v_mov_b32_e32 v13, v61
	v_lshl_add_u64 v[12:13], v[12:13], 1, s[18:19]
	global_store_short_d16_hi v[12:13], v0, off
.LBB400_36:                             ;   in Loop: Header=BB400_8 Depth=1
	s_or_b64 exec, exec, s[24:25]
	s_waitcnt lgkmcnt(3)
	v_add_f32_e32 v0, v9, v10
	v_mul_f32_e32 v1, s28, v0
	s_waitcnt vmcnt(5)
	v_lshlrev_b32_e32 v0, 16, v16
	v_fmac_f32_e32 v0, s29, v1
	v_and_b32_e32 v1, 0x7f800000, v0
	v_cmp_ne_u32_e64 s[4:5], s9, v1
                                        ; implicit-def: $vgpr1
	s_and_saveexec_b64 s[24:25], s[4:5]
	s_xor_b64 s[4:5], exec, s[24:25]
; %bb.37:                               ;   in Loop: Header=BB400_8 Depth=1
	v_bfe_u32 v1, v0, 16, 1
	v_add3_u32 v1, v0, v1, s38
                                        ; implicit-def: $vgpr0
; %bb.38:                               ;   in Loop: Header=BB400_8 Depth=1
	s_andn2_saveexec_b64 s[24:25], s[4:5]
; %bb.39:                               ;   in Loop: Header=BB400_8 Depth=1
	v_or_b32_e32 v1, 0x10000, v0
	v_cmp_eq_u32_sdwa s[4:5], v0, v61 src0_sel:WORD_0 src1_sel:DWORD
	s_nop 1
	v_cndmask_b32_e64 v1, v1, v0, s[4:5]
; %bb.40:                               ;   in Loop: Header=BB400_8 Depth=1
	s_or_b64 exec, exec, s[24:25]
	v_add_u32_e32 v60, s11, v60
	v_lshl_add_u64 v[12:13], v[60:61], 1, s[18:19]
	global_store_short_d16_hi v[12:13], v1, off
	s_and_saveexec_b64 s[24:25], vcc
	s_cbranch_execz .LBB400_46
; %bb.41:                               ;   in Loop: Header=BB400_8 Depth=1
	s_waitcnt lgkmcnt(2)
	v_add_f32_e32 v0, v7, v8
	v_mul_f32_e32 v0, s28, v0
	s_waitcnt vmcnt(5)
	v_lshlrev_b32_e32 v1, 16, v14
	v_fmac_f32_e32 v1, s29, v0
	v_and_b32_e32 v0, 0x7f800000, v1
	v_cmp_ne_u32_e64 s[4:5], s9, v0
                                        ; implicit-def: $vgpr0
	s_and_saveexec_b64 s[26:27], s[4:5]
	s_xor_b64 s[4:5], exec, s[26:27]
; %bb.42:                               ;   in Loop: Header=BB400_8 Depth=1
	v_bfe_u32 v0, v1, 16, 1
	v_add3_u32 v0, v1, v0, s38
                                        ; implicit-def: $vgpr1
; %bb.43:                               ;   in Loop: Header=BB400_8 Depth=1
	s_andn2_saveexec_b64 s[26:27], s[4:5]
; %bb.44:                               ;   in Loop: Header=BB400_8 Depth=1
	v_or_b32_e32 v0, 0x10000, v1
	v_cmp_eq_u32_sdwa s[4:5], v1, v61 src0_sel:WORD_0 src1_sel:DWORD
	s_nop 1
	v_cndmask_b32_e64 v0, v0, v1, s[4:5]
; %bb.45:                               ;   in Loop: Header=BB400_8 Depth=1
	s_or_b64 exec, exec, s[26:27]
	v_add_u32_e32 v8, s34, v71
	v_mov_b32_e32 v9, v61
	v_lshl_add_u64 v[8:9], v[8:9], 1, s[18:19]
	global_store_short_d16_hi v[8:9], v0, off
.LBB400_46:                             ;   in Loop: Header=BB400_8 Depth=1
	s_or_b64 exec, exec, s[24:25]
	s_waitcnt lgkmcnt(1)
	v_add_f32_e32 v0, v4, v5
	v_mul_f32_e32 v1, s28, v0
	s_waitcnt vmcnt(4)
	v_lshlrev_b32_e32 v0, 16, v11
	v_fmac_f32_e32 v0, s29, v1
	v_and_b32_e32 v1, 0x7f800000, v0
	v_cmp_ne_u32_e64 s[4:5], s9, v1
                                        ; implicit-def: $vgpr1
	s_and_saveexec_b64 s[24:25], s[4:5]
	s_xor_b64 s[4:5], exec, s[24:25]
; %bb.47:                               ;   in Loop: Header=BB400_8 Depth=1
	v_bfe_u32 v1, v0, 16, 1
	v_add3_u32 v1, v0, v1, s38
                                        ; implicit-def: $vgpr0
; %bb.48:                               ;   in Loop: Header=BB400_8 Depth=1
	s_andn2_saveexec_b64 s[24:25], s[4:5]
; %bb.49:                               ;   in Loop: Header=BB400_8 Depth=1
	v_or_b32_e32 v1, 0x10000, v0
	v_cmp_eq_u32_sdwa s[4:5], v0, v61 src0_sel:WORD_0 src1_sel:DWORD
	s_nop 1
	v_cndmask_b32_e64 v1, v1, v0, s[4:5]
; %bb.50:                               ;   in Loop: Header=BB400_8 Depth=1
	s_or_b64 exec, exec, s[24:25]
	v_add_u32_e32 v60, s11, v60
	v_lshl_add_u64 v[4:5], v[60:61], 1, s[18:19]
	global_store_short_d16_hi v[4:5], v1, off
	s_and_b64 exec, exec, vcc
	s_cbranch_execz .LBB400_7
; %bb.51:                               ;   in Loop: Header=BB400_8 Depth=1
	s_waitcnt lgkmcnt(0)
	v_add_f32_e32 v0, v2, v3
	v_mul_f32_e32 v0, s28, v0
	s_waitcnt vmcnt(4)
	v_lshlrev_b32_e32 v1, 16, v6
	v_fmac_f32_e32 v1, s29, v0
	v_and_b32_e32 v0, 0x7f800000, v1
	v_cmp_ne_u32_e32 vcc, s9, v0
                                        ; implicit-def: $vgpr0
	s_and_saveexec_b64 s[4:5], vcc
	s_xor_b64 s[4:5], exec, s[4:5]
; %bb.52:                               ;   in Loop: Header=BB400_8 Depth=1
	v_bfe_u32 v0, v1, 16, 1
	v_add3_u32 v0, v1, v0, s38
                                        ; implicit-def: $vgpr1
; %bb.53:                               ;   in Loop: Header=BB400_8 Depth=1
	s_andn2_saveexec_b64 s[4:5], s[4:5]
	s_cbranch_execz .LBB400_6
; %bb.54:                               ;   in Loop: Header=BB400_8 Depth=1
	v_or_b32_e32 v0, 0x10000, v1
	v_cmp_eq_u32_sdwa vcc, v1, v61 src0_sel:WORD_0 src1_sel:DWORD
	s_nop 1
	v_cndmask_b32_e32 v0, v0, v1, vcc
	s_branch .LBB400_6
.LBB400_55:
	s_endpgm
	.section	.rodata,"a",@progbits
	.p2align	6, 0x0
	.amdhsa_kernel _Z17wvSplitKQ_hf_sml_I14__hip_bfloat16N3c1015Float8_e4m3fnuzELi64ELi2ELi16ELi16ELi1ELi4EEviiiiiiPKT0_S5_PKT_PS6_PKfSB_ii
		.amdhsa_group_segment_fixed_size 65536
		.amdhsa_private_segment_fixed_size 0
		.amdhsa_kernarg_size 80
		.amdhsa_user_sgpr_count 2
		.amdhsa_user_sgpr_dispatch_ptr 0
		.amdhsa_user_sgpr_queue_ptr 0
		.amdhsa_user_sgpr_kernarg_segment_ptr 1
		.amdhsa_user_sgpr_dispatch_id 0
		.amdhsa_user_sgpr_kernarg_preload_length 0
		.amdhsa_user_sgpr_kernarg_preload_offset 0
		.amdhsa_user_sgpr_private_segment_size 0
		.amdhsa_uses_dynamic_stack 0
		.amdhsa_enable_private_segment 0
		.amdhsa_system_sgpr_workgroup_id_x 1
		.amdhsa_system_sgpr_workgroup_id_y 0
		.amdhsa_system_sgpr_workgroup_id_z 0
		.amdhsa_system_sgpr_workgroup_info 0
		.amdhsa_system_vgpr_workitem_id 1
		.amdhsa_next_free_vgpr 72
		.amdhsa_next_free_sgpr 39
		.amdhsa_accum_offset 72
		.amdhsa_reserve_vcc 1
		.amdhsa_float_round_mode_32 0
		.amdhsa_float_round_mode_16_64 0
		.amdhsa_float_denorm_mode_32 3
		.amdhsa_float_denorm_mode_16_64 3
		.amdhsa_dx10_clamp 1
		.amdhsa_ieee_mode 1
		.amdhsa_fp16_overflow 0
		.amdhsa_tg_split 0
		.amdhsa_exception_fp_ieee_invalid_op 0
		.amdhsa_exception_fp_denorm_src 0
		.amdhsa_exception_fp_ieee_div_zero 0
		.amdhsa_exception_fp_ieee_overflow 0
		.amdhsa_exception_fp_ieee_underflow 0
		.amdhsa_exception_fp_ieee_inexact 0
		.amdhsa_exception_int_div_zero 0
	.end_amdhsa_kernel
	.section	.text._Z17wvSplitKQ_hf_sml_I14__hip_bfloat16N3c1015Float8_e4m3fnuzELi64ELi2ELi16ELi16ELi1ELi4EEviiiiiiPKT0_S5_PKT_PS6_PKfSB_ii,"axG",@progbits,_Z17wvSplitKQ_hf_sml_I14__hip_bfloat16N3c1015Float8_e4m3fnuzELi64ELi2ELi16ELi16ELi1ELi4EEviiiiiiPKT0_S5_PKT_PS6_PKfSB_ii,comdat
.Lfunc_end400:
	.size	_Z17wvSplitKQ_hf_sml_I14__hip_bfloat16N3c1015Float8_e4m3fnuzELi64ELi2ELi16ELi16ELi1ELi4EEviiiiiiPKT0_S5_PKT_PS6_PKfSB_ii, .Lfunc_end400-_Z17wvSplitKQ_hf_sml_I14__hip_bfloat16N3c1015Float8_e4m3fnuzELi64ELi2ELi16ELi16ELi1ELi4EEviiiiiiPKT0_S5_PKT_PS6_PKfSB_ii
                                        ; -- End function
	.section	.AMDGPU.csdata,"",@progbits
; Kernel info:
; codeLenInByte = 3184
; NumSgprs: 45
; NumVgprs: 72
; NumAgprs: 0
; TotalNumVgprs: 72
; ScratchSize: 0
; MemoryBound: 0
; FloatMode: 240
; IeeeMode: 1
; LDSByteSize: 65536 bytes/workgroup (compile time only)
; SGPRBlocks: 5
; VGPRBlocks: 8
; NumSGPRsForWavesPerEU: 45
; NumVGPRsForWavesPerEU: 72
; AccumOffset: 72
; Occupancy: 4
; WaveLimiterHint : 0
; COMPUTE_PGM_RSRC2:SCRATCH_EN: 0
; COMPUTE_PGM_RSRC2:USER_SGPR: 2
; COMPUTE_PGM_RSRC2:TRAP_HANDLER: 0
; COMPUTE_PGM_RSRC2:TGID_X_EN: 1
; COMPUTE_PGM_RSRC2:TGID_Y_EN: 0
; COMPUTE_PGM_RSRC2:TGID_Z_EN: 0
; COMPUTE_PGM_RSRC2:TIDIG_COMP_CNT: 1
; COMPUTE_PGM_RSRC3_GFX90A:ACCUM_OFFSET: 17
; COMPUTE_PGM_RSRC3_GFX90A:TG_SPLIT: 0
	.section	.text._Z13wvSplitKQ_hf_I14__hip_bfloat16N3c1015Float8_e4m3fnuzELi64ELi2ELi16ELi16ELi1ELi4EEviiiiiiPKT0_S5_PKT_PS6_PKfSB_ii,"axG",@progbits,_Z13wvSplitKQ_hf_I14__hip_bfloat16N3c1015Float8_e4m3fnuzELi64ELi2ELi16ELi16ELi1ELi4EEviiiiiiPKT0_S5_PKT_PS6_PKfSB_ii,comdat
	.protected	_Z13wvSplitKQ_hf_I14__hip_bfloat16N3c1015Float8_e4m3fnuzELi64ELi2ELi16ELi16ELi1ELi4EEviiiiiiPKT0_S5_PKT_PS6_PKfSB_ii ; -- Begin function _Z13wvSplitKQ_hf_I14__hip_bfloat16N3c1015Float8_e4m3fnuzELi64ELi2ELi16ELi16ELi1ELi4EEviiiiiiPKT0_S5_PKT_PS6_PKfSB_ii
	.globl	_Z13wvSplitKQ_hf_I14__hip_bfloat16N3c1015Float8_e4m3fnuzELi64ELi2ELi16ELi16ELi1ELi4EEviiiiiiPKT0_S5_PKT_PS6_PKfSB_ii
	.p2align	8
	.type	_Z13wvSplitKQ_hf_I14__hip_bfloat16N3c1015Float8_e4m3fnuzELi64ELi2ELi16ELi16ELi1ELi4EEviiiiiiPKT0_S5_PKT_PS6_PKfSB_ii,@function
_Z13wvSplitKQ_hf_I14__hip_bfloat16N3c1015Float8_e4m3fnuzELi64ELi2ELi16ELi16ELi1ELi4EEviiiiiiPKT0_S5_PKT_PS6_PKfSB_ii: ; @_Z13wvSplitKQ_hf_I14__hip_bfloat16N3c1015Float8_e4m3fnuzELi64ELi2ELi16ELi16ELi1ELi4EEviiiiiiPKT0_S5_PKT_PS6_PKfSB_ii
; %bb.0:
	s_load_dwordx4 s[8:11], s[0:1], 0x0
	s_load_dwordx2 s[16:17], s[0:1], 0x10
	s_load_dwordx4 s[4:7], s[0:1], 0x38
	s_load_dwordx4 s[12:15], s[0:1], 0x20
	v_and_b32_e32 v2, 0x3ff, v0
	v_bfe_u32 v3, v0, 10, 10
	v_lshlrev_b32_e32 v56, 4, v2
	s_waitcnt lgkmcnt(0)
	s_lshl_b32 s3, s9, 2
	v_lshl_add_u32 v4, v3, 10, v56
	s_min_u32 s3, s3, 0x10000
	v_cmp_gt_u32_e32 vcc, s3, v4
	s_and_saveexec_b64 s[18:19], vcc
	s_cbranch_execz .LBB401_3
; %bb.1:
	v_mov_b32_e32 v1, 0
	v_lshlrev_b32_e32 v0, 10, v3
	v_mov_b32_e32 v57, v1
	v_lshl_add_u64 v[0:1], v[0:1], 0, v[56:57]
	v_lshl_add_u64 v[0:1], s[12:13], 0, v[0:1]
	s_mov_b64 s[20:21], 0
	s_mov_b64 s[22:23], 0x4000
.LBB401_2:                              ; =>This Inner Loop Header: Depth=1
	global_load_dwordx4 v[6:9], v[0:1], off
	v_lshl_add_u64 v[0:1], v[0:1], 0, s[22:23]
	s_waitcnt vmcnt(0)
	ds_write_b128 v4, v[6:9]
	v_add_u32_e32 v4, 0x4000, v4
	v_cmp_le_u32_e32 vcc, s3, v4
	s_or_b64 s[20:21], vcc, s[20:21]
	s_andn2_b64 exec, exec, s[20:21]
	s_cbranch_execnz .LBB401_2
.LBB401_3:
	s_or_b64 exec, exec, s[18:19]
	s_load_dwordx2 s[22:23], s[0:1], 0x48
	;;#ASMSTART
	s_waitcnt vmcnt(0)
	;;#ASMEND
	s_waitcnt lgkmcnt(0)
	s_barrier
	v_cmp_gt_u32_e32 vcc, s22, v3
	s_and_saveexec_b64 s[18:19], vcc
	s_cbranch_execz .LBB401_71
; %bb.4:
	s_mul_i32 s2, s2, s22
	v_add_lshl_u32 v58, s2, v3, 1
	v_cmp_gt_u32_e32 vcc, s11, v58
	s_and_b64 exec, exec, vcc
	s_cbranch_execz .LBB401_71
; %bb.5:
	v_mbcnt_lo_u32_b32 v0, -1, 0
	v_mbcnt_hi_u32_b32 v0, -1, v0
	s_cmp_lg_u32 s8, 0
	v_and_b32_e32 v1, 63, v0
	s_cselect_b64 s[2:3], -1, 0
	s_add_i32 s33, s8, -16
	s_add_i32 s34, s11, -1
	v_cmp_lt_u32_e32 vcc, 43, v1
	s_load_dword s30, s[4:5], 0x0
	s_load_dword s31, s[6:7], 0x0
	s_load_dwordx2 s[18:19], s[0:1], 0x18
	s_load_dwordx2 s[20:21], s[0:1], 0x30
	s_mul_i32 s4, s22, s23
	v_cndmask_b32_e64 v3, 20, 0, vcc
	v_cmp_lt_u32_e32 vcc, 23, v1
	s_cmp_lg_u64 s[14:15], 0
	s_cselect_b64 s[22:23], -1, 0
	v_cndmask_b32_e64 v1, 40, 0, vcc
	s_lshl_b32 s35, s4, 1
	s_abs_i32 s4, s17
	v_add_lshl_u32 v57, v3, v0, 2
	v_add_lshl_u32 v68, v1, v0, 2
	v_cvt_f32_u32_e32 v0, s16
	v_cvt_f32_u32_e32 v1, s4
	s_sub_i32 s5, 0, s16
	v_cmp_eq_u32_e64 s[0:1], 0, v2
	v_rcp_iflag_f32_e32 v0, v0
	v_rcp_iflag_f32_e32 v1, v1
	s_lshl_b32 s36, s11, 1
	s_mov_b64 s[6:7], 0
	v_mul_f32_e32 v0, 0x4f7ffffe, v0
	v_mul_f32_e32 v1, 0x4f7ffffe, v1
	v_cvt_u32_f32_e32 v0, v0
	v_cvt_u32_f32_e32 v1, v1
	s_mul_i32 s17, s11, 3
	v_mov_b32_e32 v61, 0
	v_mul_lo_u32 v2, s5, v0
	s_sub_i32 s5, 0, s4
	v_readfirstlane_b32 s24, v1
	s_mul_i32 s5, s5, s24
	s_mul_hi_u32 s5, s24, s5
	s_add_i32 s24, s24, s5
	s_sub_i32 s5, 1, s4
	s_cmp_lt_u32 s4, 2
	s_cselect_b32 s5, s5, 1
	s_sub_i32 s25, s5, s4
	s_cmp_ge_u32 s5, s4
	s_cselect_b32 s37, s25, s5
	s_lshr_b32 s5, s24, 31
	s_mul_i32 s5, s5, s4
	s_sub_i32 s5, 2, s5
	s_sub_i32 s25, s5, s4
	s_cmp_ge_u32 s5, s4
	s_cselect_b32 s5, s25, s5
	s_sub_i32 s25, s5, s4
	s_cmp_ge_u32 s5, s4
	s_cselect_b32 s38, s25, s5
	s_mul_hi_u32 s5, s24, 3
	s_mul_i32 s5, s5, s4
	s_sub_i32 s5, 3, s5
	s_sub_i32 s24, s5, s4
	s_cmp_ge_u32 s5, s4
	s_cselect_b32 s5, s24, s5
	s_sub_i32 s24, s5, s4
	v_mul_hi_u32 v2, v0, v2
	s_cmp_ge_u32 s5, s4
	v_add_u32_e32 v69, v0, v2
	s_cselect_b32 s39, s24, s5
	v_mad_u64_u32 v[62:63], s[4:5], s9, 3, v[56:57]
	v_cndmask_b32_e64 v0, 0, 1, s[2:3]
	s_mul_i32 s37, s37, s16
	s_mul_i32 s38, s38, s16
	;; [unrolled: 1-line block ×3, first 2 shown]
	v_lshl_add_u32 v70, s9, 1, v56
	v_add_u32_e32 v63, s9, v56
	v_cmp_ne_u32_e64 s[2:3], 1, v0
	s_mov_b32 s9, 0xffff
	s_mov_b32 s40, 0x7f800000
	s_movk_i32 s41, 0x7fff
	s_branch .LBB401_8
.LBB401_6:                              ;   in Loop: Header=BB401_8 Depth=1
	s_or_b64 exec, exec, s[4:5]
	v_add_u32_e32 v60, s17, v71
	v_lshl_add_u64 v[2:3], v[60:61], 1, s[20:21]
	global_store_short_d16_hi v[2:3], v0, off
.LBB401_7:                              ;   in Loop: Header=BB401_8 Depth=1
	s_or_b64 exec, exec, s[24:25]
	v_add_u32_e32 v58, s35, v58
	v_cmp_le_u32_e32 vcc, s11, v58
	s_or_b64 s[6:7], vcc, s[6:7]
	s_andn2_b64 exec, exec, s[6:7]
	s_cbranch_execz .LBB401_71
.LBB401_8:                              ; =>This Loop Header: Depth=1
                                        ;     Child Loop BB401_12 Depth 2
	s_and_b64 vcc, exec, s[2:3]
	v_or_b32_e32 v71, 1, v58
	v_mov_b32_e32 v31, v61
	v_mov_b32_e32 v30, v61
	;; [unrolled: 1-line block ×9, first 2 shown]
	s_waitcnt lgkmcnt(0)
	v_mov_b32_e32 v22, v61
	v_mov_b32_e32 v21, v61
	;; [unrolled: 1-line block ×20, first 2 shown]
	s_waitcnt vmcnt(4)
	v_mov_b32_e32 v6, v61
	v_mov_b32_e32 v5, v61
	;; [unrolled: 1-line block ×3, first 2 shown]
	s_cbranch_vccnz .LBB401_29
; %bb.9:                                ;   in Loop: Header=BB401_8 Depth=1
	v_min_u32_e32 v0, s34, v58
	v_mul_lo_u32 v64, v0, s10
	v_min_u32_e32 v0, s34, v71
	v_mov_b32_e32 v4, 0
	v_mov_b32_e32 v65, v61
	v_mul_lo_u32 v66, v0, s10
	v_mov_b32_e32 v67, v61
	s_mov_b32 s26, 0
	v_mov_b32_e32 v5, v4
	v_mov_b32_e32 v6, v4
	;; [unrolled: 1-line block ×31, first 2 shown]
	s_branch .LBB401_12
.LBB401_10:                             ;   in Loop: Header=BB401_12 Depth=2
	s_or_b64 exec, exec, s[24:25]
.LBB401_11:                             ;   in Loop: Header=BB401_12 Depth=2
	s_or_b64 exec, exec, s[4:5]
	s_waitcnt vmcnt(0) lgkmcnt(0)
	v_mfma_f32_16x16x32_fp8_fp8 v[28:31], v[40:41], v[36:37], v[28:31]
	s_addk_i32 s26, 0x400
	s_cmp_ge_u32 s26, s8
	v_mfma_f32_16x16x32_fp8_fp8 v[24:27], v[40:41], v[32:33], v[24:27]
	v_mfma_f32_16x16x32_fp8_fp8 v[20:23], v[44:45], v[36:37], v[20:23]
	;; [unrolled: 1-line block ×15, first 2 shown]
	s_cbranch_scc1 .LBB401_29
.LBB401_12:                             ;   Parent Loop BB401_8 Depth=1
                                        ; =>  This Inner Loop Header: Depth=2
	v_add_u32_e32 v59, s26, v56
	v_min_u32_e32 v60, s33, v59
	s_waitcnt lgkmcnt(0)
	v_lshl_add_u64 v[32:33], s[18:19], 0, v[60:61]
	v_lshl_add_u64 v[40:41], v[32:33], 0, v[64:65]
	;; [unrolled: 1-line block ×3, first 2 shown]
	global_load_dwordx4 v[36:39], v[40:41], off nt
	global_load_dwordx4 v[32:35], v[42:43], off nt
	v_mov_b64_e32 v[54:55], 0
	v_cmp_gt_u32_e32 vcc, s8, v59
	v_mov_b64_e32 v[52:53], v[54:55]
	v_mov_b64_e32 v[50:51], v[54:55]
	v_mov_b64_e32 v[48:49], v[54:55]
	v_mov_b64_e32 v[46:47], v[54:55]
	v_mov_b64_e32 v[44:45], v[54:55]
	v_mov_b64_e32 v[42:43], v[54:55]
	v_mov_b64_e32 v[40:41], v[54:55]
	s_and_saveexec_b64 s[4:5], vcc
	s_cbranch_execz .LBB401_11
; %bb.13:                               ;   in Loop: Header=BB401_12 Depth=2
	v_cmp_lt_u32_e32 vcc, s9, v59
                                        ; implicit-def: $vgpr42_vgpr43
	s_and_saveexec_b64 s[24:25], vcc
	s_xor_b64 s[24:25], exec, s[24:25]
	s_cbranch_execz .LBB401_15
; %bb.14:                               ;   in Loop: Header=BB401_12 Depth=2
	global_load_dwordx4 v[40:43], v59, s[12:13]
                                        ; implicit-def: $vgpr59
.LBB401_15:                             ;   in Loop: Header=BB401_12 Depth=2
	s_andn2_saveexec_b64 s[24:25], s[24:25]
	s_cbranch_execz .LBB401_17
; %bb.16:                               ;   in Loop: Header=BB401_12 Depth=2
	s_waitcnt vmcnt(0)
	ds_read_b128 v[40:43], v59
.LBB401_17:                             ;   in Loop: Header=BB401_12 Depth=2
	s_or_b64 exec, exec, s[24:25]
	v_add_u32_e32 v48, s26, v63
	v_cmp_lt_u32_e32 vcc, s9, v48
                                        ; implicit-def: $vgpr46_vgpr47
	s_and_saveexec_b64 s[24:25], vcc
	s_xor_b64 s[24:25], exec, s[24:25]
	s_cbranch_execz .LBB401_19
; %bb.18:                               ;   in Loop: Header=BB401_12 Depth=2
	global_load_dwordx4 v[44:47], v48, s[12:13]
                                        ; implicit-def: $vgpr48
.LBB401_19:                             ;   in Loop: Header=BB401_12 Depth=2
	s_andn2_saveexec_b64 s[24:25], s[24:25]
	s_cbranch_execz .LBB401_21
; %bb.20:                               ;   in Loop: Header=BB401_12 Depth=2
	s_waitcnt vmcnt(0)
	ds_read_b128 v[44:47], v48
.LBB401_21:                             ;   in Loop: Header=BB401_12 Depth=2
	s_or_b64 exec, exec, s[24:25]
	v_add_u32_e32 v52, s26, v70
	v_cmp_lt_u32_e32 vcc, s9, v52
                                        ; implicit-def: $vgpr50_vgpr51
	s_and_saveexec_b64 s[24:25], vcc
	s_xor_b64 s[24:25], exec, s[24:25]
	s_cbranch_execz .LBB401_23
; %bb.22:                               ;   in Loop: Header=BB401_12 Depth=2
	global_load_dwordx4 v[48:51], v52, s[12:13]
                                        ; implicit-def: $vgpr52
.LBB401_23:                             ;   in Loop: Header=BB401_12 Depth=2
	s_andn2_saveexec_b64 s[24:25], s[24:25]
	s_cbranch_execz .LBB401_25
; %bb.24:                               ;   in Loop: Header=BB401_12 Depth=2
	s_waitcnt vmcnt(0)
	ds_read_b128 v[48:51], v52
.LBB401_25:                             ;   in Loop: Header=BB401_12 Depth=2
	s_or_b64 exec, exec, s[24:25]
	v_add_u32_e32 v59, s26, v62
	v_cmp_lt_u32_e32 vcc, s9, v59
                                        ; implicit-def: $vgpr54_vgpr55
	s_and_saveexec_b64 s[24:25], vcc
	s_xor_b64 s[24:25], exec, s[24:25]
	s_cbranch_execz .LBB401_27
; %bb.26:                               ;   in Loop: Header=BB401_12 Depth=2
	global_load_dwordx4 v[52:55], v59, s[12:13]
                                        ; implicit-def: $vgpr59
.LBB401_27:                             ;   in Loop: Header=BB401_12 Depth=2
	s_andn2_saveexec_b64 s[24:25], s[24:25]
	s_cbranch_execz .LBB401_10
; %bb.28:                               ;   in Loop: Header=BB401_12 Depth=2
	s_waitcnt vmcnt(0)
	ds_read_b128 v[52:55], v59
	s_branch .LBB401_10
.LBB401_29:                             ;   in Loop: Header=BB401_8 Depth=1
	v_cvt_i32_f32_e32 v29, v29
	v_cvt_i32_f32_e32 v30, v30
	;; [unrolled: 1-line block ×4, first 2 shown]
	v_cvt_f32_i32_dpp v29, v29 row_shl:1 row_mask:0xf bank_mask:0xf bound_ctrl:1
	v_cvt_f32_i32_dpp v30, v30 row_shl:2 row_mask:0xf bank_mask:0xf bound_ctrl:1
	v_cvt_i32_f32_e32 v26, v26
	v_cvt_i32_f32_e32 v27, v27
	v_cvt_f32_i32_dpp v31, v31 row_shl:3 row_mask:0xf bank_mask:0xf bound_ctrl:1
	v_add_f32_e32 v28, v28, v29
	v_add_f32_e32 v28, v28, v30
	v_cvt_f32_i32_dpp v30, v25 row_shl:1 row_mask:0xf bank_mask:0xf bound_ctrl:1
	v_cvt_f32_i32_dpp v26, v26 row_shl:2 row_mask:0xf bank_mask:0xf bound_ctrl:1
	;; [unrolled: 1-line block ×3, first 2 shown]
	v_add_f32_e32 v28, v28, v31
	ds_bpermute_b32 v29, v57, v28
	v_add_f32_e32 v24, v24, v30
	v_add_f32_e32 v24, v24, v26
	v_cvt_i32_f32_e32 v21, v21
	v_add_f32_e32 v24, v24, v27
	v_cvt_i32_f32_e32 v27, v22
	v_cvt_i32_f32_e32 v23, v23
	s_waitcnt lgkmcnt(0)
	v_add_f32_e32 v25, v28, v29
	v_cvt_f32_i32_dpp v28, v21 row_shl:1 row_mask:0xf bank_mask:0xf bound_ctrl:1
	v_cvt_f32_i32_dpp v27, v27 row_shl:2 row_mask:0xf bank_mask:0xf bound_ctrl:1
	;; [unrolled: 1-line block ×3, first 2 shown]
	ds_bpermute_b32 v26, v57, v24
	v_add_f32_e32 v20, v20, v28
	v_add_f32_e32 v20, v20, v27
	v_cvt_i32_f32_e32 v17, v17
	v_cvt_i32_f32_e32 v13, v13
	v_add_f32_e32 v20, v20, v23
	v_cvt_i32_f32_e32 v23, v18
	v_cvt_i32_f32_e32 v14, v14
	;; [unrolled: 1-line block ×4, first 2 shown]
	s_waitcnt lgkmcnt(0)
	v_add_f32_e32 v21, v24, v26
	v_cvt_f32_i32_dpp v26, v17 row_shl:1 row_mask:0xf bank_mask:0xf bound_ctrl:1
	v_cvt_f32_i32_dpp v13, v13 row_shl:1 row_mask:0xf bank_mask:0xf bound_ctrl:1
	;; [unrolled: 1-line block ×4, first 2 shown]
	ds_bpermute_b32 v24, v57, v20
	v_cvt_f32_i32_dpp v19, v19 row_shl:3 row_mask:0xf bank_mask:0xf bound_ctrl:1
	v_cvt_f32_i32_dpp v15, v15 row_shl:3 row_mask:0xf bank_mask:0xf bound_ctrl:1
	v_cvt_i32_f32_e32 v1, v1
	v_cvt_i32_f32_e32 v2, v2
	v_add_f32_e32 v16, v16, v26
	v_add_f32_e32 v12, v12, v13
	;; [unrolled: 1-line block ×6, first 2 shown]
	v_cvt_f32_i32_dpp v1, v1 row_shl:1 row_mask:0xf bank_mask:0xf bound_ctrl:1
	s_waitcnt lgkmcnt(0)
	v_add_f32_e32 v17, v20, v24
	ds_bpermute_b32 v19, v57, v16
	ds_bpermute_b32 v20, v57, v14
	v_cvt_f32_i32_dpp v2, v2 row_shl:2 row_mask:0xf bank_mask:0xf bound_ctrl:1
	v_cvt_i32_f32_e32 v3, v3
	v_cvt_i32_f32_e32 v23, v9
	v_add_f32_e32 v0, v0, v1
	v_add_f32_e32 v0, v0, v2
	v_cvt_f32_i32_dpp v1, v3 row_shl:3 row_mask:0xf bank_mask:0xf bound_ctrl:1
	v_cvt_i32_f32_e32 v2, v5
	s_waitcnt lgkmcnt(1)
	v_add_f32_e32 v12, v16, v19
	s_waitcnt lgkmcnt(0)
	v_add_f32_e32 v9, v14, v20
	v_cvt_f32_i32_dpp v14, v23 row_shl:1 row_mask:0xf bank_mask:0xf bound_ctrl:1
	v_cvt_i32_f32_e32 v16, v10
	v_cvt_i32_f32_e32 v3, v6
	;; [unrolled: 1-line block ×4, first 2 shown]
	v_add_f32_e32 v0, v0, v1
	v_cvt_f32_i32_dpp v1, v2 row_shl:1 row_mask:0xf bank_mask:0xf bound_ctrl:1
	v_add_f32_e32 v8, v8, v14
	v_cvt_f32_i32_dpp v14, v16 row_shl:2 row_mask:0xf bank_mask:0xf bound_ctrl:1
	v_cvt_f32_i32_dpp v2, v3 row_shl:2 row_mask:0xf bank_mask:0xf bound_ctrl:1
	;; [unrolled: 1-line block ×4, first 2 shown]
	v_add_f32_e32 v1, v4, v1
	v_add_f32_e32 v8, v8, v14
	;; [unrolled: 1-line block ×5, first 2 shown]
	ds_bpermute_b32 v11, v57, v8
	ds_bpermute_b32 v5, v57, v0
	ds_bpermute_b32 v2, v57, v1
	ds_bpermute_b32 v22, v68, v25
	ds_bpermute_b32 v18, v68, v21
	s_waitcnt lgkmcnt(4)
	v_add_f32_e32 v7, v8, v11
	s_waitcnt lgkmcnt(3)
	v_add_f32_e32 v4, v0, v5
	;; [unrolled: 2-line block ×3, first 2 shown]
	ds_bpermute_b32 v15, v68, v17
	ds_bpermute_b32 v13, v68, v12
	;; [unrolled: 1-line block ×6, first 2 shown]
	s_and_saveexec_b64 s[24:25], s[0:1]
	s_cbranch_execz .LBB401_7
; %bb.30:                               ;   in Loop: Header=BB401_8 Depth=1
	s_andn2_b64 vcc, exec, s[22:23]
	v_mov_b32_e32 v0, 0
	v_mov_b32_e32 v23, 0
	;; [unrolled: 1-line block ×8, first 2 shown]
	s_cbranch_vccnz .LBB401_32
; %bb.31:                               ;   in Loop: Header=BB401_8 Depth=1
	v_mul_hi_u32 v0, v58, v69
	v_mul_lo_u32 v0, v0, s16
	v_sub_u32_e32 v0, v58, v0
	v_subrev_u32_e32 v1, s16, v0
	v_cmp_le_u32_e32 vcc, s16, v0
	v_mov_b32_e32 v31, v61
	v_mov_b32_e32 v33, v61
	v_cndmask_b32_e32 v0, v0, v1, vcc
	v_subrev_u32_e32 v1, s16, v0
	v_cmp_le_u32_e32 vcc, s16, v0
	v_mov_b32_e32 v35, v61
	v_mov_b32_e32 v37, v61
	v_cndmask_b32_e32 v60, v0, v1, vcc
	v_mul_hi_u32 v0, v71, v69
	v_mul_lo_u32 v0, v0, s16
	v_sub_u32_e32 v0, v71, v0
	v_subrev_u32_e32 v1, s16, v0
	v_cmp_le_u32_e32 vcc, s16, v0
	v_lshl_add_u64 v[26:27], v[60:61], 1, s[14:15]
	v_add_u32_e32 v30, s37, v60
	v_cndmask_b32_e32 v0, v0, v1, vcc
	v_subrev_u32_e32 v1, s16, v0
	v_cmp_le_u32_e32 vcc, s16, v0
	v_add_u32_e32 v34, s38, v60
	v_add_u32_e32 v60, s39, v60
	v_cndmask_b32_e32 v0, v0, v1, vcc
	v_mov_b32_e32 v1, v61
	v_add_u32_e32 v32, s37, v0
	v_add_u32_e32 v36, s38, v0
	v_lshl_add_u64 v[38:39], v[60:61], 1, s[14:15]
	v_add_u32_e32 v60, s39, v0
	v_lshl_add_u64 v[28:29], v[0:1], 1, s[14:15]
	v_lshl_add_u64 v[30:31], v[30:31], 1, s[14:15]
	;; [unrolled: 1-line block ×6, first 2 shown]
	global_load_ushort v0, v[26:27], off
	global_load_ushort v23, v[28:29], off
	;; [unrolled: 1-line block ×8, first 2 shown]
.LBB401_32:                             ;   in Loop: Header=BB401_8 Depth=1
	s_waitcnt lgkmcnt(7)
	v_add_f32_e32 v1, v25, v22
	v_mul_f32_e32 v1, s30, v1
	s_waitcnt vmcnt(7)
	v_lshlrev_b32_e32 v0, 16, v0
	v_fmac_f32_e32 v0, s31, v1
	v_and_b32_e32 v1, 0x7f800000, v0
	v_cmp_ne_u32_e32 vcc, s40, v1
                                        ; implicit-def: $vgpr22
	s_and_saveexec_b64 s[4:5], vcc
	s_xor_b64 s[4:5], exec, s[4:5]
; %bb.33:                               ;   in Loop: Header=BB401_8 Depth=1
	v_bfe_u32 v1, v0, 16, 1
	v_add3_u32 v22, v0, v1, s41
                                        ; implicit-def: $vgpr0
; %bb.34:                               ;   in Loop: Header=BB401_8 Depth=1
	s_andn2_saveexec_b64 s[4:5], s[4:5]
; %bb.35:                               ;   in Loop: Header=BB401_8 Depth=1
	v_or_b32_e32 v1, 0x10000, v0
	v_cmp_eq_u32_sdwa vcc, v0, v61 src0_sel:WORD_0 src1_sel:DWORD
	s_nop 1
	v_cndmask_b32_e32 v22, v1, v0, vcc
; %bb.36:                               ;   in Loop: Header=BB401_8 Depth=1
	s_or_b64 exec, exec, s[4:5]
	v_mov_b32_e32 v59, v61
	v_lshl_add_u64 v[0:1], v[58:59], 1, s[20:21]
	v_cmp_gt_u32_e32 vcc, s11, v71
	global_store_short_d16_hi v[0:1], v22, off
	s_and_saveexec_b64 s[26:27], vcc
	s_cbranch_execz .LBB401_42
; %bb.37:                               ;   in Loop: Header=BB401_8 Depth=1
	s_waitcnt lgkmcnt(6)
	v_add_f32_e32 v18, v21, v18
	v_mul_f32_e32 v21, s30, v18
	s_waitcnt vmcnt(7)
	v_lshlrev_b32_e32 v18, 16, v23
	v_fmac_f32_e32 v18, s31, v21
	v_and_b32_e32 v21, 0x7f800000, v18
	v_cmp_ne_u32_e64 s[4:5], s40, v21
                                        ; implicit-def: $vgpr21
	s_and_saveexec_b64 s[28:29], s[4:5]
	s_xor_b64 s[4:5], exec, s[28:29]
; %bb.38:                               ;   in Loop: Header=BB401_8 Depth=1
	v_bfe_u32 v21, v18, 16, 1
	v_add3_u32 v21, v18, v21, s41
                                        ; implicit-def: $vgpr18
; %bb.39:                               ;   in Loop: Header=BB401_8 Depth=1
	s_andn2_saveexec_b64 s[28:29], s[4:5]
; %bb.40:                               ;   in Loop: Header=BB401_8 Depth=1
	v_or_b32_e32 v21, 0x10000, v18
	v_cmp_eq_u32_sdwa s[4:5], v18, v61 src0_sel:WORD_0 src1_sel:DWORD
	s_nop 1
	v_cndmask_b32_e64 v21, v21, v18, s[4:5]
; %bb.41:                               ;   in Loop: Header=BB401_8 Depth=1
	s_or_b64 exec, exec, s[28:29]
	global_store_short_d16_hi v[0:1], v21, off offset:2
.LBB401_42:                             ;   in Loop: Header=BB401_8 Depth=1
	s_or_b64 exec, exec, s[26:27]
	s_waitcnt lgkmcnt(5)
	v_add_f32_e32 v0, v17, v15
	v_mul_f32_e32 v1, s30, v0
	s_waitcnt vmcnt(6)
	v_lshlrev_b32_e32 v0, 16, v20
	v_fmac_f32_e32 v0, s31, v1
	v_and_b32_e32 v1, 0x7f800000, v0
	v_cmp_ne_u32_e64 s[4:5], s40, v1
                                        ; implicit-def: $vgpr1
	s_and_saveexec_b64 s[26:27], s[4:5]
	s_xor_b64 s[4:5], exec, s[26:27]
; %bb.43:                               ;   in Loop: Header=BB401_8 Depth=1
	v_bfe_u32 v1, v0, 16, 1
	v_add3_u32 v1, v0, v1, s41
                                        ; implicit-def: $vgpr0
; %bb.44:                               ;   in Loop: Header=BB401_8 Depth=1
	s_andn2_saveexec_b64 s[26:27], s[4:5]
; %bb.45:                               ;   in Loop: Header=BB401_8 Depth=1
	v_or_b32_e32 v1, 0x10000, v0
	v_cmp_eq_u32_sdwa s[4:5], v0, v61 src0_sel:WORD_0 src1_sel:DWORD
	s_nop 1
	v_cndmask_b32_e64 v1, v1, v0, s[4:5]
; %bb.46:                               ;   in Loop: Header=BB401_8 Depth=1
	s_or_b64 exec, exec, s[26:27]
	v_add_u32_e32 v60, s11, v58
	v_lshl_add_u64 v[20:21], v[60:61], 1, s[20:21]
	global_store_short_d16_hi v[20:21], v1, off
	s_and_saveexec_b64 s[26:27], vcc
	s_cbranch_execz .LBB401_52
; %bb.47:                               ;   in Loop: Header=BB401_8 Depth=1
	s_waitcnt lgkmcnt(4)
	v_add_f32_e32 v0, v12, v13
	v_mul_f32_e32 v0, s30, v0
	s_waitcnt vmcnt(6)
	v_lshlrev_b32_e32 v1, 16, v19
	v_fmac_f32_e32 v1, s31, v0
	v_and_b32_e32 v0, 0x7f800000, v1
	v_cmp_ne_u32_e64 s[4:5], s40, v0
                                        ; implicit-def: $vgpr0
	s_and_saveexec_b64 s[28:29], s[4:5]
	s_xor_b64 s[4:5], exec, s[28:29]
; %bb.48:                               ;   in Loop: Header=BB401_8 Depth=1
	v_bfe_u32 v0, v1, 16, 1
	v_add3_u32 v0, v1, v0, s41
                                        ; implicit-def: $vgpr1
; %bb.49:                               ;   in Loop: Header=BB401_8 Depth=1
	s_andn2_saveexec_b64 s[28:29], s[4:5]
; %bb.50:                               ;   in Loop: Header=BB401_8 Depth=1
	v_or_b32_e32 v0, 0x10000, v1
	v_cmp_eq_u32_sdwa s[4:5], v1, v61 src0_sel:WORD_0 src1_sel:DWORD
	s_nop 1
	v_cndmask_b32_e64 v0, v0, v1, s[4:5]
; %bb.51:                               ;   in Loop: Header=BB401_8 Depth=1
	s_or_b64 exec, exec, s[28:29]
	v_add_u32_e32 v12, s11, v71
	v_mov_b32_e32 v13, v61
	v_lshl_add_u64 v[12:13], v[12:13], 1, s[20:21]
	global_store_short_d16_hi v[12:13], v0, off
.LBB401_52:                             ;   in Loop: Header=BB401_8 Depth=1
	s_or_b64 exec, exec, s[26:27]
	s_waitcnt lgkmcnt(3)
	v_add_f32_e32 v0, v9, v10
	v_mul_f32_e32 v1, s30, v0
	s_waitcnt vmcnt(5)
	v_lshlrev_b32_e32 v0, 16, v16
	v_fmac_f32_e32 v0, s31, v1
	v_and_b32_e32 v1, 0x7f800000, v0
	v_cmp_ne_u32_e64 s[4:5], s40, v1
                                        ; implicit-def: $vgpr1
	s_and_saveexec_b64 s[26:27], s[4:5]
	s_xor_b64 s[4:5], exec, s[26:27]
; %bb.53:                               ;   in Loop: Header=BB401_8 Depth=1
	v_bfe_u32 v1, v0, 16, 1
	v_add3_u32 v1, v0, v1, s41
                                        ; implicit-def: $vgpr0
; %bb.54:                               ;   in Loop: Header=BB401_8 Depth=1
	s_andn2_saveexec_b64 s[26:27], s[4:5]
; %bb.55:                               ;   in Loop: Header=BB401_8 Depth=1
	v_or_b32_e32 v1, 0x10000, v0
	v_cmp_eq_u32_sdwa s[4:5], v0, v61 src0_sel:WORD_0 src1_sel:DWORD
	s_nop 1
	v_cndmask_b32_e64 v1, v1, v0, s[4:5]
; %bb.56:                               ;   in Loop: Header=BB401_8 Depth=1
	s_or_b64 exec, exec, s[26:27]
	v_add_u32_e32 v60, s11, v60
	v_lshl_add_u64 v[12:13], v[60:61], 1, s[20:21]
	global_store_short_d16_hi v[12:13], v1, off
	s_and_saveexec_b64 s[26:27], vcc
	s_cbranch_execz .LBB401_62
; %bb.57:                               ;   in Loop: Header=BB401_8 Depth=1
	s_waitcnt lgkmcnt(2)
	v_add_f32_e32 v0, v7, v8
	v_mul_f32_e32 v0, s30, v0
	s_waitcnt vmcnt(5)
	v_lshlrev_b32_e32 v1, 16, v14
	v_fmac_f32_e32 v1, s31, v0
	v_and_b32_e32 v0, 0x7f800000, v1
	v_cmp_ne_u32_e64 s[4:5], s40, v0
                                        ; implicit-def: $vgpr0
	s_and_saveexec_b64 s[28:29], s[4:5]
	s_xor_b64 s[4:5], exec, s[28:29]
; %bb.58:                               ;   in Loop: Header=BB401_8 Depth=1
	v_bfe_u32 v0, v1, 16, 1
	v_add3_u32 v0, v1, v0, s41
                                        ; implicit-def: $vgpr1
; %bb.59:                               ;   in Loop: Header=BB401_8 Depth=1
	s_andn2_saveexec_b64 s[28:29], s[4:5]
; %bb.60:                               ;   in Loop: Header=BB401_8 Depth=1
	v_or_b32_e32 v0, 0x10000, v1
	v_cmp_eq_u32_sdwa s[4:5], v1, v61 src0_sel:WORD_0 src1_sel:DWORD
	s_nop 1
	v_cndmask_b32_e64 v0, v0, v1, s[4:5]
; %bb.61:                               ;   in Loop: Header=BB401_8 Depth=1
	s_or_b64 exec, exec, s[28:29]
	v_add_u32_e32 v8, s36, v71
	v_mov_b32_e32 v9, v61
	v_lshl_add_u64 v[8:9], v[8:9], 1, s[20:21]
	global_store_short_d16_hi v[8:9], v0, off
.LBB401_62:                             ;   in Loop: Header=BB401_8 Depth=1
	s_or_b64 exec, exec, s[26:27]
	s_waitcnt lgkmcnt(1)
	v_add_f32_e32 v0, v4, v5
	v_mul_f32_e32 v1, s30, v0
	s_waitcnt vmcnt(4)
	v_lshlrev_b32_e32 v0, 16, v11
	v_fmac_f32_e32 v0, s31, v1
	v_and_b32_e32 v1, 0x7f800000, v0
	v_cmp_ne_u32_e64 s[4:5], s40, v1
                                        ; implicit-def: $vgpr1
	s_and_saveexec_b64 s[26:27], s[4:5]
	s_xor_b64 s[4:5], exec, s[26:27]
; %bb.63:                               ;   in Loop: Header=BB401_8 Depth=1
	v_bfe_u32 v1, v0, 16, 1
	v_add3_u32 v1, v0, v1, s41
                                        ; implicit-def: $vgpr0
; %bb.64:                               ;   in Loop: Header=BB401_8 Depth=1
	s_andn2_saveexec_b64 s[26:27], s[4:5]
; %bb.65:                               ;   in Loop: Header=BB401_8 Depth=1
	v_or_b32_e32 v1, 0x10000, v0
	v_cmp_eq_u32_sdwa s[4:5], v0, v61 src0_sel:WORD_0 src1_sel:DWORD
	s_nop 1
	v_cndmask_b32_e64 v1, v1, v0, s[4:5]
; %bb.66:                               ;   in Loop: Header=BB401_8 Depth=1
	s_or_b64 exec, exec, s[26:27]
	v_add_u32_e32 v60, s11, v60
	v_lshl_add_u64 v[4:5], v[60:61], 1, s[20:21]
	global_store_short_d16_hi v[4:5], v1, off
	s_and_b64 exec, exec, vcc
	s_cbranch_execz .LBB401_7
; %bb.67:                               ;   in Loop: Header=BB401_8 Depth=1
	s_waitcnt lgkmcnt(0)
	v_add_f32_e32 v0, v2, v3
	v_mul_f32_e32 v0, s30, v0
	s_waitcnt vmcnt(4)
	v_lshlrev_b32_e32 v1, 16, v6
	v_fmac_f32_e32 v1, s31, v0
	v_and_b32_e32 v0, 0x7f800000, v1
	v_cmp_ne_u32_e32 vcc, s40, v0
                                        ; implicit-def: $vgpr0
	s_and_saveexec_b64 s[4:5], vcc
	s_xor_b64 s[4:5], exec, s[4:5]
; %bb.68:                               ;   in Loop: Header=BB401_8 Depth=1
	v_bfe_u32 v0, v1, 16, 1
	v_add3_u32 v0, v1, v0, s41
                                        ; implicit-def: $vgpr1
; %bb.69:                               ;   in Loop: Header=BB401_8 Depth=1
	s_andn2_saveexec_b64 s[4:5], s[4:5]
	s_cbranch_execz .LBB401_6
; %bb.70:                               ;   in Loop: Header=BB401_8 Depth=1
	v_or_b32_e32 v0, 0x10000, v1
	v_cmp_eq_u32_sdwa vcc, v1, v61 src0_sel:WORD_0 src1_sel:DWORD
	s_nop 1
	v_cndmask_b32_e32 v0, v0, v1, vcc
	s_branch .LBB401_6
.LBB401_71:
	s_endpgm
	.section	.rodata,"a",@progbits
	.p2align	6, 0x0
	.amdhsa_kernel _Z13wvSplitKQ_hf_I14__hip_bfloat16N3c1015Float8_e4m3fnuzELi64ELi2ELi16ELi16ELi1ELi4EEviiiiiiPKT0_S5_PKT_PS6_PKfSB_ii
		.amdhsa_group_segment_fixed_size 65536
		.amdhsa_private_segment_fixed_size 0
		.amdhsa_kernarg_size 80
		.amdhsa_user_sgpr_count 2
		.amdhsa_user_sgpr_dispatch_ptr 0
		.amdhsa_user_sgpr_queue_ptr 0
		.amdhsa_user_sgpr_kernarg_segment_ptr 1
		.amdhsa_user_sgpr_dispatch_id 0
		.amdhsa_user_sgpr_kernarg_preload_length 0
		.amdhsa_user_sgpr_kernarg_preload_offset 0
		.amdhsa_user_sgpr_private_segment_size 0
		.amdhsa_uses_dynamic_stack 0
		.amdhsa_enable_private_segment 0
		.amdhsa_system_sgpr_workgroup_id_x 1
		.amdhsa_system_sgpr_workgroup_id_y 0
		.amdhsa_system_sgpr_workgroup_id_z 0
		.amdhsa_system_sgpr_workgroup_info 0
		.amdhsa_system_vgpr_workitem_id 1
		.amdhsa_next_free_vgpr 72
		.amdhsa_next_free_sgpr 42
		.amdhsa_accum_offset 72
		.amdhsa_reserve_vcc 1
		.amdhsa_float_round_mode_32 0
		.amdhsa_float_round_mode_16_64 0
		.amdhsa_float_denorm_mode_32 3
		.amdhsa_float_denorm_mode_16_64 3
		.amdhsa_dx10_clamp 1
		.amdhsa_ieee_mode 1
		.amdhsa_fp16_overflow 0
		.amdhsa_tg_split 0
		.amdhsa_exception_fp_ieee_invalid_op 0
		.amdhsa_exception_fp_denorm_src 0
		.amdhsa_exception_fp_ieee_div_zero 0
		.amdhsa_exception_fp_ieee_overflow 0
		.amdhsa_exception_fp_ieee_underflow 0
		.amdhsa_exception_fp_ieee_inexact 0
		.amdhsa_exception_int_div_zero 0
	.end_amdhsa_kernel
	.section	.text._Z13wvSplitKQ_hf_I14__hip_bfloat16N3c1015Float8_e4m3fnuzELi64ELi2ELi16ELi16ELi1ELi4EEviiiiiiPKT0_S5_PKT_PS6_PKfSB_ii,"axG",@progbits,_Z13wvSplitKQ_hf_I14__hip_bfloat16N3c1015Float8_e4m3fnuzELi64ELi2ELi16ELi16ELi1ELi4EEviiiiiiPKT0_S5_PKT_PS6_PKfSB_ii,comdat
.Lfunc_end401:
	.size	_Z13wvSplitKQ_hf_I14__hip_bfloat16N3c1015Float8_e4m3fnuzELi64ELi2ELi16ELi16ELi1ELi4EEviiiiiiPKT0_S5_PKT_PS6_PKfSB_ii, .Lfunc_end401-_Z13wvSplitKQ_hf_I14__hip_bfloat16N3c1015Float8_e4m3fnuzELi64ELi2ELi16ELi16ELi1ELi4EEviiiiiiPKT0_S5_PKT_PS6_PKfSB_ii
                                        ; -- End function
	.section	.AMDGPU.csdata,"",@progbits
; Kernel info:
; codeLenInByte = 3324
; NumSgprs: 48
; NumVgprs: 72
; NumAgprs: 0
; TotalNumVgprs: 72
; ScratchSize: 0
; MemoryBound: 1
; FloatMode: 240
; IeeeMode: 1
; LDSByteSize: 65536 bytes/workgroup (compile time only)
; SGPRBlocks: 5
; VGPRBlocks: 8
; NumSGPRsForWavesPerEU: 48
; NumVGPRsForWavesPerEU: 72
; AccumOffset: 72
; Occupancy: 4
; WaveLimiterHint : 0
; COMPUTE_PGM_RSRC2:SCRATCH_EN: 0
; COMPUTE_PGM_RSRC2:USER_SGPR: 2
; COMPUTE_PGM_RSRC2:TRAP_HANDLER: 0
; COMPUTE_PGM_RSRC2:TGID_X_EN: 1
; COMPUTE_PGM_RSRC2:TGID_Y_EN: 0
; COMPUTE_PGM_RSRC2:TGID_Z_EN: 0
; COMPUTE_PGM_RSRC2:TIDIG_COMP_CNT: 1
; COMPUTE_PGM_RSRC3_GFX90A:ACCUM_OFFSET: 17
; COMPUTE_PGM_RSRC3_GFX90A:TG_SPLIT: 0
	.text
	.p2alignl 6, 3212836864
	.fill 256, 4, 3212836864
	.type	__const.__assert_fail.fmt,@object ; @__const.__assert_fail.fmt
	.section	.rodata.str1.16,"aMS",@progbits,1
	.p2align	4, 0x0
__const.__assert_fail.fmt:
	.asciz	"%s:%u: %s: Device-side assertion `%s' failed.\n"
	.size	__const.__assert_fail.fmt, 47

	.type	.str.1,@object                  ; @.str.1
	.section	.rodata.str1.1,"aMS",@progbits,1
.str.1:
	.asciz	"false"
	.size	.str.1, 6

	.type	.str.2,@object                  ; @.str.2
.str.2:
	.asciz	"/root/src/amdgpu-assembly/repos/vllm-project__vllm/csrc/rocm/skinny_gemms.hip"
	.size	.str.2, 78

	.type	__PRETTY_FUNCTION__._Z11wvSplitKrc_I6__halfLi64ELi16ELi4ELi8ELi1ELi16ELi1ELi1ELi1EEviiiiiiPKT_S3_S3_PfPiPS1_i,@object ; @__PRETTY_FUNCTION__._Z11wvSplitKrc_I6__halfLi64ELi16ELi4ELi8ELi1ELi16ELi1ELi1ELi1EEviiiiiiPKT_S3_S3_PfPiPS1_i
__PRETTY_FUNCTION__._Z11wvSplitKrc_I6__halfLi64ELi16ELi4ELi8ELi1ELi16ELi1ELi1ELi1EEviiiiiiPKT_S3_S3_PfPiPS1_i:
	.asciz	"void wvSplitKrc_(const int, const int, const int, const int, const int, const int, const scalar_t *, const scalar_t *__restrict, const scalar_t *__restrict, float *, int *, scalar_t *, const int) [scalar_t = __half, THRDS = 64, YTILE = 16, WvPrGrp = 4, A_CHUNK = 8, UNRL = 1, N = 16, GrpsShrB = 1, CHUNKK = 1, DTRMNSTC = 1]"
	.size	__PRETTY_FUNCTION__._Z11wvSplitKrc_I6__halfLi64ELi16ELi4ELi8ELi1ELi16ELi1ELi1ELi1EEviiiiiiPKT_S3_S3_PfPiPS1_i, 324

	.type	__PRETTY_FUNCTION__._Z11wvSplitKrc_I6__halfLi64ELi16ELi4ELi8ELi1ELi16ELi1ELi1ELi0EEviiiiiiPKT_S3_S3_PfPiPS1_i,@object ; @__PRETTY_FUNCTION__._Z11wvSplitKrc_I6__halfLi64ELi16ELi4ELi8ELi1ELi16ELi1ELi1ELi0EEviiiiiiPKT_S3_S3_PfPiPS1_i
__PRETTY_FUNCTION__._Z11wvSplitKrc_I6__halfLi64ELi16ELi4ELi8ELi1ELi16ELi1ELi1ELi0EEviiiiiiPKT_S3_S3_PfPiPS1_i:
	.asciz	"void wvSplitKrc_(const int, const int, const int, const int, const int, const int, const scalar_t *, const scalar_t *__restrict, const scalar_t *__restrict, float *, int *, scalar_t *, const int) [scalar_t = __half, THRDS = 64, YTILE = 16, WvPrGrp = 4, A_CHUNK = 8, UNRL = 1, N = 16, GrpsShrB = 1, CHUNKK = 1, DTRMNSTC = 0]"
	.size	__PRETTY_FUNCTION__._Z11wvSplitKrc_I6__halfLi64ELi16ELi4ELi8ELi1ELi16ELi1ELi1ELi0EEviiiiiiPKT_S3_S3_PfPiPS1_i, 324

	.type	__PRETTY_FUNCTION__._Z11wvSplitKrc_I6__halfLi64ELi16ELi4ELi8ELi1ELi32ELi2ELi2ELi1EEviiiiiiPKT_S3_S3_PfPiPS1_i,@object ; @__PRETTY_FUNCTION__._Z11wvSplitKrc_I6__halfLi64ELi16ELi4ELi8ELi1ELi32ELi2ELi2ELi1EEviiiiiiPKT_S3_S3_PfPiPS1_i
__PRETTY_FUNCTION__._Z11wvSplitKrc_I6__halfLi64ELi16ELi4ELi8ELi1ELi32ELi2ELi2ELi1EEviiiiiiPKT_S3_S3_PfPiPS1_i:
	.asciz	"void wvSplitKrc_(const int, const int, const int, const int, const int, const int, const scalar_t *, const scalar_t *__restrict, const scalar_t *__restrict, float *, int *, scalar_t *, const int) [scalar_t = __half, THRDS = 64, YTILE = 16, WvPrGrp = 4, A_CHUNK = 8, UNRL = 1, N = 32, GrpsShrB = 2, CHUNKK = 2, DTRMNSTC = 1]"
	.size	__PRETTY_FUNCTION__._Z11wvSplitKrc_I6__halfLi64ELi16ELi4ELi8ELi1ELi32ELi2ELi2ELi1EEviiiiiiPKT_S3_S3_PfPiPS1_i, 324

	.type	__PRETTY_FUNCTION__._Z11wvSplitKrc_I6__halfLi64ELi16ELi4ELi8ELi1ELi32ELi2ELi2ELi0EEviiiiiiPKT_S3_S3_PfPiPS1_i,@object ; @__PRETTY_FUNCTION__._Z11wvSplitKrc_I6__halfLi64ELi16ELi4ELi8ELi1ELi32ELi2ELi2ELi0EEviiiiiiPKT_S3_S3_PfPiPS1_i
__PRETTY_FUNCTION__._Z11wvSplitKrc_I6__halfLi64ELi16ELi4ELi8ELi1ELi32ELi2ELi2ELi0EEviiiiiiPKT_S3_S3_PfPiPS1_i:
	.asciz	"void wvSplitKrc_(const int, const int, const int, const int, const int, const int, const scalar_t *, const scalar_t *__restrict, const scalar_t *__restrict, float *, int *, scalar_t *, const int) [scalar_t = __half, THRDS = 64, YTILE = 16, WvPrGrp = 4, A_CHUNK = 8, UNRL = 1, N = 32, GrpsShrB = 2, CHUNKK = 2, DTRMNSTC = 0]"
	.size	__PRETTY_FUNCTION__._Z11wvSplitKrc_I6__halfLi64ELi16ELi4ELi8ELi1ELi32ELi2ELi2ELi0EEviiiiiiPKT_S3_S3_PfPiPS1_i, 324

	.type	__PRETTY_FUNCTION__._Z11wvSplitKrc_I6__halfLi64ELi16ELi4ELi8ELi1ELi32ELi2ELi1ELi1EEviiiiiiPKT_S3_S3_PfPiPS1_i,@object ; @__PRETTY_FUNCTION__._Z11wvSplitKrc_I6__halfLi64ELi16ELi4ELi8ELi1ELi32ELi2ELi1ELi1EEviiiiiiPKT_S3_S3_PfPiPS1_i
__PRETTY_FUNCTION__._Z11wvSplitKrc_I6__halfLi64ELi16ELi4ELi8ELi1ELi32ELi2ELi1ELi1EEviiiiiiPKT_S3_S3_PfPiPS1_i:
	.asciz	"void wvSplitKrc_(const int, const int, const int, const int, const int, const int, const scalar_t *, const scalar_t *__restrict, const scalar_t *__restrict, float *, int *, scalar_t *, const int) [scalar_t = __half, THRDS = 64, YTILE = 16, WvPrGrp = 4, A_CHUNK = 8, UNRL = 1, N = 32, GrpsShrB = 2, CHUNKK = 1, DTRMNSTC = 1]"
	.size	__PRETTY_FUNCTION__._Z11wvSplitKrc_I6__halfLi64ELi16ELi4ELi8ELi1ELi32ELi2ELi1ELi1EEviiiiiiPKT_S3_S3_PfPiPS1_i, 324

	.type	__PRETTY_FUNCTION__._Z11wvSplitKrc_I6__halfLi64ELi16ELi4ELi8ELi1ELi32ELi2ELi1ELi0EEviiiiiiPKT_S3_S3_PfPiPS1_i,@object ; @__PRETTY_FUNCTION__._Z11wvSplitKrc_I6__halfLi64ELi16ELi4ELi8ELi1ELi32ELi2ELi1ELi0EEviiiiiiPKT_S3_S3_PfPiPS1_i
__PRETTY_FUNCTION__._Z11wvSplitKrc_I6__halfLi64ELi16ELi4ELi8ELi1ELi32ELi2ELi1ELi0EEviiiiiiPKT_S3_S3_PfPiPS1_i:
	.asciz	"void wvSplitKrc_(const int, const int, const int, const int, const int, const int, const scalar_t *, const scalar_t *__restrict, const scalar_t *__restrict, float *, int *, scalar_t *, const int) [scalar_t = __half, THRDS = 64, YTILE = 16, WvPrGrp = 4, A_CHUNK = 8, UNRL = 1, N = 32, GrpsShrB = 2, CHUNKK = 1, DTRMNSTC = 0]"
	.size	__PRETTY_FUNCTION__._Z11wvSplitKrc_I6__halfLi64ELi16ELi4ELi8ELi1ELi32ELi2ELi1ELi0EEviiiiiiPKT_S3_S3_PfPiPS1_i, 324

	.type	__PRETTY_FUNCTION__._Z11wvSplitKrc_I6__halfLi64ELi16ELi4ELi8ELi1ELi64ELi4ELi2ELi1EEviiiiiiPKT_S3_S3_PfPiPS1_i,@object ; @__PRETTY_FUNCTION__._Z11wvSplitKrc_I6__halfLi64ELi16ELi4ELi8ELi1ELi64ELi4ELi2ELi1EEviiiiiiPKT_S3_S3_PfPiPS1_i
__PRETTY_FUNCTION__._Z11wvSplitKrc_I6__halfLi64ELi16ELi4ELi8ELi1ELi64ELi4ELi2ELi1EEviiiiiiPKT_S3_S3_PfPiPS1_i:
	.asciz	"void wvSplitKrc_(const int, const int, const int, const int, const int, const int, const scalar_t *, const scalar_t *__restrict, const scalar_t *__restrict, float *, int *, scalar_t *, const int) [scalar_t = __half, THRDS = 64, YTILE = 16, WvPrGrp = 4, A_CHUNK = 8, UNRL = 1, N = 64, GrpsShrB = 4, CHUNKK = 2, DTRMNSTC = 1]"
	.size	__PRETTY_FUNCTION__._Z11wvSplitKrc_I6__halfLi64ELi16ELi4ELi8ELi1ELi64ELi4ELi2ELi1EEviiiiiiPKT_S3_S3_PfPiPS1_i, 324

	.type	__PRETTY_FUNCTION__._Z11wvSplitKrc_I6__halfLi64ELi16ELi4ELi8ELi1ELi64ELi4ELi2ELi0EEviiiiiiPKT_S3_S3_PfPiPS1_i,@object ; @__PRETTY_FUNCTION__._Z11wvSplitKrc_I6__halfLi64ELi16ELi4ELi8ELi1ELi64ELi4ELi2ELi0EEviiiiiiPKT_S3_S3_PfPiPS1_i
__PRETTY_FUNCTION__._Z11wvSplitKrc_I6__halfLi64ELi16ELi4ELi8ELi1ELi64ELi4ELi2ELi0EEviiiiiiPKT_S3_S3_PfPiPS1_i:
	.asciz	"void wvSplitKrc_(const int, const int, const int, const int, const int, const int, const scalar_t *, const scalar_t *__restrict, const scalar_t *__restrict, float *, int *, scalar_t *, const int) [scalar_t = __half, THRDS = 64, YTILE = 16, WvPrGrp = 4, A_CHUNK = 8, UNRL = 1, N = 64, GrpsShrB = 4, CHUNKK = 2, DTRMNSTC = 0]"
	.size	__PRETTY_FUNCTION__._Z11wvSplitKrc_I6__halfLi64ELi16ELi4ELi8ELi1ELi64ELi4ELi2ELi0EEviiiiiiPKT_S3_S3_PfPiPS1_i, 324

	.type	__PRETTY_FUNCTION__._Z11wvSplitKrc_I6__halfLi64ELi16ELi4ELi8ELi1ELi64ELi4ELi1ELi1EEviiiiiiPKT_S3_S3_PfPiPS1_i,@object ; @__PRETTY_FUNCTION__._Z11wvSplitKrc_I6__halfLi64ELi16ELi4ELi8ELi1ELi64ELi4ELi1ELi1EEviiiiiiPKT_S3_S3_PfPiPS1_i
__PRETTY_FUNCTION__._Z11wvSplitKrc_I6__halfLi64ELi16ELi4ELi8ELi1ELi64ELi4ELi1ELi1EEviiiiiiPKT_S3_S3_PfPiPS1_i:
	.asciz	"void wvSplitKrc_(const int, const int, const int, const int, const int, const int, const scalar_t *, const scalar_t *__restrict, const scalar_t *__restrict, float *, int *, scalar_t *, const int) [scalar_t = __half, THRDS = 64, YTILE = 16, WvPrGrp = 4, A_CHUNK = 8, UNRL = 1, N = 64, GrpsShrB = 4, CHUNKK = 1, DTRMNSTC = 1]"
	.size	__PRETTY_FUNCTION__._Z11wvSplitKrc_I6__halfLi64ELi16ELi4ELi8ELi1ELi64ELi4ELi1ELi1EEviiiiiiPKT_S3_S3_PfPiPS1_i, 324

	.type	__PRETTY_FUNCTION__._Z11wvSplitKrc_I6__halfLi64ELi16ELi4ELi8ELi1ELi64ELi4ELi1ELi0EEviiiiiiPKT_S3_S3_PfPiPS1_i,@object ; @__PRETTY_FUNCTION__._Z11wvSplitKrc_I6__halfLi64ELi16ELi4ELi8ELi1ELi64ELi4ELi1ELi0EEviiiiiiPKT_S3_S3_PfPiPS1_i
__PRETTY_FUNCTION__._Z11wvSplitKrc_I6__halfLi64ELi16ELi4ELi8ELi1ELi64ELi4ELi1ELi0EEviiiiiiPKT_S3_S3_PfPiPS1_i:
	.asciz	"void wvSplitKrc_(const int, const int, const int, const int, const int, const int, const scalar_t *, const scalar_t *__restrict, const scalar_t *__restrict, float *, int *, scalar_t *, const int) [scalar_t = __half, THRDS = 64, YTILE = 16, WvPrGrp = 4, A_CHUNK = 8, UNRL = 1, N = 64, GrpsShrB = 4, CHUNKK = 1, DTRMNSTC = 0]"
	.size	__PRETTY_FUNCTION__._Z11wvSplitKrc_I6__halfLi64ELi16ELi4ELi8ELi1ELi64ELi4ELi1ELi0EEviiiiiiPKT_S3_S3_PfPiPS1_i, 324

	.type	__PRETTY_FUNCTION__._Z11wvSplitKrc_I6__halfLi64ELi16ELi4ELi8ELi1ELi128ELi4ELi2ELi1EEviiiiiiPKT_S3_S3_PfPiPS1_i,@object ; @__PRETTY_FUNCTION__._Z11wvSplitKrc_I6__halfLi64ELi16ELi4ELi8ELi1ELi128ELi4ELi2ELi1EEviiiiiiPKT_S3_S3_PfPiPS1_i
__PRETTY_FUNCTION__._Z11wvSplitKrc_I6__halfLi64ELi16ELi4ELi8ELi1ELi128ELi4ELi2ELi1EEviiiiiiPKT_S3_S3_PfPiPS1_i:
	.asciz	"void wvSplitKrc_(const int, const int, const int, const int, const int, const int, const scalar_t *, const scalar_t *__restrict, const scalar_t *__restrict, float *, int *, scalar_t *, const int) [scalar_t = __half, THRDS = 64, YTILE = 16, WvPrGrp = 4, A_CHUNK = 8, UNRL = 1, N = 128, GrpsShrB = 4, CHUNKK = 2, DTRMNSTC = 1]"
	.size	__PRETTY_FUNCTION__._Z11wvSplitKrc_I6__halfLi64ELi16ELi4ELi8ELi1ELi128ELi4ELi2ELi1EEviiiiiiPKT_S3_S3_PfPiPS1_i, 325

	.type	__PRETTY_FUNCTION__._Z11wvSplitKrc_I6__halfLi64ELi16ELi4ELi8ELi1ELi128ELi4ELi2ELi0EEviiiiiiPKT_S3_S3_PfPiPS1_i,@object ; @__PRETTY_FUNCTION__._Z11wvSplitKrc_I6__halfLi64ELi16ELi4ELi8ELi1ELi128ELi4ELi2ELi0EEviiiiiiPKT_S3_S3_PfPiPS1_i
__PRETTY_FUNCTION__._Z11wvSplitKrc_I6__halfLi64ELi16ELi4ELi8ELi1ELi128ELi4ELi2ELi0EEviiiiiiPKT_S3_S3_PfPiPS1_i:
	.asciz	"void wvSplitKrc_(const int, const int, const int, const int, const int, const int, const scalar_t *, const scalar_t *__restrict, const scalar_t *__restrict, float *, int *, scalar_t *, const int) [scalar_t = __half, THRDS = 64, YTILE = 16, WvPrGrp = 4, A_CHUNK = 8, UNRL = 1, N = 128, GrpsShrB = 4, CHUNKK = 2, DTRMNSTC = 0]"
	.size	__PRETTY_FUNCTION__._Z11wvSplitKrc_I6__halfLi64ELi16ELi4ELi8ELi1ELi128ELi4ELi2ELi0EEviiiiiiPKT_S3_S3_PfPiPS1_i, 325

	.type	__PRETTY_FUNCTION__._Z11wvSplitKrc_I6__halfLi64ELi16ELi4ELi8ELi1ELi128ELi4ELi1ELi1EEviiiiiiPKT_S3_S3_PfPiPS1_i,@object ; @__PRETTY_FUNCTION__._Z11wvSplitKrc_I6__halfLi64ELi16ELi4ELi8ELi1ELi128ELi4ELi1ELi1EEviiiiiiPKT_S3_S3_PfPiPS1_i
__PRETTY_FUNCTION__._Z11wvSplitKrc_I6__halfLi64ELi16ELi4ELi8ELi1ELi128ELi4ELi1ELi1EEviiiiiiPKT_S3_S3_PfPiPS1_i:
	.asciz	"void wvSplitKrc_(const int, const int, const int, const int, const int, const int, const scalar_t *, const scalar_t *__restrict, const scalar_t *__restrict, float *, int *, scalar_t *, const int) [scalar_t = __half, THRDS = 64, YTILE = 16, WvPrGrp = 4, A_CHUNK = 8, UNRL = 1, N = 128, GrpsShrB = 4, CHUNKK = 1, DTRMNSTC = 1]"
	.size	__PRETTY_FUNCTION__._Z11wvSplitKrc_I6__halfLi64ELi16ELi4ELi8ELi1ELi128ELi4ELi1ELi1EEviiiiiiPKT_S3_S3_PfPiPS1_i, 325

	.type	__PRETTY_FUNCTION__._Z11wvSplitKrc_I6__halfLi64ELi16ELi4ELi8ELi1ELi128ELi4ELi1ELi0EEviiiiiiPKT_S3_S3_PfPiPS1_i,@object ; @__PRETTY_FUNCTION__._Z11wvSplitKrc_I6__halfLi64ELi16ELi4ELi8ELi1ELi128ELi4ELi1ELi0EEviiiiiiPKT_S3_S3_PfPiPS1_i
__PRETTY_FUNCTION__._Z11wvSplitKrc_I6__halfLi64ELi16ELi4ELi8ELi1ELi128ELi4ELi1ELi0EEviiiiiiPKT_S3_S3_PfPiPS1_i:
	.asciz	"void wvSplitKrc_(const int, const int, const int, const int, const int, const int, const scalar_t *, const scalar_t *__restrict, const scalar_t *__restrict, float *, int *, scalar_t *, const int) [scalar_t = __half, THRDS = 64, YTILE = 16, WvPrGrp = 4, A_CHUNK = 8, UNRL = 1, N = 128, GrpsShrB = 4, CHUNKK = 1, DTRMNSTC = 0]"
	.size	__PRETTY_FUNCTION__._Z11wvSplitKrc_I6__halfLi64ELi16ELi4ELi8ELi1ELi128ELi4ELi1ELi0EEviiiiiiPKT_S3_S3_PfPiPS1_i, 325

	.type	__PRETTY_FUNCTION__._Z11wvSplitKrc_I14__hip_bfloat16Li64ELi16ELi4ELi8ELi1ELi16ELi1ELi1ELi1EEviiiiiiPKT_S3_S3_PfPiPS1_i,@object ; @__PRETTY_FUNCTION__._Z11wvSplitKrc_I14__hip_bfloat16Li64ELi16ELi4ELi8ELi1ELi16ELi1ELi1ELi1EEviiiiiiPKT_S3_S3_PfPiPS1_i
__PRETTY_FUNCTION__._Z11wvSplitKrc_I14__hip_bfloat16Li64ELi16ELi4ELi8ELi1ELi16ELi1ELi1ELi1EEviiiiiiPKT_S3_S3_PfPiPS1_i:
	.asciz	"void wvSplitKrc_(const int, const int, const int, const int, const int, const int, const scalar_t *, const scalar_t *__restrict, const scalar_t *__restrict, float *, int *, scalar_t *, const int) [scalar_t = __hip_bfloat16, THRDS = 64, YTILE = 16, WvPrGrp = 4, A_CHUNK = 8, UNRL = 1, N = 16, GrpsShrB = 1, CHUNKK = 1, DTRMNSTC = 1]"
	.size	__PRETTY_FUNCTION__._Z11wvSplitKrc_I14__hip_bfloat16Li64ELi16ELi4ELi8ELi1ELi16ELi1ELi1ELi1EEviiiiiiPKT_S3_S3_PfPiPS1_i, 332

	.type	__PRETTY_FUNCTION__._Z11wvSplitKrc_I14__hip_bfloat16Li64ELi16ELi4ELi8ELi1ELi16ELi1ELi1ELi0EEviiiiiiPKT_S3_S3_PfPiPS1_i,@object ; @__PRETTY_FUNCTION__._Z11wvSplitKrc_I14__hip_bfloat16Li64ELi16ELi4ELi8ELi1ELi16ELi1ELi1ELi0EEviiiiiiPKT_S3_S3_PfPiPS1_i
__PRETTY_FUNCTION__._Z11wvSplitKrc_I14__hip_bfloat16Li64ELi16ELi4ELi8ELi1ELi16ELi1ELi1ELi0EEviiiiiiPKT_S3_S3_PfPiPS1_i:
	.asciz	"void wvSplitKrc_(const int, const int, const int, const int, const int, const int, const scalar_t *, const scalar_t *__restrict, const scalar_t *__restrict, float *, int *, scalar_t *, const int) [scalar_t = __hip_bfloat16, THRDS = 64, YTILE = 16, WvPrGrp = 4, A_CHUNK = 8, UNRL = 1, N = 16, GrpsShrB = 1, CHUNKK = 1, DTRMNSTC = 0]"
	.size	__PRETTY_FUNCTION__._Z11wvSplitKrc_I14__hip_bfloat16Li64ELi16ELi4ELi8ELi1ELi16ELi1ELi1ELi0EEviiiiiiPKT_S3_S3_PfPiPS1_i, 332

	.type	__PRETTY_FUNCTION__._Z11wvSplitKrc_I14__hip_bfloat16Li64ELi16ELi4ELi8ELi1ELi32ELi2ELi2ELi1EEviiiiiiPKT_S3_S3_PfPiPS1_i,@object ; @__PRETTY_FUNCTION__._Z11wvSplitKrc_I14__hip_bfloat16Li64ELi16ELi4ELi8ELi1ELi32ELi2ELi2ELi1EEviiiiiiPKT_S3_S3_PfPiPS1_i
__PRETTY_FUNCTION__._Z11wvSplitKrc_I14__hip_bfloat16Li64ELi16ELi4ELi8ELi1ELi32ELi2ELi2ELi1EEviiiiiiPKT_S3_S3_PfPiPS1_i:
	.asciz	"void wvSplitKrc_(const int, const int, const int, const int, const int, const int, const scalar_t *, const scalar_t *__restrict, const scalar_t *__restrict, float *, int *, scalar_t *, const int) [scalar_t = __hip_bfloat16, THRDS = 64, YTILE = 16, WvPrGrp = 4, A_CHUNK = 8, UNRL = 1, N = 32, GrpsShrB = 2, CHUNKK = 2, DTRMNSTC = 1]"
	.size	__PRETTY_FUNCTION__._Z11wvSplitKrc_I14__hip_bfloat16Li64ELi16ELi4ELi8ELi1ELi32ELi2ELi2ELi1EEviiiiiiPKT_S3_S3_PfPiPS1_i, 332

	.type	__PRETTY_FUNCTION__._Z11wvSplitKrc_I14__hip_bfloat16Li64ELi16ELi4ELi8ELi1ELi32ELi2ELi2ELi0EEviiiiiiPKT_S3_S3_PfPiPS1_i,@object ; @__PRETTY_FUNCTION__._Z11wvSplitKrc_I14__hip_bfloat16Li64ELi16ELi4ELi8ELi1ELi32ELi2ELi2ELi0EEviiiiiiPKT_S3_S3_PfPiPS1_i
__PRETTY_FUNCTION__._Z11wvSplitKrc_I14__hip_bfloat16Li64ELi16ELi4ELi8ELi1ELi32ELi2ELi2ELi0EEviiiiiiPKT_S3_S3_PfPiPS1_i:
	.asciz	"void wvSplitKrc_(const int, const int, const int, const int, const int, const int, const scalar_t *, const scalar_t *__restrict, const scalar_t *__restrict, float *, int *, scalar_t *, const int) [scalar_t = __hip_bfloat16, THRDS = 64, YTILE = 16, WvPrGrp = 4, A_CHUNK = 8, UNRL = 1, N = 32, GrpsShrB = 2, CHUNKK = 2, DTRMNSTC = 0]"
	.size	__PRETTY_FUNCTION__._Z11wvSplitKrc_I14__hip_bfloat16Li64ELi16ELi4ELi8ELi1ELi32ELi2ELi2ELi0EEviiiiiiPKT_S3_S3_PfPiPS1_i, 332

	.type	__PRETTY_FUNCTION__._Z11wvSplitKrc_I14__hip_bfloat16Li64ELi16ELi4ELi8ELi1ELi32ELi2ELi1ELi1EEviiiiiiPKT_S3_S3_PfPiPS1_i,@object ; @__PRETTY_FUNCTION__._Z11wvSplitKrc_I14__hip_bfloat16Li64ELi16ELi4ELi8ELi1ELi32ELi2ELi1ELi1EEviiiiiiPKT_S3_S3_PfPiPS1_i
__PRETTY_FUNCTION__._Z11wvSplitKrc_I14__hip_bfloat16Li64ELi16ELi4ELi8ELi1ELi32ELi2ELi1ELi1EEviiiiiiPKT_S3_S3_PfPiPS1_i:
	.asciz	"void wvSplitKrc_(const int, const int, const int, const int, const int, const int, const scalar_t *, const scalar_t *__restrict, const scalar_t *__restrict, float *, int *, scalar_t *, const int) [scalar_t = __hip_bfloat16, THRDS = 64, YTILE = 16, WvPrGrp = 4, A_CHUNK = 8, UNRL = 1, N = 32, GrpsShrB = 2, CHUNKK = 1, DTRMNSTC = 1]"
	.size	__PRETTY_FUNCTION__._Z11wvSplitKrc_I14__hip_bfloat16Li64ELi16ELi4ELi8ELi1ELi32ELi2ELi1ELi1EEviiiiiiPKT_S3_S3_PfPiPS1_i, 332

	.type	__PRETTY_FUNCTION__._Z11wvSplitKrc_I14__hip_bfloat16Li64ELi16ELi4ELi8ELi1ELi32ELi2ELi1ELi0EEviiiiiiPKT_S3_S3_PfPiPS1_i,@object ; @__PRETTY_FUNCTION__._Z11wvSplitKrc_I14__hip_bfloat16Li64ELi16ELi4ELi8ELi1ELi32ELi2ELi1ELi0EEviiiiiiPKT_S3_S3_PfPiPS1_i
__PRETTY_FUNCTION__._Z11wvSplitKrc_I14__hip_bfloat16Li64ELi16ELi4ELi8ELi1ELi32ELi2ELi1ELi0EEviiiiiiPKT_S3_S3_PfPiPS1_i:
	.asciz	"void wvSplitKrc_(const int, const int, const int, const int, const int, const int, const scalar_t *, const scalar_t *__restrict, const scalar_t *__restrict, float *, int *, scalar_t *, const int) [scalar_t = __hip_bfloat16, THRDS = 64, YTILE = 16, WvPrGrp = 4, A_CHUNK = 8, UNRL = 1, N = 32, GrpsShrB = 2, CHUNKK = 1, DTRMNSTC = 0]"
	.size	__PRETTY_FUNCTION__._Z11wvSplitKrc_I14__hip_bfloat16Li64ELi16ELi4ELi8ELi1ELi32ELi2ELi1ELi0EEviiiiiiPKT_S3_S3_PfPiPS1_i, 332

	.type	__PRETTY_FUNCTION__._Z11wvSplitKrc_I14__hip_bfloat16Li64ELi16ELi4ELi8ELi1ELi64ELi4ELi2ELi1EEviiiiiiPKT_S3_S3_PfPiPS1_i,@object ; @__PRETTY_FUNCTION__._Z11wvSplitKrc_I14__hip_bfloat16Li64ELi16ELi4ELi8ELi1ELi64ELi4ELi2ELi1EEviiiiiiPKT_S3_S3_PfPiPS1_i
__PRETTY_FUNCTION__._Z11wvSplitKrc_I14__hip_bfloat16Li64ELi16ELi4ELi8ELi1ELi64ELi4ELi2ELi1EEviiiiiiPKT_S3_S3_PfPiPS1_i:
	.asciz	"void wvSplitKrc_(const int, const int, const int, const int, const int, const int, const scalar_t *, const scalar_t *__restrict, const scalar_t *__restrict, float *, int *, scalar_t *, const int) [scalar_t = __hip_bfloat16, THRDS = 64, YTILE = 16, WvPrGrp = 4, A_CHUNK = 8, UNRL = 1, N = 64, GrpsShrB = 4, CHUNKK = 2, DTRMNSTC = 1]"
	.size	__PRETTY_FUNCTION__._Z11wvSplitKrc_I14__hip_bfloat16Li64ELi16ELi4ELi8ELi1ELi64ELi4ELi2ELi1EEviiiiiiPKT_S3_S3_PfPiPS1_i, 332

	.type	__PRETTY_FUNCTION__._Z11wvSplitKrc_I14__hip_bfloat16Li64ELi16ELi4ELi8ELi1ELi64ELi4ELi2ELi0EEviiiiiiPKT_S3_S3_PfPiPS1_i,@object ; @__PRETTY_FUNCTION__._Z11wvSplitKrc_I14__hip_bfloat16Li64ELi16ELi4ELi8ELi1ELi64ELi4ELi2ELi0EEviiiiiiPKT_S3_S3_PfPiPS1_i
__PRETTY_FUNCTION__._Z11wvSplitKrc_I14__hip_bfloat16Li64ELi16ELi4ELi8ELi1ELi64ELi4ELi2ELi0EEviiiiiiPKT_S3_S3_PfPiPS1_i:
	.asciz	"void wvSplitKrc_(const int, const int, const int, const int, const int, const int, const scalar_t *, const scalar_t *__restrict, const scalar_t *__restrict, float *, int *, scalar_t *, const int) [scalar_t = __hip_bfloat16, THRDS = 64, YTILE = 16, WvPrGrp = 4, A_CHUNK = 8, UNRL = 1, N = 64, GrpsShrB = 4, CHUNKK = 2, DTRMNSTC = 0]"
	.size	__PRETTY_FUNCTION__._Z11wvSplitKrc_I14__hip_bfloat16Li64ELi16ELi4ELi8ELi1ELi64ELi4ELi2ELi0EEviiiiiiPKT_S3_S3_PfPiPS1_i, 332

	.type	__PRETTY_FUNCTION__._Z11wvSplitKrc_I14__hip_bfloat16Li64ELi16ELi4ELi8ELi1ELi64ELi4ELi1ELi1EEviiiiiiPKT_S3_S3_PfPiPS1_i,@object ; @__PRETTY_FUNCTION__._Z11wvSplitKrc_I14__hip_bfloat16Li64ELi16ELi4ELi8ELi1ELi64ELi4ELi1ELi1EEviiiiiiPKT_S3_S3_PfPiPS1_i
__PRETTY_FUNCTION__._Z11wvSplitKrc_I14__hip_bfloat16Li64ELi16ELi4ELi8ELi1ELi64ELi4ELi1ELi1EEviiiiiiPKT_S3_S3_PfPiPS1_i:
	.asciz	"void wvSplitKrc_(const int, const int, const int, const int, const int, const int, const scalar_t *, const scalar_t *__restrict, const scalar_t *__restrict, float *, int *, scalar_t *, const int) [scalar_t = __hip_bfloat16, THRDS = 64, YTILE = 16, WvPrGrp = 4, A_CHUNK = 8, UNRL = 1, N = 64, GrpsShrB = 4, CHUNKK = 1, DTRMNSTC = 1]"
	.size	__PRETTY_FUNCTION__._Z11wvSplitKrc_I14__hip_bfloat16Li64ELi16ELi4ELi8ELi1ELi64ELi4ELi1ELi1EEviiiiiiPKT_S3_S3_PfPiPS1_i, 332

	.type	__PRETTY_FUNCTION__._Z11wvSplitKrc_I14__hip_bfloat16Li64ELi16ELi4ELi8ELi1ELi64ELi4ELi1ELi0EEviiiiiiPKT_S3_S3_PfPiPS1_i,@object ; @__PRETTY_FUNCTION__._Z11wvSplitKrc_I14__hip_bfloat16Li64ELi16ELi4ELi8ELi1ELi64ELi4ELi1ELi0EEviiiiiiPKT_S3_S3_PfPiPS1_i
__PRETTY_FUNCTION__._Z11wvSplitKrc_I14__hip_bfloat16Li64ELi16ELi4ELi8ELi1ELi64ELi4ELi1ELi0EEviiiiiiPKT_S3_S3_PfPiPS1_i:
	.asciz	"void wvSplitKrc_(const int, const int, const int, const int, const int, const int, const scalar_t *, const scalar_t *__restrict, const scalar_t *__restrict, float *, int *, scalar_t *, const int) [scalar_t = __hip_bfloat16, THRDS = 64, YTILE = 16, WvPrGrp = 4, A_CHUNK = 8, UNRL = 1, N = 64, GrpsShrB = 4, CHUNKK = 1, DTRMNSTC = 0]"
	.size	__PRETTY_FUNCTION__._Z11wvSplitKrc_I14__hip_bfloat16Li64ELi16ELi4ELi8ELi1ELi64ELi4ELi1ELi0EEviiiiiiPKT_S3_S3_PfPiPS1_i, 332

	.type	__PRETTY_FUNCTION__._Z11wvSplitKrc_I14__hip_bfloat16Li64ELi16ELi4ELi8ELi1ELi128ELi4ELi2ELi1EEviiiiiiPKT_S3_S3_PfPiPS1_i,@object ; @__PRETTY_FUNCTION__._Z11wvSplitKrc_I14__hip_bfloat16Li64ELi16ELi4ELi8ELi1ELi128ELi4ELi2ELi1EEviiiiiiPKT_S3_S3_PfPiPS1_i
__PRETTY_FUNCTION__._Z11wvSplitKrc_I14__hip_bfloat16Li64ELi16ELi4ELi8ELi1ELi128ELi4ELi2ELi1EEviiiiiiPKT_S3_S3_PfPiPS1_i:
	.asciz	"void wvSplitKrc_(const int, const int, const int, const int, const int, const int, const scalar_t *, const scalar_t *__restrict, const scalar_t *__restrict, float *, int *, scalar_t *, const int) [scalar_t = __hip_bfloat16, THRDS = 64, YTILE = 16, WvPrGrp = 4, A_CHUNK = 8, UNRL = 1, N = 128, GrpsShrB = 4, CHUNKK = 2, DTRMNSTC = 1]"
	.size	__PRETTY_FUNCTION__._Z11wvSplitKrc_I14__hip_bfloat16Li64ELi16ELi4ELi8ELi1ELi128ELi4ELi2ELi1EEviiiiiiPKT_S3_S3_PfPiPS1_i, 333

	.type	__PRETTY_FUNCTION__._Z11wvSplitKrc_I14__hip_bfloat16Li64ELi16ELi4ELi8ELi1ELi128ELi4ELi2ELi0EEviiiiiiPKT_S3_S3_PfPiPS1_i,@object ; @__PRETTY_FUNCTION__._Z11wvSplitKrc_I14__hip_bfloat16Li64ELi16ELi4ELi8ELi1ELi128ELi4ELi2ELi0EEviiiiiiPKT_S3_S3_PfPiPS1_i
__PRETTY_FUNCTION__._Z11wvSplitKrc_I14__hip_bfloat16Li64ELi16ELi4ELi8ELi1ELi128ELi4ELi2ELi0EEviiiiiiPKT_S3_S3_PfPiPS1_i:
	.asciz	"void wvSplitKrc_(const int, const int, const int, const int, const int, const int, const scalar_t *, const scalar_t *__restrict, const scalar_t *__restrict, float *, int *, scalar_t *, const int) [scalar_t = __hip_bfloat16, THRDS = 64, YTILE = 16, WvPrGrp = 4, A_CHUNK = 8, UNRL = 1, N = 128, GrpsShrB = 4, CHUNKK = 2, DTRMNSTC = 0]"
	.size	__PRETTY_FUNCTION__._Z11wvSplitKrc_I14__hip_bfloat16Li64ELi16ELi4ELi8ELi1ELi128ELi4ELi2ELi0EEviiiiiiPKT_S3_S3_PfPiPS1_i, 333

	.type	__PRETTY_FUNCTION__._Z11wvSplitKrc_I14__hip_bfloat16Li64ELi16ELi4ELi8ELi1ELi128ELi4ELi1ELi1EEviiiiiiPKT_S3_S3_PfPiPS1_i,@object ; @__PRETTY_FUNCTION__._Z11wvSplitKrc_I14__hip_bfloat16Li64ELi16ELi4ELi8ELi1ELi128ELi4ELi1ELi1EEviiiiiiPKT_S3_S3_PfPiPS1_i
__PRETTY_FUNCTION__._Z11wvSplitKrc_I14__hip_bfloat16Li64ELi16ELi4ELi8ELi1ELi128ELi4ELi1ELi1EEviiiiiiPKT_S3_S3_PfPiPS1_i:
	.asciz	"void wvSplitKrc_(const int, const int, const int, const int, const int, const int, const scalar_t *, const scalar_t *__restrict, const scalar_t *__restrict, float *, int *, scalar_t *, const int) [scalar_t = __hip_bfloat16, THRDS = 64, YTILE = 16, WvPrGrp = 4, A_CHUNK = 8, UNRL = 1, N = 128, GrpsShrB = 4, CHUNKK = 1, DTRMNSTC = 1]"
	.size	__PRETTY_FUNCTION__._Z11wvSplitKrc_I14__hip_bfloat16Li64ELi16ELi4ELi8ELi1ELi128ELi4ELi1ELi1EEviiiiiiPKT_S3_S3_PfPiPS1_i, 333

	.type	__PRETTY_FUNCTION__._Z11wvSplitKrc_I14__hip_bfloat16Li64ELi16ELi4ELi8ELi1ELi128ELi4ELi1ELi0EEviiiiiiPKT_S3_S3_PfPiPS1_i,@object ; @__PRETTY_FUNCTION__._Z11wvSplitKrc_I14__hip_bfloat16Li64ELi16ELi4ELi8ELi1ELi128ELi4ELi1ELi0EEviiiiiiPKT_S3_S3_PfPiPS1_i
__PRETTY_FUNCTION__._Z11wvSplitKrc_I14__hip_bfloat16Li64ELi16ELi4ELi8ELi1ELi128ELi4ELi1ELi0EEviiiiiiPKT_S3_S3_PfPiPS1_i:
	.asciz	"void wvSplitKrc_(const int, const int, const int, const int, const int, const int, const scalar_t *, const scalar_t *__restrict, const scalar_t *__restrict, float *, int *, scalar_t *, const int) [scalar_t = __hip_bfloat16, THRDS = 64, YTILE = 16, WvPrGrp = 4, A_CHUNK = 8, UNRL = 1, N = 128, GrpsShrB = 4, CHUNKK = 1, DTRMNSTC = 0]"
	.size	__PRETTY_FUNCTION__._Z11wvSplitKrc_I14__hip_bfloat16Li64ELi16ELi4ELi8ELi1ELi128ELi4ELi1ELi0EEviiiiiiPKT_S3_S3_PfPiPS1_i, 333

	.type	__hip_cuid_6adf292547dff23c,@object ; @__hip_cuid_6adf292547dff23c
	.section	.bss,"aw",@nobits
	.globl	__hip_cuid_6adf292547dff23c
__hip_cuid_6adf292547dff23c:
	.byte	0                               ; 0x0
	.size	__hip_cuid_6adf292547dff23c, 1

	.ident	"AMD clang version 19.0.0git (https://github.com/RadeonOpenCompute/llvm-project roc-6.4.0 25133 c7fe45cf4b819c5991fe208aaa96edf142730f1d)"
	.section	".note.GNU-stack","",@progbits
	.addrsig
	.addrsig_sym __hip_cuid_6adf292547dff23c
	.amdgpu_metadata
---
amdhsa.kernels:
  - .agpr_count:     0
    .args:
      - .address_space:  global
        .offset:         0
        .size:           8
        .value_kind:     global_buffer
      - .address_space:  global
        .offset:         8
        .size:           8
        .value_kind:     global_buffer
      - .address_space:  global
        .offset:         16
        .size:           8
        .value_kind:     global_buffer
      - .offset:         24
        .size:           4
        .value_kind:     by_value
      - .offset:         32
        .size:           4
        .value_kind:     hidden_block_count_x
      - .offset:         36
        .size:           4
        .value_kind:     hidden_block_count_y
      - .offset:         40
        .size:           4
        .value_kind:     hidden_block_count_z
      - .offset:         44
        .size:           2
        .value_kind:     hidden_group_size_x
      - .offset:         46
        .size:           2
        .value_kind:     hidden_group_size_y
      - .offset:         48
        .size:           2
        .value_kind:     hidden_group_size_z
      - .offset:         50
        .size:           2
        .value_kind:     hidden_remainder_x
      - .offset:         52
        .size:           2
        .value_kind:     hidden_remainder_y
      - .offset:         54
        .size:           2
        .value_kind:     hidden_remainder_z
      - .offset:         72
        .size:           8
        .value_kind:     hidden_global_offset_x
      - .offset:         80
        .size:           8
        .value_kind:     hidden_global_offset_y
      - .offset:         88
        .size:           8
        .value_kind:     hidden_global_offset_z
      - .offset:         96
        .size:           2
        .value_kind:     hidden_grid_dims
    .group_segment_fixed_size: 512
    .kernarg_segment_align: 8
    .kernarg_segment_size: 288
    .language:       OpenCL C
    .language_version:
      - 2
      - 0
    .max_flat_workgroup_size: 1024
    .name:           _Z14LLGemm1_kernelIN3c104HalfELi2EEvPKT_S4_PS2_i
    .private_segment_fixed_size: 0
    .sgpr_count:     18
    .sgpr_spill_count: 0
    .symbol:         _Z14LLGemm1_kernelIN3c104HalfELi2EEvPKT_S4_PS2_i.kd
    .uniform_work_group_size: 1
    .uses_dynamic_stack: false
    .vgpr_count:     14
    .vgpr_spill_count: 0
    .wavefront_size: 64
  - .agpr_count:     0
    .args:
      - .address_space:  global
        .offset:         0
        .size:           8
        .value_kind:     global_buffer
      - .address_space:  global
        .offset:         8
        .size:           8
        .value_kind:     global_buffer
      - .address_space:  global
        .offset:         16
        .size:           8
        .value_kind:     global_buffer
      - .offset:         24
        .size:           4
        .value_kind:     by_value
      - .offset:         32
        .size:           4
        .value_kind:     hidden_block_count_x
      - .offset:         36
        .size:           4
        .value_kind:     hidden_block_count_y
      - .offset:         40
        .size:           4
        .value_kind:     hidden_block_count_z
      - .offset:         44
        .size:           2
        .value_kind:     hidden_group_size_x
      - .offset:         46
        .size:           2
        .value_kind:     hidden_group_size_y
      - .offset:         48
        .size:           2
        .value_kind:     hidden_group_size_z
      - .offset:         50
        .size:           2
        .value_kind:     hidden_remainder_x
      - .offset:         52
        .size:           2
        .value_kind:     hidden_remainder_y
      - .offset:         54
        .size:           2
        .value_kind:     hidden_remainder_z
      - .offset:         72
        .size:           8
        .value_kind:     hidden_global_offset_x
      - .offset:         80
        .size:           8
        .value_kind:     hidden_global_offset_y
      - .offset:         88
        .size:           8
        .value_kind:     hidden_global_offset_z
      - .offset:         96
        .size:           2
        .value_kind:     hidden_grid_dims
    .group_segment_fixed_size: 1024
    .kernarg_segment_align: 8
    .kernarg_segment_size: 288
    .language:       OpenCL C
    .language_version:
      - 2
      - 0
    .max_flat_workgroup_size: 1024
    .name:           _Z14LLGemm1_kernelIN3c104HalfELi4EEvPKT_S4_PS2_i
    .private_segment_fixed_size: 0
    .sgpr_count:     20
    .sgpr_spill_count: 0
    .symbol:         _Z14LLGemm1_kernelIN3c104HalfELi4EEvPKT_S4_PS2_i.kd
    .uniform_work_group_size: 1
    .uses_dynamic_stack: false
    .vgpr_count:     22
    .vgpr_spill_count: 0
    .wavefront_size: 64
  - .agpr_count:     0
    .args:
      - .address_space:  global
        .offset:         0
        .size:           8
        .value_kind:     global_buffer
      - .address_space:  global
        .offset:         8
        .size:           8
        .value_kind:     global_buffer
      - .address_space:  global
        .offset:         16
        .size:           8
        .value_kind:     global_buffer
      - .offset:         24
        .size:           4
        .value_kind:     by_value
      - .offset:         32
        .size:           4
        .value_kind:     hidden_block_count_x
      - .offset:         36
        .size:           4
        .value_kind:     hidden_block_count_y
      - .offset:         40
        .size:           4
        .value_kind:     hidden_block_count_z
      - .offset:         44
        .size:           2
        .value_kind:     hidden_group_size_x
      - .offset:         46
        .size:           2
        .value_kind:     hidden_group_size_y
      - .offset:         48
        .size:           2
        .value_kind:     hidden_group_size_z
      - .offset:         50
        .size:           2
        .value_kind:     hidden_remainder_x
      - .offset:         52
        .size:           2
        .value_kind:     hidden_remainder_y
      - .offset:         54
        .size:           2
        .value_kind:     hidden_remainder_z
      - .offset:         72
        .size:           8
        .value_kind:     hidden_global_offset_x
      - .offset:         80
        .size:           8
        .value_kind:     hidden_global_offset_y
      - .offset:         88
        .size:           8
        .value_kind:     hidden_global_offset_z
      - .offset:         96
        .size:           2
        .value_kind:     hidden_grid_dims
    .group_segment_fixed_size: 2048
    .kernarg_segment_align: 8
    .kernarg_segment_size: 288
    .language:       OpenCL C
    .language_version:
      - 2
      - 0
    .max_flat_workgroup_size: 1024
    .name:           _Z14LLGemm1_kernelIN3c104HalfELi8EEvPKT_S4_PS2_i
    .private_segment_fixed_size: 0
    .sgpr_count:     20
    .sgpr_spill_count: 0
    .symbol:         _Z14LLGemm1_kernelIN3c104HalfELi8EEvPKT_S4_PS2_i.kd
    .uniform_work_group_size: 1
    .uses_dynamic_stack: false
    .vgpr_count:     38
    .vgpr_spill_count: 0
    .wavefront_size: 64
  - .agpr_count:     0
    .args:
      - .address_space:  global
        .offset:         0
        .size:           8
        .value_kind:     global_buffer
      - .address_space:  global
        .offset:         8
        .size:           8
        .value_kind:     global_buffer
      - .address_space:  global
        .offset:         16
        .size:           8
        .value_kind:     global_buffer
      - .offset:         24
        .size:           4
        .value_kind:     by_value
      - .offset:         32
        .size:           4
        .value_kind:     hidden_block_count_x
      - .offset:         36
        .size:           4
        .value_kind:     hidden_block_count_y
      - .offset:         40
        .size:           4
        .value_kind:     hidden_block_count_z
      - .offset:         44
        .size:           2
        .value_kind:     hidden_group_size_x
      - .offset:         46
        .size:           2
        .value_kind:     hidden_group_size_y
      - .offset:         48
        .size:           2
        .value_kind:     hidden_group_size_z
      - .offset:         50
        .size:           2
        .value_kind:     hidden_remainder_x
      - .offset:         52
        .size:           2
        .value_kind:     hidden_remainder_y
      - .offset:         54
        .size:           2
        .value_kind:     hidden_remainder_z
      - .offset:         72
        .size:           8
        .value_kind:     hidden_global_offset_x
      - .offset:         80
        .size:           8
        .value_kind:     hidden_global_offset_y
      - .offset:         88
        .size:           8
        .value_kind:     hidden_global_offset_z
      - .offset:         96
        .size:           2
        .value_kind:     hidden_grid_dims
    .group_segment_fixed_size: 4096
    .kernarg_segment_align: 8
    .kernarg_segment_size: 288
    .language:       OpenCL C
    .language_version:
      - 2
      - 0
    .max_flat_workgroup_size: 1024
    .name:           _Z14LLGemm1_kernelIN3c104HalfELi16EEvPKT_S4_PS2_i
    .private_segment_fixed_size: 0
    .sgpr_count:     20
    .sgpr_spill_count: 0
    .symbol:         _Z14LLGemm1_kernelIN3c104HalfELi16EEvPKT_S4_PS2_i.kd
    .uniform_work_group_size: 1
    .uses_dynamic_stack: false
    .vgpr_count:     70
    .vgpr_spill_count: 0
    .wavefront_size: 64
  - .agpr_count:     0
    .args:
      - .address_space:  global
        .offset:         0
        .size:           8
        .value_kind:     global_buffer
      - .address_space:  global
        .offset:         8
        .size:           8
        .value_kind:     global_buffer
      - .address_space:  global
        .offset:         16
        .size:           8
        .value_kind:     global_buffer
      - .offset:         24
        .size:           4
        .value_kind:     by_value
      - .offset:         32
        .size:           4
        .value_kind:     hidden_block_count_x
      - .offset:         36
        .size:           4
        .value_kind:     hidden_block_count_y
      - .offset:         40
        .size:           4
        .value_kind:     hidden_block_count_z
      - .offset:         44
        .size:           2
        .value_kind:     hidden_group_size_x
      - .offset:         46
        .size:           2
        .value_kind:     hidden_group_size_y
      - .offset:         48
        .size:           2
        .value_kind:     hidden_group_size_z
      - .offset:         50
        .size:           2
        .value_kind:     hidden_remainder_x
      - .offset:         52
        .size:           2
        .value_kind:     hidden_remainder_y
      - .offset:         54
        .size:           2
        .value_kind:     hidden_remainder_z
      - .offset:         72
        .size:           8
        .value_kind:     hidden_global_offset_x
      - .offset:         80
        .size:           8
        .value_kind:     hidden_global_offset_y
      - .offset:         88
        .size:           8
        .value_kind:     hidden_global_offset_z
      - .offset:         96
        .size:           2
        .value_kind:     hidden_grid_dims
    .group_segment_fixed_size: 512
    .kernarg_segment_align: 8
    .kernarg_segment_size: 288
    .language:       OpenCL C
    .language_version:
      - 2
      - 0
    .max_flat_workgroup_size: 1024
    .name:           _Z14LLGemm1_kernelIN3c108BFloat16ELi2EEvPKT_S4_PS2_i
    .private_segment_fixed_size: 0
    .sgpr_count:     20
    .sgpr_spill_count: 0
    .symbol:         _Z14LLGemm1_kernelIN3c108BFloat16ELi2EEvPKT_S4_PS2_i.kd
    .uniform_work_group_size: 1
    .uses_dynamic_stack: false
    .vgpr_count:     20
    .vgpr_spill_count: 0
    .wavefront_size: 64
  - .agpr_count:     0
    .args:
      - .address_space:  global
        .offset:         0
        .size:           8
        .value_kind:     global_buffer
      - .address_space:  global
        .offset:         8
        .size:           8
        .value_kind:     global_buffer
      - .address_space:  global
        .offset:         16
        .size:           8
        .value_kind:     global_buffer
      - .offset:         24
        .size:           4
        .value_kind:     by_value
      - .offset:         32
        .size:           4
        .value_kind:     hidden_block_count_x
      - .offset:         36
        .size:           4
        .value_kind:     hidden_block_count_y
      - .offset:         40
        .size:           4
        .value_kind:     hidden_block_count_z
      - .offset:         44
        .size:           2
        .value_kind:     hidden_group_size_x
      - .offset:         46
        .size:           2
        .value_kind:     hidden_group_size_y
      - .offset:         48
        .size:           2
        .value_kind:     hidden_group_size_z
      - .offset:         50
        .size:           2
        .value_kind:     hidden_remainder_x
      - .offset:         52
        .size:           2
        .value_kind:     hidden_remainder_y
      - .offset:         54
        .size:           2
        .value_kind:     hidden_remainder_z
      - .offset:         72
        .size:           8
        .value_kind:     hidden_global_offset_x
      - .offset:         80
        .size:           8
        .value_kind:     hidden_global_offset_y
      - .offset:         88
        .size:           8
        .value_kind:     hidden_global_offset_z
      - .offset:         96
        .size:           2
        .value_kind:     hidden_grid_dims
    .group_segment_fixed_size: 1024
    .kernarg_segment_align: 8
    .kernarg_segment_size: 288
    .language:       OpenCL C
    .language_version:
      - 2
      - 0
    .max_flat_workgroup_size: 1024
    .name:           _Z14LLGemm1_kernelIN3c108BFloat16ELi4EEvPKT_S4_PS2_i
    .private_segment_fixed_size: 0
    .sgpr_count:     20
    .sgpr_spill_count: 0
    .symbol:         _Z14LLGemm1_kernelIN3c108BFloat16ELi4EEvPKT_S4_PS2_i.kd
    .uniform_work_group_size: 1
    .uses_dynamic_stack: false
    .vgpr_count:     28
    .vgpr_spill_count: 0
    .wavefront_size: 64
  - .agpr_count:     0
    .args:
      - .address_space:  global
        .offset:         0
        .size:           8
        .value_kind:     global_buffer
      - .address_space:  global
        .offset:         8
        .size:           8
        .value_kind:     global_buffer
      - .address_space:  global
        .offset:         16
        .size:           8
        .value_kind:     global_buffer
      - .offset:         24
        .size:           4
        .value_kind:     by_value
      - .offset:         32
        .size:           4
        .value_kind:     hidden_block_count_x
      - .offset:         36
        .size:           4
        .value_kind:     hidden_block_count_y
      - .offset:         40
        .size:           4
        .value_kind:     hidden_block_count_z
      - .offset:         44
        .size:           2
        .value_kind:     hidden_group_size_x
      - .offset:         46
        .size:           2
        .value_kind:     hidden_group_size_y
      - .offset:         48
        .size:           2
        .value_kind:     hidden_group_size_z
      - .offset:         50
        .size:           2
        .value_kind:     hidden_remainder_x
      - .offset:         52
        .size:           2
        .value_kind:     hidden_remainder_y
      - .offset:         54
        .size:           2
        .value_kind:     hidden_remainder_z
      - .offset:         72
        .size:           8
        .value_kind:     hidden_global_offset_x
      - .offset:         80
        .size:           8
        .value_kind:     hidden_global_offset_y
      - .offset:         88
        .size:           8
        .value_kind:     hidden_global_offset_z
      - .offset:         96
        .size:           2
        .value_kind:     hidden_grid_dims
    .group_segment_fixed_size: 2048
    .kernarg_segment_align: 8
    .kernarg_segment_size: 288
    .language:       OpenCL C
    .language_version:
      - 2
      - 0
    .max_flat_workgroup_size: 1024
    .name:           _Z14LLGemm1_kernelIN3c108BFloat16ELi8EEvPKT_S4_PS2_i
    .private_segment_fixed_size: 0
    .sgpr_count:     20
    .sgpr_spill_count: 0
    .symbol:         _Z14LLGemm1_kernelIN3c108BFloat16ELi8EEvPKT_S4_PS2_i.kd
    .uniform_work_group_size: 1
    .uses_dynamic_stack: false
    .vgpr_count:     44
    .vgpr_spill_count: 0
    .wavefront_size: 64
  - .agpr_count:     0
    .args:
      - .address_space:  global
        .offset:         0
        .size:           8
        .value_kind:     global_buffer
      - .address_space:  global
        .offset:         8
        .size:           8
        .value_kind:     global_buffer
      - .address_space:  global
        .offset:         16
        .size:           8
        .value_kind:     global_buffer
      - .offset:         24
        .size:           4
        .value_kind:     by_value
      - .offset:         32
        .size:           4
        .value_kind:     hidden_block_count_x
      - .offset:         36
        .size:           4
        .value_kind:     hidden_block_count_y
      - .offset:         40
        .size:           4
        .value_kind:     hidden_block_count_z
      - .offset:         44
        .size:           2
        .value_kind:     hidden_group_size_x
      - .offset:         46
        .size:           2
        .value_kind:     hidden_group_size_y
      - .offset:         48
        .size:           2
        .value_kind:     hidden_group_size_z
      - .offset:         50
        .size:           2
        .value_kind:     hidden_remainder_x
      - .offset:         52
        .size:           2
        .value_kind:     hidden_remainder_y
      - .offset:         54
        .size:           2
        .value_kind:     hidden_remainder_z
      - .offset:         72
        .size:           8
        .value_kind:     hidden_global_offset_x
      - .offset:         80
        .size:           8
        .value_kind:     hidden_global_offset_y
      - .offset:         88
        .size:           8
        .value_kind:     hidden_global_offset_z
      - .offset:         96
        .size:           2
        .value_kind:     hidden_grid_dims
    .group_segment_fixed_size: 4096
    .kernarg_segment_align: 8
    .kernarg_segment_size: 288
    .language:       OpenCL C
    .language_version:
      - 2
      - 0
    .max_flat_workgroup_size: 1024
    .name:           _Z14LLGemm1_kernelIN3c108BFloat16ELi16EEvPKT_S4_PS2_i
    .private_segment_fixed_size: 0
    .sgpr_count:     20
    .sgpr_spill_count: 0
    .symbol:         _Z14LLGemm1_kernelIN3c108BFloat16ELi16EEvPKT_S4_PS2_i.kd
    .uniform_work_group_size: 1
    .uses_dynamic_stack: false
    .vgpr_count:     76
    .vgpr_spill_count: 0
    .wavefront_size: 64
  - .agpr_count:     0
    .args:
      - .offset:         0
        .size:           4
        .value_kind:     by_value
      - .offset:         4
        .size:           4
        .value_kind:     by_value
      - .offset:         8
        .size:           4
        .value_kind:     by_value
      - .offset:         12
        .size:           4
        .value_kind:     by_value
      - .offset:         16
        .size:           4
        .value_kind:     by_value
      - .offset:         20
        .size:           4
        .value_kind:     by_value
      - .address_space:  global
        .offset:         24
        .size:           8
        .value_kind:     global_buffer
      - .actual_access:  read_only
        .address_space:  global
        .offset:         32
        .size:           8
        .value_kind:     global_buffer
      - .actual_access:  read_only
        .address_space:  global
        .offset:         40
        .size:           8
        .value_kind:     global_buffer
      - .address_space:  global
        .offset:         48
        .size:           8
        .value_kind:     global_buffer
      - .offset:         56
        .size:           4
        .value_kind:     by_value
      - .offset:         60
        .size:           4
        .value_kind:     by_value
    .group_segment_fixed_size: 65536
    .kernarg_segment_align: 8
    .kernarg_segment_size: 64
    .language:       OpenCL C
    .language_version:
      - 2
      - 0
    .max_flat_workgroup_size: 512
    .name:           _Z16wvSplitK_hf_sml_I6__halfLi32ELi1ELi16ELi8ELi4ELi1EEviiiiiiPKT_S3_S3_PS1_ii
    .private_segment_fixed_size: 0
    .sgpr_count:     36
    .sgpr_spill_count: 0
    .symbol:         _Z16wvSplitK_hf_sml_I6__halfLi32ELi1ELi16ELi8ELi4ELi1EEviiiiiiPKT_S3_S3_PS1_ii.kd
    .uniform_work_group_size: 1
    .uses_dynamic_stack: false
    .vgpr_count:     45
    .vgpr_spill_count: 0
    .wavefront_size: 64
  - .agpr_count:     0
    .args:
      - .offset:         0
        .size:           4
        .value_kind:     by_value
      - .offset:         4
        .size:           4
        .value_kind:     by_value
      - .offset:         8
        .size:           4
        .value_kind:     by_value
      - .offset:         12
        .size:           4
        .value_kind:     by_value
      - .offset:         16
        .size:           4
        .value_kind:     by_value
      - .offset:         20
        .size:           4
        .value_kind:     by_value
      - .address_space:  global
        .offset:         24
        .size:           8
        .value_kind:     global_buffer
      - .actual_access:  read_only
        .address_space:  global
        .offset:         32
        .size:           8
        .value_kind:     global_buffer
      - .actual_access:  read_only
        .address_space:  global
        .offset:         40
        .size:           8
        .value_kind:     global_buffer
      - .address_space:  global
        .offset:         48
        .size:           8
        .value_kind:     global_buffer
      - .offset:         56
        .size:           4
        .value_kind:     by_value
      - .offset:         60
        .size:           4
        .value_kind:     by_value
    .group_segment_fixed_size: 65536
    .kernarg_segment_align: 8
    .kernarg_segment_size: 64
    .language:       OpenCL C
    .language_version:
      - 2
      - 0
    .max_flat_workgroup_size: 512
    .name:           _Z12wvSplitK_hf_I6__halfLi32ELi1ELi16ELi8ELi4ELi1EEviiiiiiPKT_S3_S3_PS1_ii
    .private_segment_fixed_size: 0
    .sgpr_count:     47
    .sgpr_spill_count: 0
    .symbol:         _Z12wvSplitK_hf_I6__halfLi32ELi1ELi16ELi8ELi4ELi1EEviiiiiiPKT_S3_S3_PS1_ii.kd
    .uniform_work_group_size: 1
    .uses_dynamic_stack: false
    .vgpr_count:     51
    .vgpr_spill_count: 0
    .wavefront_size: 64
  - .agpr_count:     0
    .args:
      - .offset:         0
        .size:           4
        .value_kind:     by_value
      - .offset:         4
        .size:           4
        .value_kind:     by_value
      - .offset:         8
        .size:           4
        .value_kind:     by_value
      - .offset:         12
        .size:           4
        .value_kind:     by_value
      - .offset:         16
        .size:           4
        .value_kind:     by_value
      - .offset:         20
        .size:           4
        .value_kind:     by_value
      - .address_space:  global
        .offset:         24
        .size:           8
        .value_kind:     global_buffer
      - .actual_access:  read_only
        .address_space:  global
        .offset:         32
        .size:           8
        .value_kind:     global_buffer
      - .actual_access:  read_only
        .address_space:  global
        .offset:         40
        .size:           8
        .value_kind:     global_buffer
      - .address_space:  global
        .offset:         48
        .size:           8
        .value_kind:     global_buffer
      - .offset:         56
        .size:           4
        .value_kind:     by_value
      - .offset:         60
        .size:           4
        .value_kind:     by_value
    .group_segment_fixed_size: 65536
    .kernarg_segment_align: 8
    .kernarg_segment_size: 64
    .language:       OpenCL C
    .language_version:
      - 2
      - 0
    .max_flat_workgroup_size: 512
    .name:           _Z16wvSplitK_hf_big_I6__halfLi32ELi1ELi16ELi8ELi4ELi1EEviiiiiiPKT_S3_S3_PS1_ii
    .private_segment_fixed_size: 0
    .sgpr_count:     52
    .sgpr_spill_count: 0
    .symbol:         _Z16wvSplitK_hf_big_I6__halfLi32ELi1ELi16ELi8ELi4ELi1EEviiiiiiPKT_S3_S3_PS1_ii.kd
    .uniform_work_group_size: 1
    .uses_dynamic_stack: false
    .vgpr_count:     47
    .vgpr_spill_count: 0
    .wavefront_size: 64
  - .agpr_count:     0
    .args:
      - .offset:         0
        .size:           4
        .value_kind:     by_value
      - .offset:         4
        .size:           4
        .value_kind:     by_value
      - .offset:         8
        .size:           4
        .value_kind:     by_value
      - .offset:         12
        .size:           4
        .value_kind:     by_value
      - .offset:         16
        .size:           4
        .value_kind:     by_value
      - .offset:         20
        .size:           4
        .value_kind:     by_value
      - .address_space:  global
        .offset:         24
        .size:           8
        .value_kind:     global_buffer
      - .actual_access:  read_only
        .address_space:  global
        .offset:         32
        .size:           8
        .value_kind:     global_buffer
      - .actual_access:  read_only
        .address_space:  global
        .offset:         40
        .size:           8
        .value_kind:     global_buffer
      - .address_space:  global
        .offset:         48
        .size:           8
        .value_kind:     global_buffer
      - .offset:         56
        .size:           4
        .value_kind:     by_value
      - .offset:         60
        .size:           4
        .value_kind:     by_value
    .group_segment_fixed_size: 65536
    .kernarg_segment_align: 8
    .kernarg_segment_size: 64
    .language:       OpenCL C
    .language_version:
      - 2
      - 0
    .max_flat_workgroup_size: 512
    .name:           _Z16wvSplitK_hf_sml_I6__halfLi32ELi2ELi16ELi8ELi2ELi1EEviiiiiiPKT_S3_S3_PS1_ii
    .private_segment_fixed_size: 0
    .sgpr_count:     32
    .sgpr_spill_count: 0
    .symbol:         _Z16wvSplitK_hf_sml_I6__halfLi32ELi2ELi16ELi8ELi2ELi1EEviiiiiiPKT_S3_S3_PS1_ii.kd
    .uniform_work_group_size: 1
    .uses_dynamic_stack: false
    .vgpr_count:     39
    .vgpr_spill_count: 0
    .wavefront_size: 64
  - .agpr_count:     0
    .args:
      - .offset:         0
        .size:           4
        .value_kind:     by_value
      - .offset:         4
        .size:           4
        .value_kind:     by_value
      - .offset:         8
        .size:           4
        .value_kind:     by_value
      - .offset:         12
        .size:           4
        .value_kind:     by_value
      - .offset:         16
        .size:           4
        .value_kind:     by_value
      - .offset:         20
        .size:           4
        .value_kind:     by_value
      - .address_space:  global
        .offset:         24
        .size:           8
        .value_kind:     global_buffer
      - .actual_access:  read_only
        .address_space:  global
        .offset:         32
        .size:           8
        .value_kind:     global_buffer
      - .actual_access:  read_only
        .address_space:  global
        .offset:         40
        .size:           8
        .value_kind:     global_buffer
      - .address_space:  global
        .offset:         48
        .size:           8
        .value_kind:     global_buffer
      - .offset:         56
        .size:           4
        .value_kind:     by_value
      - .offset:         60
        .size:           4
        .value_kind:     by_value
    .group_segment_fixed_size: 65536
    .kernarg_segment_align: 8
    .kernarg_segment_size: 64
    .language:       OpenCL C
    .language_version:
      - 2
      - 0
    .max_flat_workgroup_size: 512
    .name:           _Z12wvSplitK_hf_I6__halfLi32ELi2ELi16ELi8ELi2ELi1EEviiiiiiPKT_S3_S3_PS1_ii
    .private_segment_fixed_size: 0
    .sgpr_count:     44
    .sgpr_spill_count: 0
    .symbol:         _Z12wvSplitK_hf_I6__halfLi32ELi2ELi16ELi8ELi2ELi1EEviiiiiiPKT_S3_S3_PS1_ii.kd
    .uniform_work_group_size: 1
    .uses_dynamic_stack: false
    .vgpr_count:     44
    .vgpr_spill_count: 0
    .wavefront_size: 64
  - .agpr_count:     0
    .args:
      - .offset:         0
        .size:           4
        .value_kind:     by_value
      - .offset:         4
        .size:           4
        .value_kind:     by_value
      - .offset:         8
        .size:           4
        .value_kind:     by_value
      - .offset:         12
        .size:           4
        .value_kind:     by_value
      - .offset:         16
        .size:           4
        .value_kind:     by_value
      - .offset:         20
        .size:           4
        .value_kind:     by_value
      - .address_space:  global
        .offset:         24
        .size:           8
        .value_kind:     global_buffer
      - .actual_access:  read_only
        .address_space:  global
        .offset:         32
        .size:           8
        .value_kind:     global_buffer
      - .actual_access:  read_only
        .address_space:  global
        .offset:         40
        .size:           8
        .value_kind:     global_buffer
      - .address_space:  global
        .offset:         48
        .size:           8
        .value_kind:     global_buffer
      - .offset:         56
        .size:           4
        .value_kind:     by_value
      - .offset:         60
        .size:           4
        .value_kind:     by_value
    .group_segment_fixed_size: 65536
    .kernarg_segment_align: 8
    .kernarg_segment_size: 64
    .language:       OpenCL C
    .language_version:
      - 2
      - 0
    .max_flat_workgroup_size: 512
    .name:           _Z16wvSplitK_hf_big_I6__halfLi32ELi2ELi16ELi8ELi2ELi1EEviiiiiiPKT_S3_S3_PS1_ii
    .private_segment_fixed_size: 0
    .sgpr_count:     54
    .sgpr_spill_count: 0
    .symbol:         _Z16wvSplitK_hf_big_I6__halfLi32ELi2ELi16ELi8ELi2ELi1EEviiiiiiPKT_S3_S3_PS1_ii.kd
    .uniform_work_group_size: 1
    .uses_dynamic_stack: false
    .vgpr_count:     41
    .vgpr_spill_count: 0
    .wavefront_size: 64
  - .agpr_count:     0
    .args:
      - .offset:         0
        .size:           4
        .value_kind:     by_value
      - .offset:         4
        .size:           4
        .value_kind:     by_value
      - .offset:         8
        .size:           4
        .value_kind:     by_value
      - .offset:         12
        .size:           4
        .value_kind:     by_value
      - .offset:         16
        .size:           4
        .value_kind:     by_value
      - .offset:         20
        .size:           4
        .value_kind:     by_value
      - .address_space:  global
        .offset:         24
        .size:           8
        .value_kind:     global_buffer
      - .actual_access:  read_only
        .address_space:  global
        .offset:         32
        .size:           8
        .value_kind:     global_buffer
      - .actual_access:  read_only
        .address_space:  global
        .offset:         40
        .size:           8
        .value_kind:     global_buffer
      - .address_space:  global
        .offset:         48
        .size:           8
        .value_kind:     global_buffer
      - .offset:         56
        .size:           4
        .value_kind:     by_value
      - .offset:         60
        .size:           4
        .value_kind:     by_value
    .group_segment_fixed_size: 65536
    .kernarg_segment_align: 8
    .kernarg_segment_size: 64
    .language:       OpenCL C
    .language_version:
      - 2
      - 0
    .max_flat_workgroup_size: 512
    .name:           _Z16wvSplitK_hf_sml_I6__halfLi32ELi3ELi16ELi8ELi2ELi1EEviiiiiiPKT_S3_S3_PS1_ii
    .private_segment_fixed_size: 0
    .sgpr_count:     32
    .sgpr_spill_count: 0
    .symbol:         _Z16wvSplitK_hf_sml_I6__halfLi32ELi3ELi16ELi8ELi2ELi1EEviiiiiiPKT_S3_S3_PS1_ii.kd
    .uniform_work_group_size: 1
    .uses_dynamic_stack: false
    .vgpr_count:     51
    .vgpr_spill_count: 0
    .wavefront_size: 64
  - .agpr_count:     0
    .args:
      - .offset:         0
        .size:           4
        .value_kind:     by_value
      - .offset:         4
        .size:           4
        .value_kind:     by_value
      - .offset:         8
        .size:           4
        .value_kind:     by_value
      - .offset:         12
        .size:           4
        .value_kind:     by_value
      - .offset:         16
        .size:           4
        .value_kind:     by_value
      - .offset:         20
        .size:           4
        .value_kind:     by_value
      - .address_space:  global
        .offset:         24
        .size:           8
        .value_kind:     global_buffer
      - .actual_access:  read_only
        .address_space:  global
        .offset:         32
        .size:           8
        .value_kind:     global_buffer
      - .actual_access:  read_only
        .address_space:  global
        .offset:         40
        .size:           8
        .value_kind:     global_buffer
      - .address_space:  global
        .offset:         48
        .size:           8
        .value_kind:     global_buffer
      - .offset:         56
        .size:           4
        .value_kind:     by_value
      - .offset:         60
        .size:           4
        .value_kind:     by_value
    .group_segment_fixed_size: 65536
    .kernarg_segment_align: 8
    .kernarg_segment_size: 64
    .language:       OpenCL C
    .language_version:
      - 2
      - 0
    .max_flat_workgroup_size: 512
    .name:           _Z12wvSplitK_hf_I6__halfLi32ELi3ELi16ELi8ELi2ELi1EEviiiiiiPKT_S3_S3_PS1_ii
    .private_segment_fixed_size: 0
    .sgpr_count:     44
    .sgpr_spill_count: 0
    .symbol:         _Z12wvSplitK_hf_I6__halfLi32ELi3ELi16ELi8ELi2ELi1EEviiiiiiPKT_S3_S3_PS1_ii.kd
    .uniform_work_group_size: 1
    .uses_dynamic_stack: false
    .vgpr_count:     57
    .vgpr_spill_count: 0
    .wavefront_size: 64
  - .agpr_count:     0
    .args:
      - .offset:         0
        .size:           4
        .value_kind:     by_value
      - .offset:         4
        .size:           4
        .value_kind:     by_value
      - .offset:         8
        .size:           4
        .value_kind:     by_value
      - .offset:         12
        .size:           4
        .value_kind:     by_value
      - .offset:         16
        .size:           4
        .value_kind:     by_value
      - .offset:         20
        .size:           4
        .value_kind:     by_value
      - .address_space:  global
        .offset:         24
        .size:           8
        .value_kind:     global_buffer
      - .actual_access:  read_only
        .address_space:  global
        .offset:         32
        .size:           8
        .value_kind:     global_buffer
      - .actual_access:  read_only
        .address_space:  global
        .offset:         40
        .size:           8
        .value_kind:     global_buffer
      - .address_space:  global
        .offset:         48
        .size:           8
        .value_kind:     global_buffer
      - .offset:         56
        .size:           4
        .value_kind:     by_value
      - .offset:         60
        .size:           4
        .value_kind:     by_value
    .group_segment_fixed_size: 65536
    .kernarg_segment_align: 8
    .kernarg_segment_size: 64
    .language:       OpenCL C
    .language_version:
      - 2
      - 0
    .max_flat_workgroup_size: 512
    .name:           _Z16wvSplitK_hf_big_I6__halfLi32ELi3ELi16ELi8ELi2ELi1EEviiiiiiPKT_S3_S3_PS1_ii
    .private_segment_fixed_size: 0
    .sgpr_count:     54
    .sgpr_spill_count: 0
    .symbol:         _Z16wvSplitK_hf_big_I6__halfLi32ELi3ELi16ELi8ELi2ELi1EEviiiiiiPKT_S3_S3_PS1_ii.kd
    .uniform_work_group_size: 1
    .uses_dynamic_stack: false
    .vgpr_count:     53
    .vgpr_spill_count: 0
    .wavefront_size: 64
  - .agpr_count:     0
    .args:
      - .offset:         0
        .size:           4
        .value_kind:     by_value
      - .offset:         4
        .size:           4
        .value_kind:     by_value
      - .offset:         8
        .size:           4
        .value_kind:     by_value
      - .offset:         12
        .size:           4
        .value_kind:     by_value
      - .offset:         16
        .size:           4
        .value_kind:     by_value
      - .offset:         20
        .size:           4
        .value_kind:     by_value
      - .address_space:  global
        .offset:         24
        .size:           8
        .value_kind:     global_buffer
      - .actual_access:  read_only
        .address_space:  global
        .offset:         32
        .size:           8
        .value_kind:     global_buffer
      - .actual_access:  read_only
        .address_space:  global
        .offset:         40
        .size:           8
        .value_kind:     global_buffer
      - .address_space:  global
        .offset:         48
        .size:           8
        .value_kind:     global_buffer
      - .offset:         56
        .size:           4
        .value_kind:     by_value
      - .offset:         60
        .size:           4
        .value_kind:     by_value
    .group_segment_fixed_size: 65536
    .kernarg_segment_align: 8
    .kernarg_segment_size: 64
    .language:       OpenCL C
    .language_version:
      - 2
      - 0
    .max_flat_workgroup_size: 512
    .name:           _Z16wvSplitK_hf_sml_I6__halfLi32ELi4ELi16ELi8ELi1ELi1EEviiiiiiPKT_S3_S3_PS1_ii
    .private_segment_fixed_size: 0
    .sgpr_count:     31
    .sgpr_spill_count: 0
    .symbol:         _Z16wvSplitK_hf_sml_I6__halfLi32ELi4ELi16ELi8ELi1ELi1EEviiiiiiPKT_S3_S3_PS1_ii.kd
    .uniform_work_group_size: 1
    .uses_dynamic_stack: false
    .vgpr_count:     43
    .vgpr_spill_count: 0
    .wavefront_size: 64
  - .agpr_count:     0
    .args:
      - .offset:         0
        .size:           4
        .value_kind:     by_value
      - .offset:         4
        .size:           4
        .value_kind:     by_value
      - .offset:         8
        .size:           4
        .value_kind:     by_value
      - .offset:         12
        .size:           4
        .value_kind:     by_value
      - .offset:         16
        .size:           4
        .value_kind:     by_value
      - .offset:         20
        .size:           4
        .value_kind:     by_value
      - .address_space:  global
        .offset:         24
        .size:           8
        .value_kind:     global_buffer
      - .actual_access:  read_only
        .address_space:  global
        .offset:         32
        .size:           8
        .value_kind:     global_buffer
      - .actual_access:  read_only
        .address_space:  global
        .offset:         40
        .size:           8
        .value_kind:     global_buffer
      - .address_space:  global
        .offset:         48
        .size:           8
        .value_kind:     global_buffer
      - .offset:         56
        .size:           4
        .value_kind:     by_value
      - .offset:         60
        .size:           4
        .value_kind:     by_value
    .group_segment_fixed_size: 65536
    .kernarg_segment_align: 8
    .kernarg_segment_size: 64
    .language:       OpenCL C
    .language_version:
      - 2
      - 0
    .max_flat_workgroup_size: 512
    .name:           _Z12wvSplitK_hf_I6__halfLi32ELi4ELi16ELi8ELi1ELi1EEviiiiiiPKT_S3_S3_PS1_ii
    .private_segment_fixed_size: 0
    .sgpr_count:     42
    .sgpr_spill_count: 0
    .symbol:         _Z12wvSplitK_hf_I6__halfLi32ELi4ELi16ELi8ELi1ELi1EEviiiiiiPKT_S3_S3_PS1_ii.kd
    .uniform_work_group_size: 1
    .uses_dynamic_stack: false
    .vgpr_count:     48
    .vgpr_spill_count: 0
    .wavefront_size: 64
  - .agpr_count:     0
    .args:
      - .offset:         0
        .size:           4
        .value_kind:     by_value
      - .offset:         4
        .size:           4
        .value_kind:     by_value
      - .offset:         8
        .size:           4
        .value_kind:     by_value
      - .offset:         12
        .size:           4
        .value_kind:     by_value
      - .offset:         16
        .size:           4
        .value_kind:     by_value
      - .offset:         20
        .size:           4
        .value_kind:     by_value
      - .address_space:  global
        .offset:         24
        .size:           8
        .value_kind:     global_buffer
      - .actual_access:  read_only
        .address_space:  global
        .offset:         32
        .size:           8
        .value_kind:     global_buffer
      - .actual_access:  read_only
        .address_space:  global
        .offset:         40
        .size:           8
        .value_kind:     global_buffer
      - .address_space:  global
        .offset:         48
        .size:           8
        .value_kind:     global_buffer
      - .offset:         56
        .size:           4
        .value_kind:     by_value
      - .offset:         60
        .size:           4
        .value_kind:     by_value
    .group_segment_fixed_size: 65536
    .kernarg_segment_align: 8
    .kernarg_segment_size: 64
    .language:       OpenCL C
    .language_version:
      - 2
      - 0
    .max_flat_workgroup_size: 512
    .name:           _Z16wvSplitK_hf_big_I6__halfLi32ELi4ELi16ELi8ELi1ELi1EEviiiiiiPKT_S3_S3_PS1_ii
    .private_segment_fixed_size: 0
    .sgpr_count:     54
    .sgpr_spill_count: 0
    .symbol:         _Z16wvSplitK_hf_big_I6__halfLi32ELi4ELi16ELi8ELi1ELi1EEviiiiiiPKT_S3_S3_PS1_ii.kd
    .uniform_work_group_size: 1
    .uses_dynamic_stack: false
    .vgpr_count:     44
    .vgpr_spill_count: 0
    .wavefront_size: 64
  - .agpr_count:     0
    .args:
      - .offset:         0
        .size:           4
        .value_kind:     by_value
      - .offset:         4
        .size:           4
        .value_kind:     by_value
      - .offset:         8
        .size:           4
        .value_kind:     by_value
      - .offset:         12
        .size:           4
        .value_kind:     by_value
      - .offset:         16
        .size:           4
        .value_kind:     by_value
      - .offset:         20
        .size:           4
        .value_kind:     by_value
      - .address_space:  global
        .offset:         24
        .size:           8
        .value_kind:     global_buffer
      - .actual_access:  read_only
        .address_space:  global
        .offset:         32
        .size:           8
        .value_kind:     global_buffer
      - .actual_access:  read_only
        .address_space:  global
        .offset:         40
        .size:           8
        .value_kind:     global_buffer
      - .address_space:  global
        .offset:         48
        .size:           8
        .value_kind:     global_buffer
      - .offset:         56
        .size:           4
        .value_kind:     by_value
      - .offset:         60
        .size:           4
        .value_kind:     by_value
    .group_segment_fixed_size: 65536
    .kernarg_segment_align: 8
    .kernarg_segment_size: 64
    .language:       OpenCL C
    .language_version:
      - 2
      - 0
    .max_flat_workgroup_size: 512
    .name:           _Z16wvSplitK_hf_sml_I6__halfLi32ELi4ELi16ELi8ELi2ELi1EEviiiiiiPKT_S3_S3_PS1_ii
    .private_segment_fixed_size: 0
    .sgpr_count:     32
    .sgpr_spill_count: 0
    .symbol:         _Z16wvSplitK_hf_sml_I6__halfLi32ELi4ELi16ELi8ELi2ELi1EEviiiiiiPKT_S3_S3_PS1_ii.kd
    .uniform_work_group_size: 1
    .uses_dynamic_stack: false
    .vgpr_count:     63
    .vgpr_spill_count: 0
    .wavefront_size: 64
  - .agpr_count:     0
    .args:
      - .offset:         0
        .size:           4
        .value_kind:     by_value
      - .offset:         4
        .size:           4
        .value_kind:     by_value
      - .offset:         8
        .size:           4
        .value_kind:     by_value
      - .offset:         12
        .size:           4
        .value_kind:     by_value
      - .offset:         16
        .size:           4
        .value_kind:     by_value
      - .offset:         20
        .size:           4
        .value_kind:     by_value
      - .address_space:  global
        .offset:         24
        .size:           8
        .value_kind:     global_buffer
      - .actual_access:  read_only
        .address_space:  global
        .offset:         32
        .size:           8
        .value_kind:     global_buffer
      - .actual_access:  read_only
        .address_space:  global
        .offset:         40
        .size:           8
        .value_kind:     global_buffer
      - .address_space:  global
        .offset:         48
        .size:           8
        .value_kind:     global_buffer
      - .offset:         56
        .size:           4
        .value_kind:     by_value
      - .offset:         60
        .size:           4
        .value_kind:     by_value
    .group_segment_fixed_size: 65536
    .kernarg_segment_align: 8
    .kernarg_segment_size: 64
    .language:       OpenCL C
    .language_version:
      - 2
      - 0
    .max_flat_workgroup_size: 512
    .name:           _Z12wvSplitK_hf_I6__halfLi32ELi4ELi16ELi8ELi2ELi1EEviiiiiiPKT_S3_S3_PS1_ii
    .private_segment_fixed_size: 0
    .sgpr_count:     44
    .sgpr_spill_count: 0
    .symbol:         _Z12wvSplitK_hf_I6__halfLi32ELi4ELi16ELi8ELi2ELi1EEviiiiiiPKT_S3_S3_PS1_ii.kd
    .uniform_work_group_size: 1
    .uses_dynamic_stack: false
    .vgpr_count:     70
    .vgpr_spill_count: 0
    .wavefront_size: 64
  - .agpr_count:     0
    .args:
      - .offset:         0
        .size:           4
        .value_kind:     by_value
      - .offset:         4
        .size:           4
        .value_kind:     by_value
      - .offset:         8
        .size:           4
        .value_kind:     by_value
      - .offset:         12
        .size:           4
        .value_kind:     by_value
      - .offset:         16
        .size:           4
        .value_kind:     by_value
      - .offset:         20
        .size:           4
        .value_kind:     by_value
      - .address_space:  global
        .offset:         24
        .size:           8
        .value_kind:     global_buffer
      - .actual_access:  read_only
        .address_space:  global
        .offset:         32
        .size:           8
        .value_kind:     global_buffer
      - .actual_access:  read_only
        .address_space:  global
        .offset:         40
        .size:           8
        .value_kind:     global_buffer
      - .address_space:  global
        .offset:         48
        .size:           8
        .value_kind:     global_buffer
      - .offset:         56
        .size:           4
        .value_kind:     by_value
      - .offset:         60
        .size:           4
        .value_kind:     by_value
    .group_segment_fixed_size: 65536
    .kernarg_segment_align: 8
    .kernarg_segment_size: 64
    .language:       OpenCL C
    .language_version:
      - 2
      - 0
    .max_flat_workgroup_size: 512
    .name:           _Z16wvSplitK_hf_big_I6__halfLi32ELi4ELi16ELi8ELi2ELi1EEviiiiiiPKT_S3_S3_PS1_ii
    .private_segment_fixed_size: 0
    .sgpr_count:     54
    .sgpr_spill_count: 0
    .symbol:         _Z16wvSplitK_hf_big_I6__halfLi32ELi4ELi16ELi8ELi2ELi1EEviiiiiiPKT_S3_S3_PS1_ii.kd
    .uniform_work_group_size: 1
    .uses_dynamic_stack: false
    .vgpr_count:     65
    .vgpr_spill_count: 0
    .wavefront_size: 64
  - .agpr_count:     0
    .args:
      - .offset:         0
        .size:           4
        .value_kind:     by_value
      - .offset:         4
        .size:           4
        .value_kind:     by_value
      - .offset:         8
        .size:           4
        .value_kind:     by_value
      - .offset:         12
        .size:           4
        .value_kind:     by_value
      - .offset:         16
        .size:           4
        .value_kind:     by_value
      - .offset:         20
        .size:           4
        .value_kind:     by_value
      - .address_space:  global
        .offset:         24
        .size:           8
        .value_kind:     global_buffer
      - .actual_access:  read_only
        .address_space:  global
        .offset:         32
        .size:           8
        .value_kind:     global_buffer
      - .actual_access:  read_only
        .address_space:  global
        .offset:         40
        .size:           8
        .value_kind:     global_buffer
      - .address_space:  global
        .offset:         48
        .size:           8
        .value_kind:     global_buffer
      - .offset:         56
        .size:           4
        .value_kind:     by_value
      - .offset:         60
        .size:           4
        .value_kind:     by_value
    .group_segment_fixed_size: 65536
    .kernarg_segment_align: 8
    .kernarg_segment_size: 64
    .language:       OpenCL C
    .language_version:
      - 2
      - 0
    .max_flat_workgroup_size: 1024
    .name:           _Z16wvSplitK_hf_sml_I6__halfLi64ELi1ELi16ELi8ELi4ELi1EEviiiiiiPKT_S3_S3_PS1_ii
    .private_segment_fixed_size: 0
    .sgpr_count:     36
    .sgpr_spill_count: 0
    .symbol:         _Z16wvSplitK_hf_sml_I6__halfLi64ELi1ELi16ELi8ELi4ELi1EEviiiiiiPKT_S3_S3_PS1_ii.kd
    .uniform_work_group_size: 1
    .uses_dynamic_stack: false
    .vgpr_count:     45
    .vgpr_spill_count: 0
    .wavefront_size: 64
  - .agpr_count:     0
    .args:
      - .offset:         0
        .size:           4
        .value_kind:     by_value
      - .offset:         4
        .size:           4
        .value_kind:     by_value
      - .offset:         8
        .size:           4
        .value_kind:     by_value
      - .offset:         12
        .size:           4
        .value_kind:     by_value
      - .offset:         16
        .size:           4
        .value_kind:     by_value
      - .offset:         20
        .size:           4
        .value_kind:     by_value
      - .address_space:  global
        .offset:         24
        .size:           8
        .value_kind:     global_buffer
      - .actual_access:  read_only
        .address_space:  global
        .offset:         32
        .size:           8
        .value_kind:     global_buffer
      - .actual_access:  read_only
        .address_space:  global
        .offset:         40
        .size:           8
        .value_kind:     global_buffer
      - .address_space:  global
        .offset:         48
        .size:           8
        .value_kind:     global_buffer
      - .offset:         56
        .size:           4
        .value_kind:     by_value
      - .offset:         60
        .size:           4
        .value_kind:     by_value
    .group_segment_fixed_size: 65536
    .kernarg_segment_align: 8
    .kernarg_segment_size: 64
    .language:       OpenCL C
    .language_version:
      - 2
      - 0
    .max_flat_workgroup_size: 1024
    .name:           _Z12wvSplitK_hf_I6__halfLi64ELi1ELi16ELi8ELi4ELi1EEviiiiiiPKT_S3_S3_PS1_ii
    .private_segment_fixed_size: 0
    .sgpr_count:     47
    .sgpr_spill_count: 0
    .symbol:         _Z12wvSplitK_hf_I6__halfLi64ELi1ELi16ELi8ELi4ELi1EEviiiiiiPKT_S3_S3_PS1_ii.kd
    .uniform_work_group_size: 1
    .uses_dynamic_stack: false
    .vgpr_count:     51
    .vgpr_spill_count: 0
    .wavefront_size: 64
  - .agpr_count:     0
    .args:
      - .offset:         0
        .size:           4
        .value_kind:     by_value
      - .offset:         4
        .size:           4
        .value_kind:     by_value
      - .offset:         8
        .size:           4
        .value_kind:     by_value
      - .offset:         12
        .size:           4
        .value_kind:     by_value
      - .offset:         16
        .size:           4
        .value_kind:     by_value
      - .offset:         20
        .size:           4
        .value_kind:     by_value
      - .address_space:  global
        .offset:         24
        .size:           8
        .value_kind:     global_buffer
      - .actual_access:  read_only
        .address_space:  global
        .offset:         32
        .size:           8
        .value_kind:     global_buffer
      - .actual_access:  read_only
        .address_space:  global
        .offset:         40
        .size:           8
        .value_kind:     global_buffer
      - .address_space:  global
        .offset:         48
        .size:           8
        .value_kind:     global_buffer
      - .offset:         56
        .size:           4
        .value_kind:     by_value
      - .offset:         60
        .size:           4
        .value_kind:     by_value
    .group_segment_fixed_size: 65536
    .kernarg_segment_align: 8
    .kernarg_segment_size: 64
    .language:       OpenCL C
    .language_version:
      - 2
      - 0
    .max_flat_workgroup_size: 1024
    .name:           _Z16wvSplitK_hf_big_I6__halfLi64ELi1ELi16ELi8ELi4ELi1EEviiiiiiPKT_S3_S3_PS1_ii
    .private_segment_fixed_size: 0
    .sgpr_count:     52
    .sgpr_spill_count: 0
    .symbol:         _Z16wvSplitK_hf_big_I6__halfLi64ELi1ELi16ELi8ELi4ELi1EEviiiiiiPKT_S3_S3_PS1_ii.kd
    .uniform_work_group_size: 1
    .uses_dynamic_stack: false
    .vgpr_count:     47
    .vgpr_spill_count: 0
    .wavefront_size: 64
  - .agpr_count:     0
    .args:
      - .offset:         0
        .size:           4
        .value_kind:     by_value
      - .offset:         4
        .size:           4
        .value_kind:     by_value
      - .offset:         8
        .size:           4
        .value_kind:     by_value
      - .offset:         12
        .size:           4
        .value_kind:     by_value
      - .offset:         16
        .size:           4
        .value_kind:     by_value
      - .offset:         20
        .size:           4
        .value_kind:     by_value
      - .address_space:  global
        .offset:         24
        .size:           8
        .value_kind:     global_buffer
      - .actual_access:  read_only
        .address_space:  global
        .offset:         32
        .size:           8
        .value_kind:     global_buffer
      - .actual_access:  read_only
        .address_space:  global
        .offset:         40
        .size:           8
        .value_kind:     global_buffer
      - .address_space:  global
        .offset:         48
        .size:           8
        .value_kind:     global_buffer
      - .offset:         56
        .size:           4
        .value_kind:     by_value
      - .offset:         60
        .size:           4
        .value_kind:     by_value
    .group_segment_fixed_size: 65536
    .kernarg_segment_align: 8
    .kernarg_segment_size: 64
    .language:       OpenCL C
    .language_version:
      - 2
      - 0
    .max_flat_workgroup_size: 1024
    .name:           _Z16wvSplitK_hf_sml_I6__halfLi64ELi2ELi16ELi8ELi2ELi1EEviiiiiiPKT_S3_S3_PS1_ii
    .private_segment_fixed_size: 0
    .sgpr_count:     32
    .sgpr_spill_count: 0
    .symbol:         _Z16wvSplitK_hf_sml_I6__halfLi64ELi2ELi16ELi8ELi2ELi1EEviiiiiiPKT_S3_S3_PS1_ii.kd
    .uniform_work_group_size: 1
    .uses_dynamic_stack: false
    .vgpr_count:     39
    .vgpr_spill_count: 0
    .wavefront_size: 64
  - .agpr_count:     0
    .args:
      - .offset:         0
        .size:           4
        .value_kind:     by_value
      - .offset:         4
        .size:           4
        .value_kind:     by_value
      - .offset:         8
        .size:           4
        .value_kind:     by_value
      - .offset:         12
        .size:           4
        .value_kind:     by_value
      - .offset:         16
        .size:           4
        .value_kind:     by_value
      - .offset:         20
        .size:           4
        .value_kind:     by_value
      - .address_space:  global
        .offset:         24
        .size:           8
        .value_kind:     global_buffer
      - .actual_access:  read_only
        .address_space:  global
        .offset:         32
        .size:           8
        .value_kind:     global_buffer
      - .actual_access:  read_only
        .address_space:  global
        .offset:         40
        .size:           8
        .value_kind:     global_buffer
      - .address_space:  global
        .offset:         48
        .size:           8
        .value_kind:     global_buffer
      - .offset:         56
        .size:           4
        .value_kind:     by_value
      - .offset:         60
        .size:           4
        .value_kind:     by_value
    .group_segment_fixed_size: 65536
    .kernarg_segment_align: 8
    .kernarg_segment_size: 64
    .language:       OpenCL C
    .language_version:
      - 2
      - 0
    .max_flat_workgroup_size: 1024
    .name:           _Z12wvSplitK_hf_I6__halfLi64ELi2ELi16ELi8ELi2ELi1EEviiiiiiPKT_S3_S3_PS1_ii
    .private_segment_fixed_size: 0
    .sgpr_count:     44
    .sgpr_spill_count: 0
    .symbol:         _Z12wvSplitK_hf_I6__halfLi64ELi2ELi16ELi8ELi2ELi1EEviiiiiiPKT_S3_S3_PS1_ii.kd
    .uniform_work_group_size: 1
    .uses_dynamic_stack: false
    .vgpr_count:     44
    .vgpr_spill_count: 0
    .wavefront_size: 64
  - .agpr_count:     0
    .args:
      - .offset:         0
        .size:           4
        .value_kind:     by_value
      - .offset:         4
        .size:           4
        .value_kind:     by_value
      - .offset:         8
        .size:           4
        .value_kind:     by_value
      - .offset:         12
        .size:           4
        .value_kind:     by_value
      - .offset:         16
        .size:           4
        .value_kind:     by_value
      - .offset:         20
        .size:           4
        .value_kind:     by_value
      - .address_space:  global
        .offset:         24
        .size:           8
        .value_kind:     global_buffer
      - .actual_access:  read_only
        .address_space:  global
        .offset:         32
        .size:           8
        .value_kind:     global_buffer
      - .actual_access:  read_only
        .address_space:  global
        .offset:         40
        .size:           8
        .value_kind:     global_buffer
      - .address_space:  global
        .offset:         48
        .size:           8
        .value_kind:     global_buffer
      - .offset:         56
        .size:           4
        .value_kind:     by_value
      - .offset:         60
        .size:           4
        .value_kind:     by_value
    .group_segment_fixed_size: 65536
    .kernarg_segment_align: 8
    .kernarg_segment_size: 64
    .language:       OpenCL C
    .language_version:
      - 2
      - 0
    .max_flat_workgroup_size: 1024
    .name:           _Z16wvSplitK_hf_big_I6__halfLi64ELi2ELi16ELi8ELi2ELi1EEviiiiiiPKT_S3_S3_PS1_ii
    .private_segment_fixed_size: 0
    .sgpr_count:     54
    .sgpr_spill_count: 0
    .symbol:         _Z16wvSplitK_hf_big_I6__halfLi64ELi2ELi16ELi8ELi2ELi1EEviiiiiiPKT_S3_S3_PS1_ii.kd
    .uniform_work_group_size: 1
    .uses_dynamic_stack: false
    .vgpr_count:     41
    .vgpr_spill_count: 0
    .wavefront_size: 64
  - .agpr_count:     0
    .args:
      - .offset:         0
        .size:           4
        .value_kind:     by_value
      - .offset:         4
        .size:           4
        .value_kind:     by_value
      - .offset:         8
        .size:           4
        .value_kind:     by_value
      - .offset:         12
        .size:           4
        .value_kind:     by_value
      - .offset:         16
        .size:           4
        .value_kind:     by_value
      - .offset:         20
        .size:           4
        .value_kind:     by_value
      - .address_space:  global
        .offset:         24
        .size:           8
        .value_kind:     global_buffer
      - .actual_access:  read_only
        .address_space:  global
        .offset:         32
        .size:           8
        .value_kind:     global_buffer
      - .actual_access:  read_only
        .address_space:  global
        .offset:         40
        .size:           8
        .value_kind:     global_buffer
      - .address_space:  global
        .offset:         48
        .size:           8
        .value_kind:     global_buffer
      - .offset:         56
        .size:           4
        .value_kind:     by_value
      - .offset:         60
        .size:           4
        .value_kind:     by_value
    .group_segment_fixed_size: 65536
    .kernarg_segment_align: 8
    .kernarg_segment_size: 64
    .language:       OpenCL C
    .language_version:
      - 2
      - 0
    .max_flat_workgroup_size: 1024
    .name:           _Z16wvSplitK_hf_sml_I6__halfLi64ELi3ELi16ELi8ELi2ELi1EEviiiiiiPKT_S3_S3_PS1_ii
    .private_segment_fixed_size: 0
    .sgpr_count:     32
    .sgpr_spill_count: 0
    .symbol:         _Z16wvSplitK_hf_sml_I6__halfLi64ELi3ELi16ELi8ELi2ELi1EEviiiiiiPKT_S3_S3_PS1_ii.kd
    .uniform_work_group_size: 1
    .uses_dynamic_stack: false
    .vgpr_count:     51
    .vgpr_spill_count: 0
    .wavefront_size: 64
  - .agpr_count:     0
    .args:
      - .offset:         0
        .size:           4
        .value_kind:     by_value
      - .offset:         4
        .size:           4
        .value_kind:     by_value
      - .offset:         8
        .size:           4
        .value_kind:     by_value
      - .offset:         12
        .size:           4
        .value_kind:     by_value
      - .offset:         16
        .size:           4
        .value_kind:     by_value
      - .offset:         20
        .size:           4
        .value_kind:     by_value
      - .address_space:  global
        .offset:         24
        .size:           8
        .value_kind:     global_buffer
      - .actual_access:  read_only
        .address_space:  global
        .offset:         32
        .size:           8
        .value_kind:     global_buffer
      - .actual_access:  read_only
        .address_space:  global
        .offset:         40
        .size:           8
        .value_kind:     global_buffer
      - .address_space:  global
        .offset:         48
        .size:           8
        .value_kind:     global_buffer
      - .offset:         56
        .size:           4
        .value_kind:     by_value
      - .offset:         60
        .size:           4
        .value_kind:     by_value
    .group_segment_fixed_size: 65536
    .kernarg_segment_align: 8
    .kernarg_segment_size: 64
    .language:       OpenCL C
    .language_version:
      - 2
      - 0
    .max_flat_workgroup_size: 1024
    .name:           _Z12wvSplitK_hf_I6__halfLi64ELi3ELi16ELi8ELi2ELi1EEviiiiiiPKT_S3_S3_PS1_ii
    .private_segment_fixed_size: 0
    .sgpr_count:     44
    .sgpr_spill_count: 0
    .symbol:         _Z12wvSplitK_hf_I6__halfLi64ELi3ELi16ELi8ELi2ELi1EEviiiiiiPKT_S3_S3_PS1_ii.kd
    .uniform_work_group_size: 1
    .uses_dynamic_stack: false
    .vgpr_count:     57
    .vgpr_spill_count: 0
    .wavefront_size: 64
  - .agpr_count:     0
    .args:
      - .offset:         0
        .size:           4
        .value_kind:     by_value
      - .offset:         4
        .size:           4
        .value_kind:     by_value
      - .offset:         8
        .size:           4
        .value_kind:     by_value
      - .offset:         12
        .size:           4
        .value_kind:     by_value
      - .offset:         16
        .size:           4
        .value_kind:     by_value
      - .offset:         20
        .size:           4
        .value_kind:     by_value
      - .address_space:  global
        .offset:         24
        .size:           8
        .value_kind:     global_buffer
      - .actual_access:  read_only
        .address_space:  global
        .offset:         32
        .size:           8
        .value_kind:     global_buffer
      - .actual_access:  read_only
        .address_space:  global
        .offset:         40
        .size:           8
        .value_kind:     global_buffer
      - .address_space:  global
        .offset:         48
        .size:           8
        .value_kind:     global_buffer
      - .offset:         56
        .size:           4
        .value_kind:     by_value
      - .offset:         60
        .size:           4
        .value_kind:     by_value
    .group_segment_fixed_size: 65536
    .kernarg_segment_align: 8
    .kernarg_segment_size: 64
    .language:       OpenCL C
    .language_version:
      - 2
      - 0
    .max_flat_workgroup_size: 1024
    .name:           _Z16wvSplitK_hf_big_I6__halfLi64ELi3ELi16ELi8ELi2ELi1EEviiiiiiPKT_S3_S3_PS1_ii
    .private_segment_fixed_size: 0
    .sgpr_count:     54
    .sgpr_spill_count: 0
    .symbol:         _Z16wvSplitK_hf_big_I6__halfLi64ELi3ELi16ELi8ELi2ELi1EEviiiiiiPKT_S3_S3_PS1_ii.kd
    .uniform_work_group_size: 1
    .uses_dynamic_stack: false
    .vgpr_count:     53
    .vgpr_spill_count: 0
    .wavefront_size: 64
  - .agpr_count:     0
    .args:
      - .offset:         0
        .size:           4
        .value_kind:     by_value
      - .offset:         4
        .size:           4
        .value_kind:     by_value
      - .offset:         8
        .size:           4
        .value_kind:     by_value
      - .offset:         12
        .size:           4
        .value_kind:     by_value
      - .offset:         16
        .size:           4
        .value_kind:     by_value
      - .offset:         20
        .size:           4
        .value_kind:     by_value
      - .address_space:  global
        .offset:         24
        .size:           8
        .value_kind:     global_buffer
      - .actual_access:  read_only
        .address_space:  global
        .offset:         32
        .size:           8
        .value_kind:     global_buffer
      - .actual_access:  read_only
        .address_space:  global
        .offset:         40
        .size:           8
        .value_kind:     global_buffer
      - .address_space:  global
        .offset:         48
        .size:           8
        .value_kind:     global_buffer
      - .offset:         56
        .size:           4
        .value_kind:     by_value
      - .offset:         60
        .size:           4
        .value_kind:     by_value
    .group_segment_fixed_size: 65536
    .kernarg_segment_align: 8
    .kernarg_segment_size: 64
    .language:       OpenCL C
    .language_version:
      - 2
      - 0
    .max_flat_workgroup_size: 1024
    .name:           _Z16wvSplitK_hf_sml_I6__halfLi64ELi4ELi16ELi8ELi1ELi1EEviiiiiiPKT_S3_S3_PS1_ii
    .private_segment_fixed_size: 0
    .sgpr_count:     31
    .sgpr_spill_count: 0
    .symbol:         _Z16wvSplitK_hf_sml_I6__halfLi64ELi4ELi16ELi8ELi1ELi1EEviiiiiiPKT_S3_S3_PS1_ii.kd
    .uniform_work_group_size: 1
    .uses_dynamic_stack: false
    .vgpr_count:     43
    .vgpr_spill_count: 0
    .wavefront_size: 64
  - .agpr_count:     0
    .args:
      - .offset:         0
        .size:           4
        .value_kind:     by_value
      - .offset:         4
        .size:           4
        .value_kind:     by_value
      - .offset:         8
        .size:           4
        .value_kind:     by_value
      - .offset:         12
        .size:           4
        .value_kind:     by_value
      - .offset:         16
        .size:           4
        .value_kind:     by_value
      - .offset:         20
        .size:           4
        .value_kind:     by_value
      - .address_space:  global
        .offset:         24
        .size:           8
        .value_kind:     global_buffer
      - .actual_access:  read_only
        .address_space:  global
        .offset:         32
        .size:           8
        .value_kind:     global_buffer
      - .actual_access:  read_only
        .address_space:  global
        .offset:         40
        .size:           8
        .value_kind:     global_buffer
      - .address_space:  global
        .offset:         48
        .size:           8
        .value_kind:     global_buffer
      - .offset:         56
        .size:           4
        .value_kind:     by_value
      - .offset:         60
        .size:           4
        .value_kind:     by_value
    .group_segment_fixed_size: 65536
    .kernarg_segment_align: 8
    .kernarg_segment_size: 64
    .language:       OpenCL C
    .language_version:
      - 2
      - 0
    .max_flat_workgroup_size: 1024
    .name:           _Z12wvSplitK_hf_I6__halfLi64ELi4ELi16ELi8ELi1ELi1EEviiiiiiPKT_S3_S3_PS1_ii
    .private_segment_fixed_size: 0
    .sgpr_count:     42
    .sgpr_spill_count: 0
    .symbol:         _Z12wvSplitK_hf_I6__halfLi64ELi4ELi16ELi8ELi1ELi1EEviiiiiiPKT_S3_S3_PS1_ii.kd
    .uniform_work_group_size: 1
    .uses_dynamic_stack: false
    .vgpr_count:     48
    .vgpr_spill_count: 0
    .wavefront_size: 64
  - .agpr_count:     0
    .args:
      - .offset:         0
        .size:           4
        .value_kind:     by_value
      - .offset:         4
        .size:           4
        .value_kind:     by_value
      - .offset:         8
        .size:           4
        .value_kind:     by_value
      - .offset:         12
        .size:           4
        .value_kind:     by_value
      - .offset:         16
        .size:           4
        .value_kind:     by_value
      - .offset:         20
        .size:           4
        .value_kind:     by_value
      - .address_space:  global
        .offset:         24
        .size:           8
        .value_kind:     global_buffer
      - .actual_access:  read_only
        .address_space:  global
        .offset:         32
        .size:           8
        .value_kind:     global_buffer
      - .actual_access:  read_only
        .address_space:  global
        .offset:         40
        .size:           8
        .value_kind:     global_buffer
      - .address_space:  global
        .offset:         48
        .size:           8
        .value_kind:     global_buffer
      - .offset:         56
        .size:           4
        .value_kind:     by_value
      - .offset:         60
        .size:           4
        .value_kind:     by_value
    .group_segment_fixed_size: 65536
    .kernarg_segment_align: 8
    .kernarg_segment_size: 64
    .language:       OpenCL C
    .language_version:
      - 2
      - 0
    .max_flat_workgroup_size: 1024
    .name:           _Z16wvSplitK_hf_big_I6__halfLi64ELi4ELi16ELi8ELi1ELi1EEviiiiiiPKT_S3_S3_PS1_ii
    .private_segment_fixed_size: 0
    .sgpr_count:     54
    .sgpr_spill_count: 0
    .symbol:         _Z16wvSplitK_hf_big_I6__halfLi64ELi4ELi16ELi8ELi1ELi1EEviiiiiiPKT_S3_S3_PS1_ii.kd
    .uniform_work_group_size: 1
    .uses_dynamic_stack: false
    .vgpr_count:     44
    .vgpr_spill_count: 0
    .wavefront_size: 64
  - .agpr_count:     0
    .args:
      - .offset:         0
        .size:           4
        .value_kind:     by_value
      - .offset:         4
        .size:           4
        .value_kind:     by_value
      - .offset:         8
        .size:           4
        .value_kind:     by_value
      - .offset:         12
        .size:           4
        .value_kind:     by_value
      - .offset:         16
        .size:           4
        .value_kind:     by_value
      - .offset:         20
        .size:           4
        .value_kind:     by_value
      - .address_space:  global
        .offset:         24
        .size:           8
        .value_kind:     global_buffer
      - .actual_access:  read_only
        .address_space:  global
        .offset:         32
        .size:           8
        .value_kind:     global_buffer
      - .actual_access:  read_only
        .address_space:  global
        .offset:         40
        .size:           8
        .value_kind:     global_buffer
      - .address_space:  global
        .offset:         48
        .size:           8
        .value_kind:     global_buffer
      - .offset:         56
        .size:           4
        .value_kind:     by_value
      - .offset:         60
        .size:           4
        .value_kind:     by_value
    .group_segment_fixed_size: 65536
    .kernarg_segment_align: 8
    .kernarg_segment_size: 64
    .language:       OpenCL C
    .language_version:
      - 2
      - 0
    .max_flat_workgroup_size: 1024
    .name:           _Z16wvSplitK_hf_sml_I6__halfLi64ELi4ELi16ELi8ELi2ELi1EEviiiiiiPKT_S3_S3_PS1_ii
    .private_segment_fixed_size: 0
    .sgpr_count:     32
    .sgpr_spill_count: 0
    .symbol:         _Z16wvSplitK_hf_sml_I6__halfLi64ELi4ELi16ELi8ELi2ELi1EEviiiiiiPKT_S3_S3_PS1_ii.kd
    .uniform_work_group_size: 1
    .uses_dynamic_stack: false
    .vgpr_count:     63
    .vgpr_spill_count: 0
    .wavefront_size: 64
  - .agpr_count:     0
    .args:
      - .offset:         0
        .size:           4
        .value_kind:     by_value
      - .offset:         4
        .size:           4
        .value_kind:     by_value
      - .offset:         8
        .size:           4
        .value_kind:     by_value
      - .offset:         12
        .size:           4
        .value_kind:     by_value
      - .offset:         16
        .size:           4
        .value_kind:     by_value
      - .offset:         20
        .size:           4
        .value_kind:     by_value
      - .address_space:  global
        .offset:         24
        .size:           8
        .value_kind:     global_buffer
      - .actual_access:  read_only
        .address_space:  global
        .offset:         32
        .size:           8
        .value_kind:     global_buffer
      - .actual_access:  read_only
        .address_space:  global
        .offset:         40
        .size:           8
        .value_kind:     global_buffer
      - .address_space:  global
        .offset:         48
        .size:           8
        .value_kind:     global_buffer
      - .offset:         56
        .size:           4
        .value_kind:     by_value
      - .offset:         60
        .size:           4
        .value_kind:     by_value
    .group_segment_fixed_size: 65536
    .kernarg_segment_align: 8
    .kernarg_segment_size: 64
    .language:       OpenCL C
    .language_version:
      - 2
      - 0
    .max_flat_workgroup_size: 1024
    .name:           _Z12wvSplitK_hf_I6__halfLi64ELi4ELi16ELi8ELi2ELi1EEviiiiiiPKT_S3_S3_PS1_ii
    .private_segment_fixed_size: 0
    .sgpr_count:     44
    .sgpr_spill_count: 0
    .symbol:         _Z12wvSplitK_hf_I6__halfLi64ELi4ELi16ELi8ELi2ELi1EEviiiiiiPKT_S3_S3_PS1_ii.kd
    .uniform_work_group_size: 1
    .uses_dynamic_stack: false
    .vgpr_count:     70
    .vgpr_spill_count: 0
    .wavefront_size: 64
  - .agpr_count:     0
    .args:
      - .offset:         0
        .size:           4
        .value_kind:     by_value
      - .offset:         4
        .size:           4
        .value_kind:     by_value
      - .offset:         8
        .size:           4
        .value_kind:     by_value
      - .offset:         12
        .size:           4
        .value_kind:     by_value
      - .offset:         16
        .size:           4
        .value_kind:     by_value
      - .offset:         20
        .size:           4
        .value_kind:     by_value
      - .address_space:  global
        .offset:         24
        .size:           8
        .value_kind:     global_buffer
      - .actual_access:  read_only
        .address_space:  global
        .offset:         32
        .size:           8
        .value_kind:     global_buffer
      - .actual_access:  read_only
        .address_space:  global
        .offset:         40
        .size:           8
        .value_kind:     global_buffer
      - .address_space:  global
        .offset:         48
        .size:           8
        .value_kind:     global_buffer
      - .offset:         56
        .size:           4
        .value_kind:     by_value
      - .offset:         60
        .size:           4
        .value_kind:     by_value
    .group_segment_fixed_size: 65536
    .kernarg_segment_align: 8
    .kernarg_segment_size: 64
    .language:       OpenCL C
    .language_version:
      - 2
      - 0
    .max_flat_workgroup_size: 1024
    .name:           _Z16wvSplitK_hf_big_I6__halfLi64ELi4ELi16ELi8ELi2ELi1EEviiiiiiPKT_S3_S3_PS1_ii
    .private_segment_fixed_size: 0
    .sgpr_count:     54
    .sgpr_spill_count: 0
    .symbol:         _Z16wvSplitK_hf_big_I6__halfLi64ELi4ELi16ELi8ELi2ELi1EEviiiiiiPKT_S3_S3_PS1_ii.kd
    .uniform_work_group_size: 1
    .uses_dynamic_stack: false
    .vgpr_count:     65
    .vgpr_spill_count: 0
    .wavefront_size: 64
  - .agpr_count:     0
    .args:
      - .offset:         0
        .size:           4
        .value_kind:     by_value
      - .offset:         4
        .size:           4
        .value_kind:     by_value
      - .offset:         8
        .size:           4
        .value_kind:     by_value
      - .offset:         12
        .size:           4
        .value_kind:     by_value
      - .offset:         16
        .size:           4
        .value_kind:     by_value
      - .offset:         20
        .size:           4
        .value_kind:     by_value
      - .address_space:  global
        .offset:         24
        .size:           8
        .value_kind:     global_buffer
      - .actual_access:  read_only
        .address_space:  global
        .offset:         32
        .size:           8
        .value_kind:     global_buffer
      - .actual_access:  read_only
        .address_space:  global
        .offset:         40
        .size:           8
        .value_kind:     global_buffer
      - .address_space:  global
        .offset:         48
        .size:           8
        .value_kind:     global_buffer
      - .offset:         56
        .size:           4
        .value_kind:     by_value
      - .offset:         60
        .size:           4
        .value_kind:     by_value
    .group_segment_fixed_size: 65536
    .kernarg_segment_align: 8
    .kernarg_segment_size: 64
    .language:       OpenCL C
    .language_version:
      - 2
      - 0
    .max_flat_workgroup_size: 512
    .name:           _Z16wvSplitK_hf_sml_I6__halfLi32ELi1ELi16ELi8ELi4ELi2EEviiiiiiPKT_S3_S3_PS1_ii
    .private_segment_fixed_size: 0
    .sgpr_count:     38
    .sgpr_spill_count: 0
    .symbol:         _Z16wvSplitK_hf_sml_I6__halfLi32ELi1ELi16ELi8ELi4ELi2EEviiiiiiPKT_S3_S3_PS1_ii.kd
    .uniform_work_group_size: 1
    .uses_dynamic_stack: false
    .vgpr_count:     62
    .vgpr_spill_count: 0
    .wavefront_size: 64
  - .agpr_count:     0
    .args:
      - .offset:         0
        .size:           4
        .value_kind:     by_value
      - .offset:         4
        .size:           4
        .value_kind:     by_value
      - .offset:         8
        .size:           4
        .value_kind:     by_value
      - .offset:         12
        .size:           4
        .value_kind:     by_value
      - .offset:         16
        .size:           4
        .value_kind:     by_value
      - .offset:         20
        .size:           4
        .value_kind:     by_value
      - .address_space:  global
        .offset:         24
        .size:           8
        .value_kind:     global_buffer
      - .actual_access:  read_only
        .address_space:  global
        .offset:         32
        .size:           8
        .value_kind:     global_buffer
      - .actual_access:  read_only
        .address_space:  global
        .offset:         40
        .size:           8
        .value_kind:     global_buffer
      - .address_space:  global
        .offset:         48
        .size:           8
        .value_kind:     global_buffer
      - .offset:         56
        .size:           4
        .value_kind:     by_value
      - .offset:         60
        .size:           4
        .value_kind:     by_value
    .group_segment_fixed_size: 65536
    .kernarg_segment_align: 8
    .kernarg_segment_size: 64
    .language:       OpenCL C
    .language_version:
      - 2
      - 0
    .max_flat_workgroup_size: 512
    .name:           _Z12wvSplitK_hf_I6__halfLi32ELi1ELi16ELi8ELi4ELi2EEviiiiiiPKT_S3_S3_PS1_ii
    .private_segment_fixed_size: 0
    .sgpr_count:     47
    .sgpr_spill_count: 0
    .symbol:         _Z12wvSplitK_hf_I6__halfLi32ELi1ELi16ELi8ELi4ELi2EEviiiiiiPKT_S3_S3_PS1_ii.kd
    .uniform_work_group_size: 1
    .uses_dynamic_stack: false
    .vgpr_count:     69
    .vgpr_spill_count: 0
    .wavefront_size: 64
  - .agpr_count:     0
    .args:
      - .offset:         0
        .size:           4
        .value_kind:     by_value
      - .offset:         4
        .size:           4
        .value_kind:     by_value
      - .offset:         8
        .size:           4
        .value_kind:     by_value
      - .offset:         12
        .size:           4
        .value_kind:     by_value
      - .offset:         16
        .size:           4
        .value_kind:     by_value
      - .offset:         20
        .size:           4
        .value_kind:     by_value
      - .address_space:  global
        .offset:         24
        .size:           8
        .value_kind:     global_buffer
      - .actual_access:  read_only
        .address_space:  global
        .offset:         32
        .size:           8
        .value_kind:     global_buffer
      - .actual_access:  read_only
        .address_space:  global
        .offset:         40
        .size:           8
        .value_kind:     global_buffer
      - .address_space:  global
        .offset:         48
        .size:           8
        .value_kind:     global_buffer
      - .offset:         56
        .size:           4
        .value_kind:     by_value
      - .offset:         60
        .size:           4
        .value_kind:     by_value
    .group_segment_fixed_size: 65536
    .kernarg_segment_align: 8
    .kernarg_segment_size: 64
    .language:       OpenCL C
    .language_version:
      - 2
      - 0
    .max_flat_workgroup_size: 512
    .name:           _Z16wvSplitK_hf_big_I6__halfLi32ELi1ELi16ELi8ELi4ELi2EEviiiiiiPKT_S3_S3_PS1_ii
    .private_segment_fixed_size: 0
    .sgpr_count:     54
    .sgpr_spill_count: 0
    .symbol:         _Z16wvSplitK_hf_big_I6__halfLi32ELi1ELi16ELi8ELi4ELi2EEviiiiiiPKT_S3_S3_PS1_ii.kd
    .uniform_work_group_size: 1
    .uses_dynamic_stack: false
    .vgpr_count:     65
    .vgpr_spill_count: 0
    .wavefront_size: 64
  - .agpr_count:     0
    .args:
      - .offset:         0
        .size:           4
        .value_kind:     by_value
      - .offset:         4
        .size:           4
        .value_kind:     by_value
      - .offset:         8
        .size:           4
        .value_kind:     by_value
      - .offset:         12
        .size:           4
        .value_kind:     by_value
      - .offset:         16
        .size:           4
        .value_kind:     by_value
      - .offset:         20
        .size:           4
        .value_kind:     by_value
      - .address_space:  global
        .offset:         24
        .size:           8
        .value_kind:     global_buffer
      - .actual_access:  read_only
        .address_space:  global
        .offset:         32
        .size:           8
        .value_kind:     global_buffer
      - .actual_access:  read_only
        .address_space:  global
        .offset:         40
        .size:           8
        .value_kind:     global_buffer
      - .address_space:  global
        .offset:         48
        .size:           8
        .value_kind:     global_buffer
      - .offset:         56
        .size:           4
        .value_kind:     by_value
      - .offset:         60
        .size:           4
        .value_kind:     by_value
    .group_segment_fixed_size: 65536
    .kernarg_segment_align: 8
    .kernarg_segment_size: 64
    .language:       OpenCL C
    .language_version:
      - 2
      - 0
    .max_flat_workgroup_size: 512
    .name:           _Z16wvSplitK_hf_sml_I6__halfLi32ELi2ELi16ELi8ELi2ELi2EEviiiiiiPKT_S3_S3_PS1_ii
    .private_segment_fixed_size: 0
    .sgpr_count:     34
    .sgpr_spill_count: 0
    .symbol:         _Z16wvSplitK_hf_sml_I6__halfLi32ELi2ELi16ELi8ELi2ELi2EEviiiiiiPKT_S3_S3_PS1_ii.kd
    .uniform_work_group_size: 1
    .uses_dynamic_stack: false
    .vgpr_count:     48
    .vgpr_spill_count: 0
    .wavefront_size: 64
  - .agpr_count:     0
    .args:
      - .offset:         0
        .size:           4
        .value_kind:     by_value
      - .offset:         4
        .size:           4
        .value_kind:     by_value
      - .offset:         8
        .size:           4
        .value_kind:     by_value
      - .offset:         12
        .size:           4
        .value_kind:     by_value
      - .offset:         16
        .size:           4
        .value_kind:     by_value
      - .offset:         20
        .size:           4
        .value_kind:     by_value
      - .address_space:  global
        .offset:         24
        .size:           8
        .value_kind:     global_buffer
      - .actual_access:  read_only
        .address_space:  global
        .offset:         32
        .size:           8
        .value_kind:     global_buffer
      - .actual_access:  read_only
        .address_space:  global
        .offset:         40
        .size:           8
        .value_kind:     global_buffer
      - .address_space:  global
        .offset:         48
        .size:           8
        .value_kind:     global_buffer
      - .offset:         56
        .size:           4
        .value_kind:     by_value
      - .offset:         60
        .size:           4
        .value_kind:     by_value
    .group_segment_fixed_size: 65536
    .kernarg_segment_align: 8
    .kernarg_segment_size: 64
    .language:       OpenCL C
    .language_version:
      - 2
      - 0
    .max_flat_workgroup_size: 512
    .name:           _Z12wvSplitK_hf_I6__halfLi32ELi2ELi16ELi8ELi2ELi2EEviiiiiiPKT_S3_S3_PS1_ii
    .private_segment_fixed_size: 0
    .sgpr_count:     46
    .sgpr_spill_count: 0
    .symbol:         _Z12wvSplitK_hf_I6__halfLi32ELi2ELi16ELi8ELi2ELi2EEviiiiiiPKT_S3_S3_PS1_ii.kd
    .uniform_work_group_size: 1
    .uses_dynamic_stack: false
    .vgpr_count:     52
    .vgpr_spill_count: 0
    .wavefront_size: 64
  - .agpr_count:     0
    .args:
      - .offset:         0
        .size:           4
        .value_kind:     by_value
      - .offset:         4
        .size:           4
        .value_kind:     by_value
      - .offset:         8
        .size:           4
        .value_kind:     by_value
      - .offset:         12
        .size:           4
        .value_kind:     by_value
      - .offset:         16
        .size:           4
        .value_kind:     by_value
      - .offset:         20
        .size:           4
        .value_kind:     by_value
      - .address_space:  global
        .offset:         24
        .size:           8
        .value_kind:     global_buffer
      - .actual_access:  read_only
        .address_space:  global
        .offset:         32
        .size:           8
        .value_kind:     global_buffer
      - .actual_access:  read_only
        .address_space:  global
        .offset:         40
        .size:           8
        .value_kind:     global_buffer
      - .address_space:  global
        .offset:         48
        .size:           8
        .value_kind:     global_buffer
      - .offset:         56
        .size:           4
        .value_kind:     by_value
      - .offset:         60
        .size:           4
        .value_kind:     by_value
    .group_segment_fixed_size: 65536
    .kernarg_segment_align: 8
    .kernarg_segment_size: 64
    .language:       OpenCL C
    .language_version:
      - 2
      - 0
    .max_flat_workgroup_size: 512
    .name:           _Z16wvSplitK_hf_big_I6__halfLi32ELi2ELi16ELi8ELi2ELi2EEviiiiiiPKT_S3_S3_PS1_ii
    .private_segment_fixed_size: 0
    .sgpr_count:     56
    .sgpr_spill_count: 0
    .symbol:         _Z16wvSplitK_hf_big_I6__halfLi32ELi2ELi16ELi8ELi2ELi2EEviiiiiiPKT_S3_S3_PS1_ii.kd
    .uniform_work_group_size: 1
    .uses_dynamic_stack: false
    .vgpr_count:     52
    .vgpr_spill_count: 0
    .wavefront_size: 64
  - .agpr_count:     0
    .args:
      - .offset:         0
        .size:           4
        .value_kind:     by_value
      - .offset:         4
        .size:           4
        .value_kind:     by_value
      - .offset:         8
        .size:           4
        .value_kind:     by_value
      - .offset:         12
        .size:           4
        .value_kind:     by_value
      - .offset:         16
        .size:           4
        .value_kind:     by_value
      - .offset:         20
        .size:           4
        .value_kind:     by_value
      - .address_space:  global
        .offset:         24
        .size:           8
        .value_kind:     global_buffer
      - .actual_access:  read_only
        .address_space:  global
        .offset:         32
        .size:           8
        .value_kind:     global_buffer
      - .actual_access:  read_only
        .address_space:  global
        .offset:         40
        .size:           8
        .value_kind:     global_buffer
      - .address_space:  global
        .offset:         48
        .size:           8
        .value_kind:     global_buffer
      - .offset:         56
        .size:           4
        .value_kind:     by_value
      - .offset:         60
        .size:           4
        .value_kind:     by_value
    .group_segment_fixed_size: 65536
    .kernarg_segment_align: 8
    .kernarg_segment_size: 64
    .language:       OpenCL C
    .language_version:
      - 2
      - 0
    .max_flat_workgroup_size: 512
    .name:           _Z16wvSplitK_hf_sml_I6__halfLi32ELi3ELi16ELi8ELi2ELi2EEviiiiiiPKT_S3_S3_PS1_ii
    .private_segment_fixed_size: 0
    .sgpr_count:     34
    .sgpr_spill_count: 0
    .symbol:         _Z16wvSplitK_hf_sml_I6__halfLi32ELi3ELi16ELi8ELi2ELi2EEviiiiiiPKT_S3_S3_PS1_ii.kd
    .uniform_work_group_size: 1
    .uses_dynamic_stack: false
    .vgpr_count:     62
    .vgpr_spill_count: 0
    .wavefront_size: 64
  - .agpr_count:     0
    .args:
      - .offset:         0
        .size:           4
        .value_kind:     by_value
      - .offset:         4
        .size:           4
        .value_kind:     by_value
      - .offset:         8
        .size:           4
        .value_kind:     by_value
      - .offset:         12
        .size:           4
        .value_kind:     by_value
      - .offset:         16
        .size:           4
        .value_kind:     by_value
      - .offset:         20
        .size:           4
        .value_kind:     by_value
      - .address_space:  global
        .offset:         24
        .size:           8
        .value_kind:     global_buffer
      - .actual_access:  read_only
        .address_space:  global
        .offset:         32
        .size:           8
        .value_kind:     global_buffer
      - .actual_access:  read_only
        .address_space:  global
        .offset:         40
        .size:           8
        .value_kind:     global_buffer
      - .address_space:  global
        .offset:         48
        .size:           8
        .value_kind:     global_buffer
      - .offset:         56
        .size:           4
        .value_kind:     by_value
      - .offset:         60
        .size:           4
        .value_kind:     by_value
    .group_segment_fixed_size: 65536
    .kernarg_segment_align: 8
    .kernarg_segment_size: 64
    .language:       OpenCL C
    .language_version:
      - 2
      - 0
    .max_flat_workgroup_size: 512
    .name:           _Z12wvSplitK_hf_I6__halfLi32ELi3ELi16ELi8ELi2ELi2EEviiiiiiPKT_S3_S3_PS1_ii
    .private_segment_fixed_size: 0
    .sgpr_count:     46
    .sgpr_spill_count: 0
    .symbol:         _Z12wvSplitK_hf_I6__halfLi32ELi3ELi16ELi8ELi2ELi2EEviiiiiiPKT_S3_S3_PS1_ii.kd
    .uniform_work_group_size: 1
    .uses_dynamic_stack: false
    .vgpr_count:     66
    .vgpr_spill_count: 0
    .wavefront_size: 64
  - .agpr_count:     0
    .args:
      - .offset:         0
        .size:           4
        .value_kind:     by_value
      - .offset:         4
        .size:           4
        .value_kind:     by_value
      - .offset:         8
        .size:           4
        .value_kind:     by_value
      - .offset:         12
        .size:           4
        .value_kind:     by_value
      - .offset:         16
        .size:           4
        .value_kind:     by_value
      - .offset:         20
        .size:           4
        .value_kind:     by_value
      - .address_space:  global
        .offset:         24
        .size:           8
        .value_kind:     global_buffer
      - .actual_access:  read_only
        .address_space:  global
        .offset:         32
        .size:           8
        .value_kind:     global_buffer
      - .actual_access:  read_only
        .address_space:  global
        .offset:         40
        .size:           8
        .value_kind:     global_buffer
      - .address_space:  global
        .offset:         48
        .size:           8
        .value_kind:     global_buffer
      - .offset:         56
        .size:           4
        .value_kind:     by_value
      - .offset:         60
        .size:           4
        .value_kind:     by_value
    .group_segment_fixed_size: 65536
    .kernarg_segment_align: 8
    .kernarg_segment_size: 64
    .language:       OpenCL C
    .language_version:
      - 2
      - 0
    .max_flat_workgroup_size: 512
    .name:           _Z16wvSplitK_hf_big_I6__halfLi32ELi3ELi16ELi8ELi2ELi2EEviiiiiiPKT_S3_S3_PS1_ii
    .private_segment_fixed_size: 0
    .sgpr_count:     56
    .sgpr_spill_count: 0
    .symbol:         _Z16wvSplitK_hf_big_I6__halfLi32ELi3ELi16ELi8ELi2ELi2EEviiiiiiPKT_S3_S3_PS1_ii.kd
    .uniform_work_group_size: 1
    .uses_dynamic_stack: false
    .vgpr_count:     65
    .vgpr_spill_count: 0
    .wavefront_size: 64
  - .agpr_count:     0
    .args:
      - .offset:         0
        .size:           4
        .value_kind:     by_value
      - .offset:         4
        .size:           4
        .value_kind:     by_value
      - .offset:         8
        .size:           4
        .value_kind:     by_value
      - .offset:         12
        .size:           4
        .value_kind:     by_value
      - .offset:         16
        .size:           4
        .value_kind:     by_value
      - .offset:         20
        .size:           4
        .value_kind:     by_value
      - .address_space:  global
        .offset:         24
        .size:           8
        .value_kind:     global_buffer
      - .actual_access:  read_only
        .address_space:  global
        .offset:         32
        .size:           8
        .value_kind:     global_buffer
      - .actual_access:  read_only
        .address_space:  global
        .offset:         40
        .size:           8
        .value_kind:     global_buffer
      - .address_space:  global
        .offset:         48
        .size:           8
        .value_kind:     global_buffer
      - .offset:         56
        .size:           4
        .value_kind:     by_value
      - .offset:         60
        .size:           4
        .value_kind:     by_value
    .group_segment_fixed_size: 65536
    .kernarg_segment_align: 8
    .kernarg_segment_size: 64
    .language:       OpenCL C
    .language_version:
      - 2
      - 0
    .max_flat_workgroup_size: 512
    .name:           _Z16wvSplitK_hf_sml_I6__halfLi32ELi4ELi16ELi8ELi1ELi2EEviiiiiiPKT_S3_S3_PS1_ii
    .private_segment_fixed_size: 0
    .sgpr_count:     33
    .sgpr_spill_count: 0
    .symbol:         _Z16wvSplitK_hf_sml_I6__halfLi32ELi4ELi16ELi8ELi1ELi2EEviiiiiiPKT_S3_S3_PS1_ii.kd
    .uniform_work_group_size: 1
    .uses_dynamic_stack: false
    .vgpr_count:     48
    .vgpr_spill_count: 0
    .wavefront_size: 64
  - .agpr_count:     0
    .args:
      - .offset:         0
        .size:           4
        .value_kind:     by_value
      - .offset:         4
        .size:           4
        .value_kind:     by_value
      - .offset:         8
        .size:           4
        .value_kind:     by_value
      - .offset:         12
        .size:           4
        .value_kind:     by_value
      - .offset:         16
        .size:           4
        .value_kind:     by_value
      - .offset:         20
        .size:           4
        .value_kind:     by_value
      - .address_space:  global
        .offset:         24
        .size:           8
        .value_kind:     global_buffer
      - .actual_access:  read_only
        .address_space:  global
        .offset:         32
        .size:           8
        .value_kind:     global_buffer
      - .actual_access:  read_only
        .address_space:  global
        .offset:         40
        .size:           8
        .value_kind:     global_buffer
      - .address_space:  global
        .offset:         48
        .size:           8
        .value_kind:     global_buffer
      - .offset:         56
        .size:           4
        .value_kind:     by_value
      - .offset:         60
        .size:           4
        .value_kind:     by_value
    .group_segment_fixed_size: 65536
    .kernarg_segment_align: 8
    .kernarg_segment_size: 64
    .language:       OpenCL C
    .language_version:
      - 2
      - 0
    .max_flat_workgroup_size: 512
    .name:           _Z12wvSplitK_hf_I6__halfLi32ELi4ELi16ELi8ELi1ELi2EEviiiiiiPKT_S3_S3_PS1_ii
    .private_segment_fixed_size: 0
    .sgpr_count:     46
    .sgpr_spill_count: 0
    .symbol:         _Z12wvSplitK_hf_I6__halfLi32ELi4ELi16ELi8ELi1ELi2EEviiiiiiPKT_S3_S3_PS1_ii.kd
    .uniform_work_group_size: 1
    .uses_dynamic_stack: false
    .vgpr_count:     58
    .vgpr_spill_count: 0
    .wavefront_size: 64
  - .agpr_count:     0
    .args:
      - .offset:         0
        .size:           4
        .value_kind:     by_value
      - .offset:         4
        .size:           4
        .value_kind:     by_value
      - .offset:         8
        .size:           4
        .value_kind:     by_value
      - .offset:         12
        .size:           4
        .value_kind:     by_value
      - .offset:         16
        .size:           4
        .value_kind:     by_value
      - .offset:         20
        .size:           4
        .value_kind:     by_value
      - .address_space:  global
        .offset:         24
        .size:           8
        .value_kind:     global_buffer
      - .actual_access:  read_only
        .address_space:  global
        .offset:         32
        .size:           8
        .value_kind:     global_buffer
      - .actual_access:  read_only
        .address_space:  global
        .offset:         40
        .size:           8
        .value_kind:     global_buffer
      - .address_space:  global
        .offset:         48
        .size:           8
        .value_kind:     global_buffer
      - .offset:         56
        .size:           4
        .value_kind:     by_value
      - .offset:         60
        .size:           4
        .value_kind:     by_value
    .group_segment_fixed_size: 65536
    .kernarg_segment_align: 8
    .kernarg_segment_size: 64
    .language:       OpenCL C
    .language_version:
      - 2
      - 0
    .max_flat_workgroup_size: 512
    .name:           _Z16wvSplitK_hf_big_I6__halfLi32ELi4ELi16ELi8ELi1ELi2EEviiiiiiPKT_S3_S3_PS1_ii
    .private_segment_fixed_size: 0
    .sgpr_count:     56
    .sgpr_spill_count: 0
    .symbol:         _Z16wvSplitK_hf_big_I6__halfLi32ELi4ELi16ELi8ELi1ELi2EEviiiiiiPKT_S3_S3_PS1_ii.kd
    .uniform_work_group_size: 1
    .uses_dynamic_stack: false
    .vgpr_count:     54
    .vgpr_spill_count: 0
    .wavefront_size: 64
  - .agpr_count:     0
    .args:
      - .offset:         0
        .size:           4
        .value_kind:     by_value
      - .offset:         4
        .size:           4
        .value_kind:     by_value
      - .offset:         8
        .size:           4
        .value_kind:     by_value
      - .offset:         12
        .size:           4
        .value_kind:     by_value
      - .offset:         16
        .size:           4
        .value_kind:     by_value
      - .offset:         20
        .size:           4
        .value_kind:     by_value
      - .address_space:  global
        .offset:         24
        .size:           8
        .value_kind:     global_buffer
      - .actual_access:  read_only
        .address_space:  global
        .offset:         32
        .size:           8
        .value_kind:     global_buffer
      - .actual_access:  read_only
        .address_space:  global
        .offset:         40
        .size:           8
        .value_kind:     global_buffer
      - .address_space:  global
        .offset:         48
        .size:           8
        .value_kind:     global_buffer
      - .offset:         56
        .size:           4
        .value_kind:     by_value
      - .offset:         60
        .size:           4
        .value_kind:     by_value
    .group_segment_fixed_size: 65536
    .kernarg_segment_align: 8
    .kernarg_segment_size: 64
    .language:       OpenCL C
    .language_version:
      - 2
      - 0
    .max_flat_workgroup_size: 512
    .name:           _Z16wvSplitK_hf_sml_I6__halfLi32ELi4ELi16ELi8ELi2ELi2EEviiiiiiPKT_S3_S3_PS1_ii
    .private_segment_fixed_size: 0
    .sgpr_count:     34
    .sgpr_spill_count: 0
    .symbol:         _Z16wvSplitK_hf_sml_I6__halfLi32ELi4ELi16ELi8ELi2ELi2EEviiiiiiPKT_S3_S3_PS1_ii.kd
    .uniform_work_group_size: 1
    .uses_dynamic_stack: false
    .vgpr_count:     72
    .vgpr_spill_count: 0
    .wavefront_size: 64
  - .agpr_count:     0
    .args:
      - .offset:         0
        .size:           4
        .value_kind:     by_value
      - .offset:         4
        .size:           4
        .value_kind:     by_value
      - .offset:         8
        .size:           4
        .value_kind:     by_value
      - .offset:         12
        .size:           4
        .value_kind:     by_value
      - .offset:         16
        .size:           4
        .value_kind:     by_value
      - .offset:         20
        .size:           4
        .value_kind:     by_value
      - .address_space:  global
        .offset:         24
        .size:           8
        .value_kind:     global_buffer
      - .actual_access:  read_only
        .address_space:  global
        .offset:         32
        .size:           8
        .value_kind:     global_buffer
      - .actual_access:  read_only
        .address_space:  global
        .offset:         40
        .size:           8
        .value_kind:     global_buffer
      - .address_space:  global
        .offset:         48
        .size:           8
        .value_kind:     global_buffer
      - .offset:         56
        .size:           4
        .value_kind:     by_value
      - .offset:         60
        .size:           4
        .value_kind:     by_value
    .group_segment_fixed_size: 65536
    .kernarg_segment_align: 8
    .kernarg_segment_size: 64
    .language:       OpenCL C
    .language_version:
      - 2
      - 0
    .max_flat_workgroup_size: 512
    .name:           _Z12wvSplitK_hf_I6__halfLi32ELi4ELi16ELi8ELi2ELi2EEviiiiiiPKT_S3_S3_PS1_ii
    .private_segment_fixed_size: 0
    .sgpr_count:     46
    .sgpr_spill_count: 0
    .symbol:         _Z12wvSplitK_hf_I6__halfLi32ELi4ELi16ELi8ELi2ELi2EEviiiiiiPKT_S3_S3_PS1_ii.kd
    .uniform_work_group_size: 1
    .uses_dynamic_stack: false
    .vgpr_count:     80
    .vgpr_spill_count: 0
    .wavefront_size: 64
  - .agpr_count:     0
    .args:
      - .offset:         0
        .size:           4
        .value_kind:     by_value
      - .offset:         4
        .size:           4
        .value_kind:     by_value
      - .offset:         8
        .size:           4
        .value_kind:     by_value
      - .offset:         12
        .size:           4
        .value_kind:     by_value
      - .offset:         16
        .size:           4
        .value_kind:     by_value
      - .offset:         20
        .size:           4
        .value_kind:     by_value
      - .address_space:  global
        .offset:         24
        .size:           8
        .value_kind:     global_buffer
      - .actual_access:  read_only
        .address_space:  global
        .offset:         32
        .size:           8
        .value_kind:     global_buffer
      - .actual_access:  read_only
        .address_space:  global
        .offset:         40
        .size:           8
        .value_kind:     global_buffer
      - .address_space:  global
        .offset:         48
        .size:           8
        .value_kind:     global_buffer
      - .offset:         56
        .size:           4
        .value_kind:     by_value
      - .offset:         60
        .size:           4
        .value_kind:     by_value
    .group_segment_fixed_size: 65536
    .kernarg_segment_align: 8
    .kernarg_segment_size: 64
    .language:       OpenCL C
    .language_version:
      - 2
      - 0
    .max_flat_workgroup_size: 512
    .name:           _Z16wvSplitK_hf_big_I6__halfLi32ELi4ELi16ELi8ELi2ELi2EEviiiiiiPKT_S3_S3_PS1_ii
    .private_segment_fixed_size: 0
    .sgpr_count:     56
    .sgpr_spill_count: 0
    .symbol:         _Z16wvSplitK_hf_big_I6__halfLi32ELi4ELi16ELi8ELi2ELi2EEviiiiiiPKT_S3_S3_PS1_ii.kd
    .uniform_work_group_size: 1
    .uses_dynamic_stack: false
    .vgpr_count:     78
    .vgpr_spill_count: 0
    .wavefront_size: 64
  - .agpr_count:     0
    .args:
      - .offset:         0
        .size:           4
        .value_kind:     by_value
      - .offset:         4
        .size:           4
        .value_kind:     by_value
      - .offset:         8
        .size:           4
        .value_kind:     by_value
      - .offset:         12
        .size:           4
        .value_kind:     by_value
      - .offset:         16
        .size:           4
        .value_kind:     by_value
      - .offset:         20
        .size:           4
        .value_kind:     by_value
      - .address_space:  global
        .offset:         24
        .size:           8
        .value_kind:     global_buffer
      - .actual_access:  read_only
        .address_space:  global
        .offset:         32
        .size:           8
        .value_kind:     global_buffer
      - .actual_access:  read_only
        .address_space:  global
        .offset:         40
        .size:           8
        .value_kind:     global_buffer
      - .address_space:  global
        .offset:         48
        .size:           8
        .value_kind:     global_buffer
      - .offset:         56
        .size:           4
        .value_kind:     by_value
      - .offset:         60
        .size:           4
        .value_kind:     by_value
    .group_segment_fixed_size: 65536
    .kernarg_segment_align: 8
    .kernarg_segment_size: 64
    .language:       OpenCL C
    .language_version:
      - 2
      - 0
    .max_flat_workgroup_size: 1024
    .name:           _Z16wvSplitK_hf_sml_I6__halfLi64ELi1ELi16ELi8ELi4ELi2EEviiiiiiPKT_S3_S3_PS1_ii
    .private_segment_fixed_size: 0
    .sgpr_count:     38
    .sgpr_spill_count: 0
    .symbol:         _Z16wvSplitK_hf_sml_I6__halfLi64ELi1ELi16ELi8ELi4ELi2EEviiiiiiPKT_S3_S3_PS1_ii.kd
    .uniform_work_group_size: 1
    .uses_dynamic_stack: false
    .vgpr_count:     62
    .vgpr_spill_count: 0
    .wavefront_size: 64
  - .agpr_count:     0
    .args:
      - .offset:         0
        .size:           4
        .value_kind:     by_value
      - .offset:         4
        .size:           4
        .value_kind:     by_value
      - .offset:         8
        .size:           4
        .value_kind:     by_value
      - .offset:         12
        .size:           4
        .value_kind:     by_value
      - .offset:         16
        .size:           4
        .value_kind:     by_value
      - .offset:         20
        .size:           4
        .value_kind:     by_value
      - .address_space:  global
        .offset:         24
        .size:           8
        .value_kind:     global_buffer
      - .actual_access:  read_only
        .address_space:  global
        .offset:         32
        .size:           8
        .value_kind:     global_buffer
      - .actual_access:  read_only
        .address_space:  global
        .offset:         40
        .size:           8
        .value_kind:     global_buffer
      - .address_space:  global
        .offset:         48
        .size:           8
        .value_kind:     global_buffer
      - .offset:         56
        .size:           4
        .value_kind:     by_value
      - .offset:         60
        .size:           4
        .value_kind:     by_value
    .group_segment_fixed_size: 65536
    .kernarg_segment_align: 8
    .kernarg_segment_size: 64
    .language:       OpenCL C
    .language_version:
      - 2
      - 0
    .max_flat_workgroup_size: 1024
    .name:           _Z12wvSplitK_hf_I6__halfLi64ELi1ELi16ELi8ELi4ELi2EEviiiiiiPKT_S3_S3_PS1_ii
    .private_segment_fixed_size: 0
    .sgpr_count:     47
    .sgpr_spill_count: 0
    .symbol:         _Z12wvSplitK_hf_I6__halfLi64ELi1ELi16ELi8ELi4ELi2EEviiiiiiPKT_S3_S3_PS1_ii.kd
    .uniform_work_group_size: 1
    .uses_dynamic_stack: false
    .vgpr_count:     69
    .vgpr_spill_count: 0
    .wavefront_size: 64
  - .agpr_count:     0
    .args:
      - .offset:         0
        .size:           4
        .value_kind:     by_value
      - .offset:         4
        .size:           4
        .value_kind:     by_value
      - .offset:         8
        .size:           4
        .value_kind:     by_value
      - .offset:         12
        .size:           4
        .value_kind:     by_value
      - .offset:         16
        .size:           4
        .value_kind:     by_value
      - .offset:         20
        .size:           4
        .value_kind:     by_value
      - .address_space:  global
        .offset:         24
        .size:           8
        .value_kind:     global_buffer
      - .actual_access:  read_only
        .address_space:  global
        .offset:         32
        .size:           8
        .value_kind:     global_buffer
      - .actual_access:  read_only
        .address_space:  global
        .offset:         40
        .size:           8
        .value_kind:     global_buffer
      - .address_space:  global
        .offset:         48
        .size:           8
        .value_kind:     global_buffer
      - .offset:         56
        .size:           4
        .value_kind:     by_value
      - .offset:         60
        .size:           4
        .value_kind:     by_value
    .group_segment_fixed_size: 65536
    .kernarg_segment_align: 8
    .kernarg_segment_size: 64
    .language:       OpenCL C
    .language_version:
      - 2
      - 0
    .max_flat_workgroup_size: 1024
    .name:           _Z16wvSplitK_hf_big_I6__halfLi64ELi1ELi16ELi8ELi4ELi2EEviiiiiiPKT_S3_S3_PS1_ii
    .private_segment_fixed_size: 0
    .sgpr_count:     54
    .sgpr_spill_count: 0
    .symbol:         _Z16wvSplitK_hf_big_I6__halfLi64ELi1ELi16ELi8ELi4ELi2EEviiiiiiPKT_S3_S3_PS1_ii.kd
    .uniform_work_group_size: 1
    .uses_dynamic_stack: false
    .vgpr_count:     65
    .vgpr_spill_count: 0
    .wavefront_size: 64
  - .agpr_count:     0
    .args:
      - .offset:         0
        .size:           4
        .value_kind:     by_value
      - .offset:         4
        .size:           4
        .value_kind:     by_value
      - .offset:         8
        .size:           4
        .value_kind:     by_value
      - .offset:         12
        .size:           4
        .value_kind:     by_value
      - .offset:         16
        .size:           4
        .value_kind:     by_value
      - .offset:         20
        .size:           4
        .value_kind:     by_value
      - .address_space:  global
        .offset:         24
        .size:           8
        .value_kind:     global_buffer
      - .actual_access:  read_only
        .address_space:  global
        .offset:         32
        .size:           8
        .value_kind:     global_buffer
      - .actual_access:  read_only
        .address_space:  global
        .offset:         40
        .size:           8
        .value_kind:     global_buffer
      - .address_space:  global
        .offset:         48
        .size:           8
        .value_kind:     global_buffer
      - .offset:         56
        .size:           4
        .value_kind:     by_value
      - .offset:         60
        .size:           4
        .value_kind:     by_value
    .group_segment_fixed_size: 65536
    .kernarg_segment_align: 8
    .kernarg_segment_size: 64
    .language:       OpenCL C
    .language_version:
      - 2
      - 0
    .max_flat_workgroup_size: 1024
    .name:           _Z16wvSplitK_hf_sml_I6__halfLi64ELi2ELi16ELi8ELi2ELi2EEviiiiiiPKT_S3_S3_PS1_ii
    .private_segment_fixed_size: 0
    .sgpr_count:     34
    .sgpr_spill_count: 0
    .symbol:         _Z16wvSplitK_hf_sml_I6__halfLi64ELi2ELi16ELi8ELi2ELi2EEviiiiiiPKT_S3_S3_PS1_ii.kd
    .uniform_work_group_size: 1
    .uses_dynamic_stack: false
    .vgpr_count:     48
    .vgpr_spill_count: 0
    .wavefront_size: 64
  - .agpr_count:     0
    .args:
      - .offset:         0
        .size:           4
        .value_kind:     by_value
      - .offset:         4
        .size:           4
        .value_kind:     by_value
      - .offset:         8
        .size:           4
        .value_kind:     by_value
      - .offset:         12
        .size:           4
        .value_kind:     by_value
      - .offset:         16
        .size:           4
        .value_kind:     by_value
      - .offset:         20
        .size:           4
        .value_kind:     by_value
      - .address_space:  global
        .offset:         24
        .size:           8
        .value_kind:     global_buffer
      - .actual_access:  read_only
        .address_space:  global
        .offset:         32
        .size:           8
        .value_kind:     global_buffer
      - .actual_access:  read_only
        .address_space:  global
        .offset:         40
        .size:           8
        .value_kind:     global_buffer
      - .address_space:  global
        .offset:         48
        .size:           8
        .value_kind:     global_buffer
      - .offset:         56
        .size:           4
        .value_kind:     by_value
      - .offset:         60
        .size:           4
        .value_kind:     by_value
    .group_segment_fixed_size: 65536
    .kernarg_segment_align: 8
    .kernarg_segment_size: 64
    .language:       OpenCL C
    .language_version:
      - 2
      - 0
    .max_flat_workgroup_size: 1024
    .name:           _Z12wvSplitK_hf_I6__halfLi64ELi2ELi16ELi8ELi2ELi2EEviiiiiiPKT_S3_S3_PS1_ii
    .private_segment_fixed_size: 0
    .sgpr_count:     46
    .sgpr_spill_count: 0
    .symbol:         _Z12wvSplitK_hf_I6__halfLi64ELi2ELi16ELi8ELi2ELi2EEviiiiiiPKT_S3_S3_PS1_ii.kd
    .uniform_work_group_size: 1
    .uses_dynamic_stack: false
    .vgpr_count:     52
    .vgpr_spill_count: 0
    .wavefront_size: 64
  - .agpr_count:     0
    .args:
      - .offset:         0
        .size:           4
        .value_kind:     by_value
      - .offset:         4
        .size:           4
        .value_kind:     by_value
      - .offset:         8
        .size:           4
        .value_kind:     by_value
      - .offset:         12
        .size:           4
        .value_kind:     by_value
      - .offset:         16
        .size:           4
        .value_kind:     by_value
      - .offset:         20
        .size:           4
        .value_kind:     by_value
      - .address_space:  global
        .offset:         24
        .size:           8
        .value_kind:     global_buffer
      - .actual_access:  read_only
        .address_space:  global
        .offset:         32
        .size:           8
        .value_kind:     global_buffer
      - .actual_access:  read_only
        .address_space:  global
        .offset:         40
        .size:           8
        .value_kind:     global_buffer
      - .address_space:  global
        .offset:         48
        .size:           8
        .value_kind:     global_buffer
      - .offset:         56
        .size:           4
        .value_kind:     by_value
      - .offset:         60
        .size:           4
        .value_kind:     by_value
    .group_segment_fixed_size: 65536
    .kernarg_segment_align: 8
    .kernarg_segment_size: 64
    .language:       OpenCL C
    .language_version:
      - 2
      - 0
    .max_flat_workgroup_size: 1024
    .name:           _Z16wvSplitK_hf_big_I6__halfLi64ELi2ELi16ELi8ELi2ELi2EEviiiiiiPKT_S3_S3_PS1_ii
    .private_segment_fixed_size: 0
    .sgpr_count:     56
    .sgpr_spill_count: 0
    .symbol:         _Z16wvSplitK_hf_big_I6__halfLi64ELi2ELi16ELi8ELi2ELi2EEviiiiiiPKT_S3_S3_PS1_ii.kd
    .uniform_work_group_size: 1
    .uses_dynamic_stack: false
    .vgpr_count:     52
    .vgpr_spill_count: 0
    .wavefront_size: 64
  - .agpr_count:     0
    .args:
      - .offset:         0
        .size:           4
        .value_kind:     by_value
      - .offset:         4
        .size:           4
        .value_kind:     by_value
      - .offset:         8
        .size:           4
        .value_kind:     by_value
      - .offset:         12
        .size:           4
        .value_kind:     by_value
      - .offset:         16
        .size:           4
        .value_kind:     by_value
      - .offset:         20
        .size:           4
        .value_kind:     by_value
      - .address_space:  global
        .offset:         24
        .size:           8
        .value_kind:     global_buffer
      - .actual_access:  read_only
        .address_space:  global
        .offset:         32
        .size:           8
        .value_kind:     global_buffer
      - .actual_access:  read_only
        .address_space:  global
        .offset:         40
        .size:           8
        .value_kind:     global_buffer
      - .address_space:  global
        .offset:         48
        .size:           8
        .value_kind:     global_buffer
      - .offset:         56
        .size:           4
        .value_kind:     by_value
      - .offset:         60
        .size:           4
        .value_kind:     by_value
    .group_segment_fixed_size: 65536
    .kernarg_segment_align: 8
    .kernarg_segment_size: 64
    .language:       OpenCL C
    .language_version:
      - 2
      - 0
    .max_flat_workgroup_size: 1024
    .name:           _Z16wvSplitK_hf_sml_I6__halfLi64ELi3ELi16ELi8ELi2ELi2EEviiiiiiPKT_S3_S3_PS1_ii
    .private_segment_fixed_size: 0
    .sgpr_count:     34
    .sgpr_spill_count: 0
    .symbol:         _Z16wvSplitK_hf_sml_I6__halfLi64ELi3ELi16ELi8ELi2ELi2EEviiiiiiPKT_S3_S3_PS1_ii.kd
    .uniform_work_group_size: 1
    .uses_dynamic_stack: false
    .vgpr_count:     62
    .vgpr_spill_count: 0
    .wavefront_size: 64
  - .agpr_count:     0
    .args:
      - .offset:         0
        .size:           4
        .value_kind:     by_value
      - .offset:         4
        .size:           4
        .value_kind:     by_value
      - .offset:         8
        .size:           4
        .value_kind:     by_value
      - .offset:         12
        .size:           4
        .value_kind:     by_value
      - .offset:         16
        .size:           4
        .value_kind:     by_value
      - .offset:         20
        .size:           4
        .value_kind:     by_value
      - .address_space:  global
        .offset:         24
        .size:           8
        .value_kind:     global_buffer
      - .actual_access:  read_only
        .address_space:  global
        .offset:         32
        .size:           8
        .value_kind:     global_buffer
      - .actual_access:  read_only
        .address_space:  global
        .offset:         40
        .size:           8
        .value_kind:     global_buffer
      - .address_space:  global
        .offset:         48
        .size:           8
        .value_kind:     global_buffer
      - .offset:         56
        .size:           4
        .value_kind:     by_value
      - .offset:         60
        .size:           4
        .value_kind:     by_value
    .group_segment_fixed_size: 65536
    .kernarg_segment_align: 8
    .kernarg_segment_size: 64
    .language:       OpenCL C
    .language_version:
      - 2
      - 0
    .max_flat_workgroup_size: 1024
    .name:           _Z12wvSplitK_hf_I6__halfLi64ELi3ELi16ELi8ELi2ELi2EEviiiiiiPKT_S3_S3_PS1_ii
    .private_segment_fixed_size: 0
    .sgpr_count:     46
    .sgpr_spill_count: 0
    .symbol:         _Z12wvSplitK_hf_I6__halfLi64ELi3ELi16ELi8ELi2ELi2EEviiiiiiPKT_S3_S3_PS1_ii.kd
    .uniform_work_group_size: 1
    .uses_dynamic_stack: false
    .vgpr_count:     66
    .vgpr_spill_count: 0
    .wavefront_size: 64
  - .agpr_count:     0
    .args:
      - .offset:         0
        .size:           4
        .value_kind:     by_value
      - .offset:         4
        .size:           4
        .value_kind:     by_value
      - .offset:         8
        .size:           4
        .value_kind:     by_value
      - .offset:         12
        .size:           4
        .value_kind:     by_value
      - .offset:         16
        .size:           4
        .value_kind:     by_value
      - .offset:         20
        .size:           4
        .value_kind:     by_value
      - .address_space:  global
        .offset:         24
        .size:           8
        .value_kind:     global_buffer
      - .actual_access:  read_only
        .address_space:  global
        .offset:         32
        .size:           8
        .value_kind:     global_buffer
      - .actual_access:  read_only
        .address_space:  global
        .offset:         40
        .size:           8
        .value_kind:     global_buffer
      - .address_space:  global
        .offset:         48
        .size:           8
        .value_kind:     global_buffer
      - .offset:         56
        .size:           4
        .value_kind:     by_value
      - .offset:         60
        .size:           4
        .value_kind:     by_value
    .group_segment_fixed_size: 65536
    .kernarg_segment_align: 8
    .kernarg_segment_size: 64
    .language:       OpenCL C
    .language_version:
      - 2
      - 0
    .max_flat_workgroup_size: 1024
    .name:           _Z16wvSplitK_hf_big_I6__halfLi64ELi3ELi16ELi8ELi2ELi2EEviiiiiiPKT_S3_S3_PS1_ii
    .private_segment_fixed_size: 0
    .sgpr_count:     56
    .sgpr_spill_count: 0
    .symbol:         _Z16wvSplitK_hf_big_I6__halfLi64ELi3ELi16ELi8ELi2ELi2EEviiiiiiPKT_S3_S3_PS1_ii.kd
    .uniform_work_group_size: 1
    .uses_dynamic_stack: false
    .vgpr_count:     65
    .vgpr_spill_count: 0
    .wavefront_size: 64
  - .agpr_count:     0
    .args:
      - .offset:         0
        .size:           4
        .value_kind:     by_value
      - .offset:         4
        .size:           4
        .value_kind:     by_value
      - .offset:         8
        .size:           4
        .value_kind:     by_value
      - .offset:         12
        .size:           4
        .value_kind:     by_value
      - .offset:         16
        .size:           4
        .value_kind:     by_value
      - .offset:         20
        .size:           4
        .value_kind:     by_value
      - .address_space:  global
        .offset:         24
        .size:           8
        .value_kind:     global_buffer
      - .actual_access:  read_only
        .address_space:  global
        .offset:         32
        .size:           8
        .value_kind:     global_buffer
      - .actual_access:  read_only
        .address_space:  global
        .offset:         40
        .size:           8
        .value_kind:     global_buffer
      - .address_space:  global
        .offset:         48
        .size:           8
        .value_kind:     global_buffer
      - .offset:         56
        .size:           4
        .value_kind:     by_value
      - .offset:         60
        .size:           4
        .value_kind:     by_value
    .group_segment_fixed_size: 65536
    .kernarg_segment_align: 8
    .kernarg_segment_size: 64
    .language:       OpenCL C
    .language_version:
      - 2
      - 0
    .max_flat_workgroup_size: 1024
    .name:           _Z16wvSplitK_hf_sml_I6__halfLi64ELi4ELi16ELi8ELi1ELi2EEviiiiiiPKT_S3_S3_PS1_ii
    .private_segment_fixed_size: 0
    .sgpr_count:     33
    .sgpr_spill_count: 0
    .symbol:         _Z16wvSplitK_hf_sml_I6__halfLi64ELi4ELi16ELi8ELi1ELi2EEviiiiiiPKT_S3_S3_PS1_ii.kd
    .uniform_work_group_size: 1
    .uses_dynamic_stack: false
    .vgpr_count:     48
    .vgpr_spill_count: 0
    .wavefront_size: 64
  - .agpr_count:     0
    .args:
      - .offset:         0
        .size:           4
        .value_kind:     by_value
      - .offset:         4
        .size:           4
        .value_kind:     by_value
      - .offset:         8
        .size:           4
        .value_kind:     by_value
      - .offset:         12
        .size:           4
        .value_kind:     by_value
      - .offset:         16
        .size:           4
        .value_kind:     by_value
      - .offset:         20
        .size:           4
        .value_kind:     by_value
      - .address_space:  global
        .offset:         24
        .size:           8
        .value_kind:     global_buffer
      - .actual_access:  read_only
        .address_space:  global
        .offset:         32
        .size:           8
        .value_kind:     global_buffer
      - .actual_access:  read_only
        .address_space:  global
        .offset:         40
        .size:           8
        .value_kind:     global_buffer
      - .address_space:  global
        .offset:         48
        .size:           8
        .value_kind:     global_buffer
      - .offset:         56
        .size:           4
        .value_kind:     by_value
      - .offset:         60
        .size:           4
        .value_kind:     by_value
    .group_segment_fixed_size: 65536
    .kernarg_segment_align: 8
    .kernarg_segment_size: 64
    .language:       OpenCL C
    .language_version:
      - 2
      - 0
    .max_flat_workgroup_size: 1024
    .name:           _Z12wvSplitK_hf_I6__halfLi64ELi4ELi16ELi8ELi1ELi2EEviiiiiiPKT_S3_S3_PS1_ii
    .private_segment_fixed_size: 0
    .sgpr_count:     46
    .sgpr_spill_count: 0
    .symbol:         _Z12wvSplitK_hf_I6__halfLi64ELi4ELi16ELi8ELi1ELi2EEviiiiiiPKT_S3_S3_PS1_ii.kd
    .uniform_work_group_size: 1
    .uses_dynamic_stack: false
    .vgpr_count:     58
    .vgpr_spill_count: 0
    .wavefront_size: 64
  - .agpr_count:     0
    .args:
      - .offset:         0
        .size:           4
        .value_kind:     by_value
      - .offset:         4
        .size:           4
        .value_kind:     by_value
      - .offset:         8
        .size:           4
        .value_kind:     by_value
      - .offset:         12
        .size:           4
        .value_kind:     by_value
      - .offset:         16
        .size:           4
        .value_kind:     by_value
      - .offset:         20
        .size:           4
        .value_kind:     by_value
      - .address_space:  global
        .offset:         24
        .size:           8
        .value_kind:     global_buffer
      - .actual_access:  read_only
        .address_space:  global
        .offset:         32
        .size:           8
        .value_kind:     global_buffer
      - .actual_access:  read_only
        .address_space:  global
        .offset:         40
        .size:           8
        .value_kind:     global_buffer
      - .address_space:  global
        .offset:         48
        .size:           8
        .value_kind:     global_buffer
      - .offset:         56
        .size:           4
        .value_kind:     by_value
      - .offset:         60
        .size:           4
        .value_kind:     by_value
    .group_segment_fixed_size: 65536
    .kernarg_segment_align: 8
    .kernarg_segment_size: 64
    .language:       OpenCL C
    .language_version:
      - 2
      - 0
    .max_flat_workgroup_size: 1024
    .name:           _Z16wvSplitK_hf_big_I6__halfLi64ELi4ELi16ELi8ELi1ELi2EEviiiiiiPKT_S3_S3_PS1_ii
    .private_segment_fixed_size: 0
    .sgpr_count:     56
    .sgpr_spill_count: 0
    .symbol:         _Z16wvSplitK_hf_big_I6__halfLi64ELi4ELi16ELi8ELi1ELi2EEviiiiiiPKT_S3_S3_PS1_ii.kd
    .uniform_work_group_size: 1
    .uses_dynamic_stack: false
    .vgpr_count:     54
    .vgpr_spill_count: 0
    .wavefront_size: 64
  - .agpr_count:     0
    .args:
      - .offset:         0
        .size:           4
        .value_kind:     by_value
      - .offset:         4
        .size:           4
        .value_kind:     by_value
      - .offset:         8
        .size:           4
        .value_kind:     by_value
      - .offset:         12
        .size:           4
        .value_kind:     by_value
      - .offset:         16
        .size:           4
        .value_kind:     by_value
      - .offset:         20
        .size:           4
        .value_kind:     by_value
      - .address_space:  global
        .offset:         24
        .size:           8
        .value_kind:     global_buffer
      - .actual_access:  read_only
        .address_space:  global
        .offset:         32
        .size:           8
        .value_kind:     global_buffer
      - .actual_access:  read_only
        .address_space:  global
        .offset:         40
        .size:           8
        .value_kind:     global_buffer
      - .address_space:  global
        .offset:         48
        .size:           8
        .value_kind:     global_buffer
      - .offset:         56
        .size:           4
        .value_kind:     by_value
      - .offset:         60
        .size:           4
        .value_kind:     by_value
    .group_segment_fixed_size: 65536
    .kernarg_segment_align: 8
    .kernarg_segment_size: 64
    .language:       OpenCL C
    .language_version:
      - 2
      - 0
    .max_flat_workgroup_size: 1024
    .name:           _Z16wvSplitK_hf_sml_I6__halfLi64ELi4ELi16ELi8ELi2ELi2EEviiiiiiPKT_S3_S3_PS1_ii
    .private_segment_fixed_size: 0
    .sgpr_count:     34
    .sgpr_spill_count: 0
    .symbol:         _Z16wvSplitK_hf_sml_I6__halfLi64ELi4ELi16ELi8ELi2ELi2EEviiiiiiPKT_S3_S3_PS1_ii.kd
    .uniform_work_group_size: 1
    .uses_dynamic_stack: false
    .vgpr_count:     72
    .vgpr_spill_count: 0
    .wavefront_size: 64
  - .agpr_count:     0
    .args:
      - .offset:         0
        .size:           4
        .value_kind:     by_value
      - .offset:         4
        .size:           4
        .value_kind:     by_value
      - .offset:         8
        .size:           4
        .value_kind:     by_value
      - .offset:         12
        .size:           4
        .value_kind:     by_value
      - .offset:         16
        .size:           4
        .value_kind:     by_value
      - .offset:         20
        .size:           4
        .value_kind:     by_value
      - .address_space:  global
        .offset:         24
        .size:           8
        .value_kind:     global_buffer
      - .actual_access:  read_only
        .address_space:  global
        .offset:         32
        .size:           8
        .value_kind:     global_buffer
      - .actual_access:  read_only
        .address_space:  global
        .offset:         40
        .size:           8
        .value_kind:     global_buffer
      - .address_space:  global
        .offset:         48
        .size:           8
        .value_kind:     global_buffer
      - .offset:         56
        .size:           4
        .value_kind:     by_value
      - .offset:         60
        .size:           4
        .value_kind:     by_value
    .group_segment_fixed_size: 65536
    .kernarg_segment_align: 8
    .kernarg_segment_size: 64
    .language:       OpenCL C
    .language_version:
      - 2
      - 0
    .max_flat_workgroup_size: 1024
    .name:           _Z12wvSplitK_hf_I6__halfLi64ELi4ELi16ELi8ELi2ELi2EEviiiiiiPKT_S3_S3_PS1_ii
    .private_segment_fixed_size: 0
    .sgpr_count:     46
    .sgpr_spill_count: 0
    .symbol:         _Z12wvSplitK_hf_I6__halfLi64ELi4ELi16ELi8ELi2ELi2EEviiiiiiPKT_S3_S3_PS1_ii.kd
    .uniform_work_group_size: 1
    .uses_dynamic_stack: false
    .vgpr_count:     80
    .vgpr_spill_count: 0
    .wavefront_size: 64
  - .agpr_count:     0
    .args:
      - .offset:         0
        .size:           4
        .value_kind:     by_value
      - .offset:         4
        .size:           4
        .value_kind:     by_value
      - .offset:         8
        .size:           4
        .value_kind:     by_value
      - .offset:         12
        .size:           4
        .value_kind:     by_value
      - .offset:         16
        .size:           4
        .value_kind:     by_value
      - .offset:         20
        .size:           4
        .value_kind:     by_value
      - .address_space:  global
        .offset:         24
        .size:           8
        .value_kind:     global_buffer
      - .actual_access:  read_only
        .address_space:  global
        .offset:         32
        .size:           8
        .value_kind:     global_buffer
      - .actual_access:  read_only
        .address_space:  global
        .offset:         40
        .size:           8
        .value_kind:     global_buffer
      - .address_space:  global
        .offset:         48
        .size:           8
        .value_kind:     global_buffer
      - .offset:         56
        .size:           4
        .value_kind:     by_value
      - .offset:         60
        .size:           4
        .value_kind:     by_value
    .group_segment_fixed_size: 65536
    .kernarg_segment_align: 8
    .kernarg_segment_size: 64
    .language:       OpenCL C
    .language_version:
      - 2
      - 0
    .max_flat_workgroup_size: 1024
    .name:           _Z16wvSplitK_hf_big_I6__halfLi64ELi4ELi16ELi8ELi2ELi2EEviiiiiiPKT_S3_S3_PS1_ii
    .private_segment_fixed_size: 0
    .sgpr_count:     56
    .sgpr_spill_count: 0
    .symbol:         _Z16wvSplitK_hf_big_I6__halfLi64ELi4ELi16ELi8ELi2ELi2EEviiiiiiPKT_S3_S3_PS1_ii.kd
    .uniform_work_group_size: 1
    .uses_dynamic_stack: false
    .vgpr_count:     78
    .vgpr_spill_count: 0
    .wavefront_size: 64
  - .agpr_count:     0
    .args:
      - .offset:         0
        .size:           4
        .value_kind:     by_value
      - .offset:         4
        .size:           4
        .value_kind:     by_value
      - .offset:         8
        .size:           4
        .value_kind:     by_value
      - .offset:         12
        .size:           4
        .value_kind:     by_value
      - .offset:         16
        .size:           4
        .value_kind:     by_value
      - .offset:         20
        .size:           4
        .value_kind:     by_value
      - .address_space:  global
        .offset:         24
        .size:           8
        .value_kind:     global_buffer
      - .actual_access:  read_only
        .address_space:  global
        .offset:         32
        .size:           8
        .value_kind:     global_buffer
      - .actual_access:  read_only
        .address_space:  global
        .offset:         40
        .size:           8
        .value_kind:     global_buffer
      - .address_space:  global
        .offset:         48
        .size:           8
        .value_kind:     global_buffer
      - .offset:         56
        .size:           4
        .value_kind:     by_value
      - .offset:         60
        .size:           4
        .value_kind:     by_value
    .group_segment_fixed_size: 65536
    .kernarg_segment_align: 8
    .kernarg_segment_size: 64
    .language:       OpenCL C
    .language_version:
      - 2
      - 0
    .max_flat_workgroup_size: 512
    .name:           _Z16wvSplitK_hf_sml_I6__halfLi32ELi1ELi16ELi8ELi4ELi3EEviiiiiiPKT_S3_S3_PS1_ii
    .private_segment_fixed_size: 0
    .sgpr_count:     41
    .sgpr_spill_count: 0
    .symbol:         _Z16wvSplitK_hf_sml_I6__halfLi32ELi1ELi16ELi8ELi4ELi3EEviiiiiiPKT_S3_S3_PS1_ii.kd
    .uniform_work_group_size: 1
    .uses_dynamic_stack: false
    .vgpr_count:     80
    .vgpr_spill_count: 0
    .wavefront_size: 64
  - .agpr_count:     0
    .args:
      - .offset:         0
        .size:           4
        .value_kind:     by_value
      - .offset:         4
        .size:           4
        .value_kind:     by_value
      - .offset:         8
        .size:           4
        .value_kind:     by_value
      - .offset:         12
        .size:           4
        .value_kind:     by_value
      - .offset:         16
        .size:           4
        .value_kind:     by_value
      - .offset:         20
        .size:           4
        .value_kind:     by_value
      - .address_space:  global
        .offset:         24
        .size:           8
        .value_kind:     global_buffer
      - .actual_access:  read_only
        .address_space:  global
        .offset:         32
        .size:           8
        .value_kind:     global_buffer
      - .actual_access:  read_only
        .address_space:  global
        .offset:         40
        .size:           8
        .value_kind:     global_buffer
      - .address_space:  global
        .offset:         48
        .size:           8
        .value_kind:     global_buffer
      - .offset:         56
        .size:           4
        .value_kind:     by_value
      - .offset:         60
        .size:           4
        .value_kind:     by_value
    .group_segment_fixed_size: 65536
    .kernarg_segment_align: 8
    .kernarg_segment_size: 64
    .language:       OpenCL C
    .language_version:
      - 2
      - 0
    .max_flat_workgroup_size: 512
    .name:           _Z12wvSplitK_hf_I6__halfLi32ELi1ELi16ELi8ELi4ELi3EEviiiiiiPKT_S3_S3_PS1_ii
    .private_segment_fixed_size: 0
    .sgpr_count:     49
    .sgpr_spill_count: 0
    .symbol:         _Z12wvSplitK_hf_I6__halfLi32ELi1ELi16ELi8ELi4ELi3EEviiiiiiPKT_S3_S3_PS1_ii.kd
    .uniform_work_group_size: 1
    .uses_dynamic_stack: false
    .vgpr_count:     89
    .vgpr_spill_count: 0
    .wavefront_size: 64
  - .agpr_count:     0
    .args:
      - .offset:         0
        .size:           4
        .value_kind:     by_value
      - .offset:         4
        .size:           4
        .value_kind:     by_value
      - .offset:         8
        .size:           4
        .value_kind:     by_value
      - .offset:         12
        .size:           4
        .value_kind:     by_value
      - .offset:         16
        .size:           4
        .value_kind:     by_value
      - .offset:         20
        .size:           4
        .value_kind:     by_value
      - .address_space:  global
        .offset:         24
        .size:           8
        .value_kind:     global_buffer
      - .actual_access:  read_only
        .address_space:  global
        .offset:         32
        .size:           8
        .value_kind:     global_buffer
      - .actual_access:  read_only
        .address_space:  global
        .offset:         40
        .size:           8
        .value_kind:     global_buffer
      - .address_space:  global
        .offset:         48
        .size:           8
        .value_kind:     global_buffer
      - .offset:         56
        .size:           4
        .value_kind:     by_value
      - .offset:         60
        .size:           4
        .value_kind:     by_value
    .group_segment_fixed_size: 65536
    .kernarg_segment_align: 8
    .kernarg_segment_size: 64
    .language:       OpenCL C
    .language_version:
      - 2
      - 0
    .max_flat_workgroup_size: 512
    .name:           _Z16wvSplitK_hf_big_I6__halfLi32ELi1ELi16ELi8ELi4ELi3EEviiiiiiPKT_S3_S3_PS1_ii
    .private_segment_fixed_size: 0
    .sgpr_count:     56
    .sgpr_spill_count: 0
    .symbol:         _Z16wvSplitK_hf_big_I6__halfLi32ELi1ELi16ELi8ELi4ELi3EEviiiiiiPKT_S3_S3_PS1_ii.kd
    .uniform_work_group_size: 1
    .uses_dynamic_stack: false
    .vgpr_count:     84
    .vgpr_spill_count: 0
    .wavefront_size: 64
  - .agpr_count:     0
    .args:
      - .offset:         0
        .size:           4
        .value_kind:     by_value
      - .offset:         4
        .size:           4
        .value_kind:     by_value
      - .offset:         8
        .size:           4
        .value_kind:     by_value
      - .offset:         12
        .size:           4
        .value_kind:     by_value
      - .offset:         16
        .size:           4
        .value_kind:     by_value
      - .offset:         20
        .size:           4
        .value_kind:     by_value
      - .address_space:  global
        .offset:         24
        .size:           8
        .value_kind:     global_buffer
      - .actual_access:  read_only
        .address_space:  global
        .offset:         32
        .size:           8
        .value_kind:     global_buffer
      - .actual_access:  read_only
        .address_space:  global
        .offset:         40
        .size:           8
        .value_kind:     global_buffer
      - .address_space:  global
        .offset:         48
        .size:           8
        .value_kind:     global_buffer
      - .offset:         56
        .size:           4
        .value_kind:     by_value
      - .offset:         60
        .size:           4
        .value_kind:     by_value
    .group_segment_fixed_size: 65536
    .kernarg_segment_align: 8
    .kernarg_segment_size: 64
    .language:       OpenCL C
    .language_version:
      - 2
      - 0
    .max_flat_workgroup_size: 512
    .name:           _Z16wvSplitK_hf_sml_I6__halfLi32ELi2ELi16ELi8ELi2ELi3EEviiiiiiPKT_S3_S3_PS1_ii
    .private_segment_fixed_size: 0
    .sgpr_count:     36
    .sgpr_spill_count: 0
    .symbol:         _Z16wvSplitK_hf_sml_I6__halfLi32ELi2ELi16ELi8ELi2ELi3EEviiiiiiPKT_S3_S3_PS1_ii.kd
    .uniform_work_group_size: 1
    .uses_dynamic_stack: false
    .vgpr_count:     59
    .vgpr_spill_count: 0
    .wavefront_size: 64
  - .agpr_count:     0
    .args:
      - .offset:         0
        .size:           4
        .value_kind:     by_value
      - .offset:         4
        .size:           4
        .value_kind:     by_value
      - .offset:         8
        .size:           4
        .value_kind:     by_value
      - .offset:         12
        .size:           4
        .value_kind:     by_value
      - .offset:         16
        .size:           4
        .value_kind:     by_value
      - .offset:         20
        .size:           4
        .value_kind:     by_value
      - .address_space:  global
        .offset:         24
        .size:           8
        .value_kind:     global_buffer
      - .actual_access:  read_only
        .address_space:  global
        .offset:         32
        .size:           8
        .value_kind:     global_buffer
      - .actual_access:  read_only
        .address_space:  global
        .offset:         40
        .size:           8
        .value_kind:     global_buffer
      - .address_space:  global
        .offset:         48
        .size:           8
        .value_kind:     global_buffer
      - .offset:         56
        .size:           4
        .value_kind:     by_value
      - .offset:         60
        .size:           4
        .value_kind:     by_value
    .group_segment_fixed_size: 65536
    .kernarg_segment_align: 8
    .kernarg_segment_size: 64
    .language:       OpenCL C
    .language_version:
      - 2
      - 0
    .max_flat_workgroup_size: 512
    .name:           _Z12wvSplitK_hf_I6__halfLi32ELi2ELi16ELi8ELi2ELi3EEviiiiiiPKT_S3_S3_PS1_ii
    .private_segment_fixed_size: 0
    .sgpr_count:     48
    .sgpr_spill_count: 0
    .symbol:         _Z12wvSplitK_hf_I6__halfLi32ELi2ELi16ELi8ELi2ELi3EEviiiiiiPKT_S3_S3_PS1_ii.kd
    .uniform_work_group_size: 1
    .uses_dynamic_stack: false
    .vgpr_count:     66
    .vgpr_spill_count: 0
    .wavefront_size: 64
  - .agpr_count:     0
    .args:
      - .offset:         0
        .size:           4
        .value_kind:     by_value
      - .offset:         4
        .size:           4
        .value_kind:     by_value
      - .offset:         8
        .size:           4
        .value_kind:     by_value
      - .offset:         12
        .size:           4
        .value_kind:     by_value
      - .offset:         16
        .size:           4
        .value_kind:     by_value
      - .offset:         20
        .size:           4
        .value_kind:     by_value
      - .address_space:  global
        .offset:         24
        .size:           8
        .value_kind:     global_buffer
      - .actual_access:  read_only
        .address_space:  global
        .offset:         32
        .size:           8
        .value_kind:     global_buffer
      - .actual_access:  read_only
        .address_space:  global
        .offset:         40
        .size:           8
        .value_kind:     global_buffer
      - .address_space:  global
        .offset:         48
        .size:           8
        .value_kind:     global_buffer
      - .offset:         56
        .size:           4
        .value_kind:     by_value
      - .offset:         60
        .size:           4
        .value_kind:     by_value
    .group_segment_fixed_size: 65536
    .kernarg_segment_align: 8
    .kernarg_segment_size: 64
    .language:       OpenCL C
    .language_version:
      - 2
      - 0
    .max_flat_workgroup_size: 512
    .name:           _Z16wvSplitK_hf_big_I6__halfLi32ELi2ELi16ELi8ELi2ELi3EEviiiiiiPKT_S3_S3_PS1_ii
    .private_segment_fixed_size: 0
    .sgpr_count:     58
    .sgpr_spill_count: 0
    .symbol:         _Z16wvSplitK_hf_big_I6__halfLi32ELi2ELi16ELi8ELi2ELi3EEviiiiiiPKT_S3_S3_PS1_ii.kd
    .uniform_work_group_size: 1
    .uses_dynamic_stack: false
    .vgpr_count:     64
    .vgpr_spill_count: 0
    .wavefront_size: 64
  - .agpr_count:     0
    .args:
      - .offset:         0
        .size:           4
        .value_kind:     by_value
      - .offset:         4
        .size:           4
        .value_kind:     by_value
      - .offset:         8
        .size:           4
        .value_kind:     by_value
      - .offset:         12
        .size:           4
        .value_kind:     by_value
      - .offset:         16
        .size:           4
        .value_kind:     by_value
      - .offset:         20
        .size:           4
        .value_kind:     by_value
      - .address_space:  global
        .offset:         24
        .size:           8
        .value_kind:     global_buffer
      - .actual_access:  read_only
        .address_space:  global
        .offset:         32
        .size:           8
        .value_kind:     global_buffer
      - .actual_access:  read_only
        .address_space:  global
        .offset:         40
        .size:           8
        .value_kind:     global_buffer
      - .address_space:  global
        .offset:         48
        .size:           8
        .value_kind:     global_buffer
      - .offset:         56
        .size:           4
        .value_kind:     by_value
      - .offset:         60
        .size:           4
        .value_kind:     by_value
    .group_segment_fixed_size: 65536
    .kernarg_segment_align: 8
    .kernarg_segment_size: 64
    .language:       OpenCL C
    .language_version:
      - 2
      - 0
    .max_flat_workgroup_size: 512
    .name:           _Z16wvSplitK_hf_sml_I6__halfLi32ELi3ELi16ELi8ELi2ELi3EEviiiiiiPKT_S3_S3_PS1_ii
    .private_segment_fixed_size: 0
    .sgpr_count:     36
    .sgpr_spill_count: 0
    .symbol:         _Z16wvSplitK_hf_sml_I6__halfLi32ELi3ELi16ELi8ELi2ELi3EEviiiiiiPKT_S3_S3_PS1_ii.kd
    .uniform_work_group_size: 1
    .uses_dynamic_stack: false
    .vgpr_count:     74
    .vgpr_spill_count: 0
    .wavefront_size: 64
  - .agpr_count:     0
    .args:
      - .offset:         0
        .size:           4
        .value_kind:     by_value
      - .offset:         4
        .size:           4
        .value_kind:     by_value
      - .offset:         8
        .size:           4
        .value_kind:     by_value
      - .offset:         12
        .size:           4
        .value_kind:     by_value
      - .offset:         16
        .size:           4
        .value_kind:     by_value
      - .offset:         20
        .size:           4
        .value_kind:     by_value
      - .address_space:  global
        .offset:         24
        .size:           8
        .value_kind:     global_buffer
      - .actual_access:  read_only
        .address_space:  global
        .offset:         32
        .size:           8
        .value_kind:     global_buffer
      - .actual_access:  read_only
        .address_space:  global
        .offset:         40
        .size:           8
        .value_kind:     global_buffer
      - .address_space:  global
        .offset:         48
        .size:           8
        .value_kind:     global_buffer
      - .offset:         56
        .size:           4
        .value_kind:     by_value
      - .offset:         60
        .size:           4
        .value_kind:     by_value
    .group_segment_fixed_size: 65536
    .kernarg_segment_align: 8
    .kernarg_segment_size: 64
    .language:       OpenCL C
    .language_version:
      - 2
      - 0
    .max_flat_workgroup_size: 512
    .name:           _Z12wvSplitK_hf_I6__halfLi32ELi3ELi16ELi8ELi2ELi3EEviiiiiiPKT_S3_S3_PS1_ii
    .private_segment_fixed_size: 0
    .sgpr_count:     48
    .sgpr_spill_count: 0
    .symbol:         _Z12wvSplitK_hf_I6__halfLi32ELi3ELi16ELi8ELi2ELi3EEviiiiiiPKT_S3_S3_PS1_ii.kd
    .uniform_work_group_size: 1
    .uses_dynamic_stack: false
    .vgpr_count:     81
    .vgpr_spill_count: 0
    .wavefront_size: 64
  - .agpr_count:     0
    .args:
      - .offset:         0
        .size:           4
        .value_kind:     by_value
      - .offset:         4
        .size:           4
        .value_kind:     by_value
      - .offset:         8
        .size:           4
        .value_kind:     by_value
      - .offset:         12
        .size:           4
        .value_kind:     by_value
      - .offset:         16
        .size:           4
        .value_kind:     by_value
      - .offset:         20
        .size:           4
        .value_kind:     by_value
      - .address_space:  global
        .offset:         24
        .size:           8
        .value_kind:     global_buffer
      - .actual_access:  read_only
        .address_space:  global
        .offset:         32
        .size:           8
        .value_kind:     global_buffer
      - .actual_access:  read_only
        .address_space:  global
        .offset:         40
        .size:           8
        .value_kind:     global_buffer
      - .address_space:  global
        .offset:         48
        .size:           8
        .value_kind:     global_buffer
      - .offset:         56
        .size:           4
        .value_kind:     by_value
      - .offset:         60
        .size:           4
        .value_kind:     by_value
    .group_segment_fixed_size: 65536
    .kernarg_segment_align: 8
    .kernarg_segment_size: 64
    .language:       OpenCL C
    .language_version:
      - 2
      - 0
    .max_flat_workgroup_size: 512
    .name:           _Z16wvSplitK_hf_big_I6__halfLi32ELi3ELi16ELi8ELi2ELi3EEviiiiiiPKT_S3_S3_PS1_ii
    .private_segment_fixed_size: 0
    .sgpr_count:     58
    .sgpr_spill_count: 0
    .symbol:         _Z16wvSplitK_hf_big_I6__halfLi32ELi3ELi16ELi8ELi2ELi3EEviiiiiiPKT_S3_S3_PS1_ii.kd
    .uniform_work_group_size: 1
    .uses_dynamic_stack: false
    .vgpr_count:     78
    .vgpr_spill_count: 0
    .wavefront_size: 64
  - .agpr_count:     0
    .args:
      - .offset:         0
        .size:           4
        .value_kind:     by_value
      - .offset:         4
        .size:           4
        .value_kind:     by_value
      - .offset:         8
        .size:           4
        .value_kind:     by_value
      - .offset:         12
        .size:           4
        .value_kind:     by_value
      - .offset:         16
        .size:           4
        .value_kind:     by_value
      - .offset:         20
        .size:           4
        .value_kind:     by_value
      - .address_space:  global
        .offset:         24
        .size:           8
        .value_kind:     global_buffer
      - .actual_access:  read_only
        .address_space:  global
        .offset:         32
        .size:           8
        .value_kind:     global_buffer
      - .actual_access:  read_only
        .address_space:  global
        .offset:         40
        .size:           8
        .value_kind:     global_buffer
      - .address_space:  global
        .offset:         48
        .size:           8
        .value_kind:     global_buffer
      - .offset:         56
        .size:           4
        .value_kind:     by_value
      - .offset:         60
        .size:           4
        .value_kind:     by_value
    .group_segment_fixed_size: 65536
    .kernarg_segment_align: 8
    .kernarg_segment_size: 64
    .language:       OpenCL C
    .language_version:
      - 2
      - 0
    .max_flat_workgroup_size: 512
    .name:           _Z16wvSplitK_hf_sml_I6__halfLi32ELi4ELi16ELi8ELi1ELi3EEviiiiiiPKT_S3_S3_PS1_ii
    .private_segment_fixed_size: 0
    .sgpr_count:     35
    .sgpr_spill_count: 0
    .symbol:         _Z16wvSplitK_hf_sml_I6__halfLi32ELi4ELi16ELi8ELi1ELi3EEviiiiiiPKT_S3_S3_PS1_ii.kd
    .uniform_work_group_size: 1
    .uses_dynamic_stack: false
    .vgpr_count:     60
    .vgpr_spill_count: 0
    .wavefront_size: 64
  - .agpr_count:     0
    .args:
      - .offset:         0
        .size:           4
        .value_kind:     by_value
      - .offset:         4
        .size:           4
        .value_kind:     by_value
      - .offset:         8
        .size:           4
        .value_kind:     by_value
      - .offset:         12
        .size:           4
        .value_kind:     by_value
      - .offset:         16
        .size:           4
        .value_kind:     by_value
      - .offset:         20
        .size:           4
        .value_kind:     by_value
      - .address_space:  global
        .offset:         24
        .size:           8
        .value_kind:     global_buffer
      - .actual_access:  read_only
        .address_space:  global
        .offset:         32
        .size:           8
        .value_kind:     global_buffer
      - .actual_access:  read_only
        .address_space:  global
        .offset:         40
        .size:           8
        .value_kind:     global_buffer
      - .address_space:  global
        .offset:         48
        .size:           8
        .value_kind:     global_buffer
      - .offset:         56
        .size:           4
        .value_kind:     by_value
      - .offset:         60
        .size:           4
        .value_kind:     by_value
    .group_segment_fixed_size: 65536
    .kernarg_segment_align: 8
    .kernarg_segment_size: 64
    .language:       OpenCL C
    .language_version:
      - 2
      - 0
    .max_flat_workgroup_size: 512
    .name:           _Z12wvSplitK_hf_I6__halfLi32ELi4ELi16ELi8ELi1ELi3EEviiiiiiPKT_S3_S3_PS1_ii
    .private_segment_fixed_size: 0
    .sgpr_count:     48
    .sgpr_spill_count: 0
    .symbol:         _Z12wvSplitK_hf_I6__halfLi32ELi4ELi16ELi8ELi1ELi3EEviiiiiiPKT_S3_S3_PS1_ii.kd
    .uniform_work_group_size: 1
    .uses_dynamic_stack: false
    .vgpr_count:     68
    .vgpr_spill_count: 0
    .wavefront_size: 64
  - .agpr_count:     0
    .args:
      - .offset:         0
        .size:           4
        .value_kind:     by_value
      - .offset:         4
        .size:           4
        .value_kind:     by_value
      - .offset:         8
        .size:           4
        .value_kind:     by_value
      - .offset:         12
        .size:           4
        .value_kind:     by_value
      - .offset:         16
        .size:           4
        .value_kind:     by_value
      - .offset:         20
        .size:           4
        .value_kind:     by_value
      - .address_space:  global
        .offset:         24
        .size:           8
        .value_kind:     global_buffer
      - .actual_access:  read_only
        .address_space:  global
        .offset:         32
        .size:           8
        .value_kind:     global_buffer
      - .actual_access:  read_only
        .address_space:  global
        .offset:         40
        .size:           8
        .value_kind:     global_buffer
      - .address_space:  global
        .offset:         48
        .size:           8
        .value_kind:     global_buffer
      - .offset:         56
        .size:           4
        .value_kind:     by_value
      - .offset:         60
        .size:           4
        .value_kind:     by_value
    .group_segment_fixed_size: 65536
    .kernarg_segment_align: 8
    .kernarg_segment_size: 64
    .language:       OpenCL C
    .language_version:
      - 2
      - 0
    .max_flat_workgroup_size: 512
    .name:           _Z16wvSplitK_hf_big_I6__halfLi32ELi4ELi16ELi8ELi1ELi3EEviiiiiiPKT_S3_S3_PS1_ii
    .private_segment_fixed_size: 0
    .sgpr_count:     58
    .sgpr_spill_count: 0
    .symbol:         _Z16wvSplitK_hf_big_I6__halfLi32ELi4ELi16ELi8ELi1ELi3EEviiiiiiPKT_S3_S3_PS1_ii.kd
    .uniform_work_group_size: 1
    .uses_dynamic_stack: false
    .vgpr_count:     68
    .vgpr_spill_count: 0
    .wavefront_size: 64
  - .agpr_count:     0
    .args:
      - .offset:         0
        .size:           4
        .value_kind:     by_value
      - .offset:         4
        .size:           4
        .value_kind:     by_value
      - .offset:         8
        .size:           4
        .value_kind:     by_value
      - .offset:         12
        .size:           4
        .value_kind:     by_value
      - .offset:         16
        .size:           4
        .value_kind:     by_value
      - .offset:         20
        .size:           4
        .value_kind:     by_value
      - .address_space:  global
        .offset:         24
        .size:           8
        .value_kind:     global_buffer
      - .actual_access:  read_only
        .address_space:  global
        .offset:         32
        .size:           8
        .value_kind:     global_buffer
      - .actual_access:  read_only
        .address_space:  global
        .offset:         40
        .size:           8
        .value_kind:     global_buffer
      - .address_space:  global
        .offset:         48
        .size:           8
        .value_kind:     global_buffer
      - .offset:         56
        .size:           4
        .value_kind:     by_value
      - .offset:         60
        .size:           4
        .value_kind:     by_value
    .group_segment_fixed_size: 65536
    .kernarg_segment_align: 8
    .kernarg_segment_size: 64
    .language:       OpenCL C
    .language_version:
      - 2
      - 0
    .max_flat_workgroup_size: 512
    .name:           _Z16wvSplitK_hf_sml_I6__halfLi32ELi4ELi16ELi8ELi2ELi3EEviiiiiiPKT_S3_S3_PS1_ii
    .private_segment_fixed_size: 0
    .sgpr_count:     36
    .sgpr_spill_count: 0
    .symbol:         _Z16wvSplitK_hf_sml_I6__halfLi32ELi4ELi16ELi8ELi2ELi3EEviiiiiiPKT_S3_S3_PS1_ii.kd
    .uniform_work_group_size: 1
    .uses_dynamic_stack: false
    .vgpr_count:     85
    .vgpr_spill_count: 0
    .wavefront_size: 64
  - .agpr_count:     0
    .args:
      - .offset:         0
        .size:           4
        .value_kind:     by_value
      - .offset:         4
        .size:           4
        .value_kind:     by_value
      - .offset:         8
        .size:           4
        .value_kind:     by_value
      - .offset:         12
        .size:           4
        .value_kind:     by_value
      - .offset:         16
        .size:           4
        .value_kind:     by_value
      - .offset:         20
        .size:           4
        .value_kind:     by_value
      - .address_space:  global
        .offset:         24
        .size:           8
        .value_kind:     global_buffer
      - .actual_access:  read_only
        .address_space:  global
        .offset:         32
        .size:           8
        .value_kind:     global_buffer
      - .actual_access:  read_only
        .address_space:  global
        .offset:         40
        .size:           8
        .value_kind:     global_buffer
      - .address_space:  global
        .offset:         48
        .size:           8
        .value_kind:     global_buffer
      - .offset:         56
        .size:           4
        .value_kind:     by_value
      - .offset:         60
        .size:           4
        .value_kind:     by_value
    .group_segment_fixed_size: 65536
    .kernarg_segment_align: 8
    .kernarg_segment_size: 64
    .language:       OpenCL C
    .language_version:
      - 2
      - 0
    .max_flat_workgroup_size: 512
    .name:           _Z12wvSplitK_hf_I6__halfLi32ELi4ELi16ELi8ELi2ELi3EEviiiiiiPKT_S3_S3_PS1_ii
    .private_segment_fixed_size: 0
    .sgpr_count:     48
    .sgpr_spill_count: 0
    .symbol:         _Z12wvSplitK_hf_I6__halfLi32ELi4ELi16ELi8ELi2ELi3EEviiiiiiPKT_S3_S3_PS1_ii.kd
    .uniform_work_group_size: 1
    .uses_dynamic_stack: false
    .vgpr_count:     96
    .vgpr_spill_count: 0
    .wavefront_size: 64
  - .agpr_count:     0
    .args:
      - .offset:         0
        .size:           4
        .value_kind:     by_value
      - .offset:         4
        .size:           4
        .value_kind:     by_value
      - .offset:         8
        .size:           4
        .value_kind:     by_value
      - .offset:         12
        .size:           4
        .value_kind:     by_value
      - .offset:         16
        .size:           4
        .value_kind:     by_value
      - .offset:         20
        .size:           4
        .value_kind:     by_value
      - .address_space:  global
        .offset:         24
        .size:           8
        .value_kind:     global_buffer
      - .actual_access:  read_only
        .address_space:  global
        .offset:         32
        .size:           8
        .value_kind:     global_buffer
      - .actual_access:  read_only
        .address_space:  global
        .offset:         40
        .size:           8
        .value_kind:     global_buffer
      - .address_space:  global
        .offset:         48
        .size:           8
        .value_kind:     global_buffer
      - .offset:         56
        .size:           4
        .value_kind:     by_value
      - .offset:         60
        .size:           4
        .value_kind:     by_value
    .group_segment_fixed_size: 65536
    .kernarg_segment_align: 8
    .kernarg_segment_size: 64
    .language:       OpenCL C
    .language_version:
      - 2
      - 0
    .max_flat_workgroup_size: 512
    .name:           _Z16wvSplitK_hf_big_I6__halfLi32ELi4ELi16ELi8ELi2ELi3EEviiiiiiPKT_S3_S3_PS1_ii
    .private_segment_fixed_size: 0
    .sgpr_count:     58
    .sgpr_spill_count: 0
    .symbol:         _Z16wvSplitK_hf_big_I6__halfLi32ELi4ELi16ELi8ELi2ELi3EEviiiiiiPKT_S3_S3_PS1_ii.kd
    .uniform_work_group_size: 1
    .uses_dynamic_stack: false
    .vgpr_count:     92
    .vgpr_spill_count: 0
    .wavefront_size: 64
  - .agpr_count:     0
    .args:
      - .offset:         0
        .size:           4
        .value_kind:     by_value
      - .offset:         4
        .size:           4
        .value_kind:     by_value
      - .offset:         8
        .size:           4
        .value_kind:     by_value
      - .offset:         12
        .size:           4
        .value_kind:     by_value
      - .offset:         16
        .size:           4
        .value_kind:     by_value
      - .offset:         20
        .size:           4
        .value_kind:     by_value
      - .address_space:  global
        .offset:         24
        .size:           8
        .value_kind:     global_buffer
      - .actual_access:  read_only
        .address_space:  global
        .offset:         32
        .size:           8
        .value_kind:     global_buffer
      - .actual_access:  read_only
        .address_space:  global
        .offset:         40
        .size:           8
        .value_kind:     global_buffer
      - .address_space:  global
        .offset:         48
        .size:           8
        .value_kind:     global_buffer
      - .offset:         56
        .size:           4
        .value_kind:     by_value
      - .offset:         60
        .size:           4
        .value_kind:     by_value
    .group_segment_fixed_size: 65536
    .kernarg_segment_align: 8
    .kernarg_segment_size: 64
    .language:       OpenCL C
    .language_version:
      - 2
      - 0
    .max_flat_workgroup_size: 1024
    .name:           _Z16wvSplitK_hf_sml_I6__halfLi64ELi1ELi16ELi8ELi4ELi3EEviiiiiiPKT_S3_S3_PS1_ii
    .private_segment_fixed_size: 0
    .sgpr_count:     41
    .sgpr_spill_count: 0
    .symbol:         _Z16wvSplitK_hf_sml_I6__halfLi64ELi1ELi16ELi8ELi4ELi3EEviiiiiiPKT_S3_S3_PS1_ii.kd
    .uniform_work_group_size: 1
    .uses_dynamic_stack: false
    .vgpr_count:     80
    .vgpr_spill_count: 0
    .wavefront_size: 64
  - .agpr_count:     0
    .args:
      - .offset:         0
        .size:           4
        .value_kind:     by_value
      - .offset:         4
        .size:           4
        .value_kind:     by_value
      - .offset:         8
        .size:           4
        .value_kind:     by_value
      - .offset:         12
        .size:           4
        .value_kind:     by_value
      - .offset:         16
        .size:           4
        .value_kind:     by_value
      - .offset:         20
        .size:           4
        .value_kind:     by_value
      - .address_space:  global
        .offset:         24
        .size:           8
        .value_kind:     global_buffer
      - .actual_access:  read_only
        .address_space:  global
        .offset:         32
        .size:           8
        .value_kind:     global_buffer
      - .actual_access:  read_only
        .address_space:  global
        .offset:         40
        .size:           8
        .value_kind:     global_buffer
      - .address_space:  global
        .offset:         48
        .size:           8
        .value_kind:     global_buffer
      - .offset:         56
        .size:           4
        .value_kind:     by_value
      - .offset:         60
        .size:           4
        .value_kind:     by_value
    .group_segment_fixed_size: 65536
    .kernarg_segment_align: 8
    .kernarg_segment_size: 64
    .language:       OpenCL C
    .language_version:
      - 2
      - 0
    .max_flat_workgroup_size: 1024
    .name:           _Z12wvSplitK_hf_I6__halfLi64ELi1ELi16ELi8ELi4ELi3EEviiiiiiPKT_S3_S3_PS1_ii
    .private_segment_fixed_size: 0
    .sgpr_count:     49
    .sgpr_spill_count: 0
    .symbol:         _Z12wvSplitK_hf_I6__halfLi64ELi1ELi16ELi8ELi4ELi3EEviiiiiiPKT_S3_S3_PS1_ii.kd
    .uniform_work_group_size: 1
    .uses_dynamic_stack: false
    .vgpr_count:     89
    .vgpr_spill_count: 0
    .wavefront_size: 64
  - .agpr_count:     0
    .args:
      - .offset:         0
        .size:           4
        .value_kind:     by_value
      - .offset:         4
        .size:           4
        .value_kind:     by_value
      - .offset:         8
        .size:           4
        .value_kind:     by_value
      - .offset:         12
        .size:           4
        .value_kind:     by_value
      - .offset:         16
        .size:           4
        .value_kind:     by_value
      - .offset:         20
        .size:           4
        .value_kind:     by_value
      - .address_space:  global
        .offset:         24
        .size:           8
        .value_kind:     global_buffer
      - .actual_access:  read_only
        .address_space:  global
        .offset:         32
        .size:           8
        .value_kind:     global_buffer
      - .actual_access:  read_only
        .address_space:  global
        .offset:         40
        .size:           8
        .value_kind:     global_buffer
      - .address_space:  global
        .offset:         48
        .size:           8
        .value_kind:     global_buffer
      - .offset:         56
        .size:           4
        .value_kind:     by_value
      - .offset:         60
        .size:           4
        .value_kind:     by_value
    .group_segment_fixed_size: 65536
    .kernarg_segment_align: 8
    .kernarg_segment_size: 64
    .language:       OpenCL C
    .language_version:
      - 2
      - 0
    .max_flat_workgroup_size: 1024
    .name:           _Z16wvSplitK_hf_big_I6__halfLi64ELi1ELi16ELi8ELi4ELi3EEviiiiiiPKT_S3_S3_PS1_ii
    .private_segment_fixed_size: 0
    .sgpr_count:     56
    .sgpr_spill_count: 0
    .symbol:         _Z16wvSplitK_hf_big_I6__halfLi64ELi1ELi16ELi8ELi4ELi3EEviiiiiiPKT_S3_S3_PS1_ii.kd
    .uniform_work_group_size: 1
    .uses_dynamic_stack: false
    .vgpr_count:     84
    .vgpr_spill_count: 0
    .wavefront_size: 64
  - .agpr_count:     0
    .args:
      - .offset:         0
        .size:           4
        .value_kind:     by_value
      - .offset:         4
        .size:           4
        .value_kind:     by_value
      - .offset:         8
        .size:           4
        .value_kind:     by_value
      - .offset:         12
        .size:           4
        .value_kind:     by_value
      - .offset:         16
        .size:           4
        .value_kind:     by_value
      - .offset:         20
        .size:           4
        .value_kind:     by_value
      - .address_space:  global
        .offset:         24
        .size:           8
        .value_kind:     global_buffer
      - .actual_access:  read_only
        .address_space:  global
        .offset:         32
        .size:           8
        .value_kind:     global_buffer
      - .actual_access:  read_only
        .address_space:  global
        .offset:         40
        .size:           8
        .value_kind:     global_buffer
      - .address_space:  global
        .offset:         48
        .size:           8
        .value_kind:     global_buffer
      - .offset:         56
        .size:           4
        .value_kind:     by_value
      - .offset:         60
        .size:           4
        .value_kind:     by_value
    .group_segment_fixed_size: 65536
    .kernarg_segment_align: 8
    .kernarg_segment_size: 64
    .language:       OpenCL C
    .language_version:
      - 2
      - 0
    .max_flat_workgroup_size: 1024
    .name:           _Z16wvSplitK_hf_sml_I6__halfLi64ELi2ELi16ELi8ELi2ELi3EEviiiiiiPKT_S3_S3_PS1_ii
    .private_segment_fixed_size: 0
    .sgpr_count:     36
    .sgpr_spill_count: 0
    .symbol:         _Z16wvSplitK_hf_sml_I6__halfLi64ELi2ELi16ELi8ELi2ELi3EEviiiiiiPKT_S3_S3_PS1_ii.kd
    .uniform_work_group_size: 1
    .uses_dynamic_stack: false
    .vgpr_count:     59
    .vgpr_spill_count: 0
    .wavefront_size: 64
  - .agpr_count:     0
    .args:
      - .offset:         0
        .size:           4
        .value_kind:     by_value
      - .offset:         4
        .size:           4
        .value_kind:     by_value
      - .offset:         8
        .size:           4
        .value_kind:     by_value
      - .offset:         12
        .size:           4
        .value_kind:     by_value
      - .offset:         16
        .size:           4
        .value_kind:     by_value
      - .offset:         20
        .size:           4
        .value_kind:     by_value
      - .address_space:  global
        .offset:         24
        .size:           8
        .value_kind:     global_buffer
      - .actual_access:  read_only
        .address_space:  global
        .offset:         32
        .size:           8
        .value_kind:     global_buffer
      - .actual_access:  read_only
        .address_space:  global
        .offset:         40
        .size:           8
        .value_kind:     global_buffer
      - .address_space:  global
        .offset:         48
        .size:           8
        .value_kind:     global_buffer
      - .offset:         56
        .size:           4
        .value_kind:     by_value
      - .offset:         60
        .size:           4
        .value_kind:     by_value
    .group_segment_fixed_size: 65536
    .kernarg_segment_align: 8
    .kernarg_segment_size: 64
    .language:       OpenCL C
    .language_version:
      - 2
      - 0
    .max_flat_workgroup_size: 1024
    .name:           _Z12wvSplitK_hf_I6__halfLi64ELi2ELi16ELi8ELi2ELi3EEviiiiiiPKT_S3_S3_PS1_ii
    .private_segment_fixed_size: 0
    .sgpr_count:     48
    .sgpr_spill_count: 0
    .symbol:         _Z12wvSplitK_hf_I6__halfLi64ELi2ELi16ELi8ELi2ELi3EEviiiiiiPKT_S3_S3_PS1_ii.kd
    .uniform_work_group_size: 1
    .uses_dynamic_stack: false
    .vgpr_count:     66
    .vgpr_spill_count: 0
    .wavefront_size: 64
  - .agpr_count:     0
    .args:
      - .offset:         0
        .size:           4
        .value_kind:     by_value
      - .offset:         4
        .size:           4
        .value_kind:     by_value
      - .offset:         8
        .size:           4
        .value_kind:     by_value
      - .offset:         12
        .size:           4
        .value_kind:     by_value
      - .offset:         16
        .size:           4
        .value_kind:     by_value
      - .offset:         20
        .size:           4
        .value_kind:     by_value
      - .address_space:  global
        .offset:         24
        .size:           8
        .value_kind:     global_buffer
      - .actual_access:  read_only
        .address_space:  global
        .offset:         32
        .size:           8
        .value_kind:     global_buffer
      - .actual_access:  read_only
        .address_space:  global
        .offset:         40
        .size:           8
        .value_kind:     global_buffer
      - .address_space:  global
        .offset:         48
        .size:           8
        .value_kind:     global_buffer
      - .offset:         56
        .size:           4
        .value_kind:     by_value
      - .offset:         60
        .size:           4
        .value_kind:     by_value
    .group_segment_fixed_size: 65536
    .kernarg_segment_align: 8
    .kernarg_segment_size: 64
    .language:       OpenCL C
    .language_version:
      - 2
      - 0
    .max_flat_workgroup_size: 1024
    .name:           _Z16wvSplitK_hf_big_I6__halfLi64ELi2ELi16ELi8ELi2ELi3EEviiiiiiPKT_S3_S3_PS1_ii
    .private_segment_fixed_size: 0
    .sgpr_count:     58
    .sgpr_spill_count: 0
    .symbol:         _Z16wvSplitK_hf_big_I6__halfLi64ELi2ELi16ELi8ELi2ELi3EEviiiiiiPKT_S3_S3_PS1_ii.kd
    .uniform_work_group_size: 1
    .uses_dynamic_stack: false
    .vgpr_count:     64
    .vgpr_spill_count: 0
    .wavefront_size: 64
  - .agpr_count:     0
    .args:
      - .offset:         0
        .size:           4
        .value_kind:     by_value
      - .offset:         4
        .size:           4
        .value_kind:     by_value
      - .offset:         8
        .size:           4
        .value_kind:     by_value
      - .offset:         12
        .size:           4
        .value_kind:     by_value
      - .offset:         16
        .size:           4
        .value_kind:     by_value
      - .offset:         20
        .size:           4
        .value_kind:     by_value
      - .address_space:  global
        .offset:         24
        .size:           8
        .value_kind:     global_buffer
      - .actual_access:  read_only
        .address_space:  global
        .offset:         32
        .size:           8
        .value_kind:     global_buffer
      - .actual_access:  read_only
        .address_space:  global
        .offset:         40
        .size:           8
        .value_kind:     global_buffer
      - .address_space:  global
        .offset:         48
        .size:           8
        .value_kind:     global_buffer
      - .offset:         56
        .size:           4
        .value_kind:     by_value
      - .offset:         60
        .size:           4
        .value_kind:     by_value
    .group_segment_fixed_size: 65536
    .kernarg_segment_align: 8
    .kernarg_segment_size: 64
    .language:       OpenCL C
    .language_version:
      - 2
      - 0
    .max_flat_workgroup_size: 1024
    .name:           _Z16wvSplitK_hf_sml_I6__halfLi64ELi3ELi16ELi8ELi2ELi3EEviiiiiiPKT_S3_S3_PS1_ii
    .private_segment_fixed_size: 0
    .sgpr_count:     36
    .sgpr_spill_count: 0
    .symbol:         _Z16wvSplitK_hf_sml_I6__halfLi64ELi3ELi16ELi8ELi2ELi3EEviiiiiiPKT_S3_S3_PS1_ii.kd
    .uniform_work_group_size: 1
    .uses_dynamic_stack: false
    .vgpr_count:     74
    .vgpr_spill_count: 0
    .wavefront_size: 64
  - .agpr_count:     0
    .args:
      - .offset:         0
        .size:           4
        .value_kind:     by_value
      - .offset:         4
        .size:           4
        .value_kind:     by_value
      - .offset:         8
        .size:           4
        .value_kind:     by_value
      - .offset:         12
        .size:           4
        .value_kind:     by_value
      - .offset:         16
        .size:           4
        .value_kind:     by_value
      - .offset:         20
        .size:           4
        .value_kind:     by_value
      - .address_space:  global
        .offset:         24
        .size:           8
        .value_kind:     global_buffer
      - .actual_access:  read_only
        .address_space:  global
        .offset:         32
        .size:           8
        .value_kind:     global_buffer
      - .actual_access:  read_only
        .address_space:  global
        .offset:         40
        .size:           8
        .value_kind:     global_buffer
      - .address_space:  global
        .offset:         48
        .size:           8
        .value_kind:     global_buffer
      - .offset:         56
        .size:           4
        .value_kind:     by_value
      - .offset:         60
        .size:           4
        .value_kind:     by_value
    .group_segment_fixed_size: 65536
    .kernarg_segment_align: 8
    .kernarg_segment_size: 64
    .language:       OpenCL C
    .language_version:
      - 2
      - 0
    .max_flat_workgroup_size: 1024
    .name:           _Z12wvSplitK_hf_I6__halfLi64ELi3ELi16ELi8ELi2ELi3EEviiiiiiPKT_S3_S3_PS1_ii
    .private_segment_fixed_size: 0
    .sgpr_count:     48
    .sgpr_spill_count: 0
    .symbol:         _Z12wvSplitK_hf_I6__halfLi64ELi3ELi16ELi8ELi2ELi3EEviiiiiiPKT_S3_S3_PS1_ii.kd
    .uniform_work_group_size: 1
    .uses_dynamic_stack: false
    .vgpr_count:     81
    .vgpr_spill_count: 0
    .wavefront_size: 64
  - .agpr_count:     0
    .args:
      - .offset:         0
        .size:           4
        .value_kind:     by_value
      - .offset:         4
        .size:           4
        .value_kind:     by_value
      - .offset:         8
        .size:           4
        .value_kind:     by_value
      - .offset:         12
        .size:           4
        .value_kind:     by_value
      - .offset:         16
        .size:           4
        .value_kind:     by_value
      - .offset:         20
        .size:           4
        .value_kind:     by_value
      - .address_space:  global
        .offset:         24
        .size:           8
        .value_kind:     global_buffer
      - .actual_access:  read_only
        .address_space:  global
        .offset:         32
        .size:           8
        .value_kind:     global_buffer
      - .actual_access:  read_only
        .address_space:  global
        .offset:         40
        .size:           8
        .value_kind:     global_buffer
      - .address_space:  global
        .offset:         48
        .size:           8
        .value_kind:     global_buffer
      - .offset:         56
        .size:           4
        .value_kind:     by_value
      - .offset:         60
        .size:           4
        .value_kind:     by_value
    .group_segment_fixed_size: 65536
    .kernarg_segment_align: 8
    .kernarg_segment_size: 64
    .language:       OpenCL C
    .language_version:
      - 2
      - 0
    .max_flat_workgroup_size: 1024
    .name:           _Z16wvSplitK_hf_big_I6__halfLi64ELi3ELi16ELi8ELi2ELi3EEviiiiiiPKT_S3_S3_PS1_ii
    .private_segment_fixed_size: 0
    .sgpr_count:     58
    .sgpr_spill_count: 0
    .symbol:         _Z16wvSplitK_hf_big_I6__halfLi64ELi3ELi16ELi8ELi2ELi3EEviiiiiiPKT_S3_S3_PS1_ii.kd
    .uniform_work_group_size: 1
    .uses_dynamic_stack: false
    .vgpr_count:     78
    .vgpr_spill_count: 0
    .wavefront_size: 64
  - .agpr_count:     0
    .args:
      - .offset:         0
        .size:           4
        .value_kind:     by_value
      - .offset:         4
        .size:           4
        .value_kind:     by_value
      - .offset:         8
        .size:           4
        .value_kind:     by_value
      - .offset:         12
        .size:           4
        .value_kind:     by_value
      - .offset:         16
        .size:           4
        .value_kind:     by_value
      - .offset:         20
        .size:           4
        .value_kind:     by_value
      - .address_space:  global
        .offset:         24
        .size:           8
        .value_kind:     global_buffer
      - .actual_access:  read_only
        .address_space:  global
        .offset:         32
        .size:           8
        .value_kind:     global_buffer
      - .actual_access:  read_only
        .address_space:  global
        .offset:         40
        .size:           8
        .value_kind:     global_buffer
      - .address_space:  global
        .offset:         48
        .size:           8
        .value_kind:     global_buffer
      - .offset:         56
        .size:           4
        .value_kind:     by_value
      - .offset:         60
        .size:           4
        .value_kind:     by_value
    .group_segment_fixed_size: 65536
    .kernarg_segment_align: 8
    .kernarg_segment_size: 64
    .language:       OpenCL C
    .language_version:
      - 2
      - 0
    .max_flat_workgroup_size: 1024
    .name:           _Z16wvSplitK_hf_sml_I6__halfLi64ELi4ELi16ELi8ELi1ELi3EEviiiiiiPKT_S3_S3_PS1_ii
    .private_segment_fixed_size: 0
    .sgpr_count:     35
    .sgpr_spill_count: 0
    .symbol:         _Z16wvSplitK_hf_sml_I6__halfLi64ELi4ELi16ELi8ELi1ELi3EEviiiiiiPKT_S3_S3_PS1_ii.kd
    .uniform_work_group_size: 1
    .uses_dynamic_stack: false
    .vgpr_count:     60
    .vgpr_spill_count: 0
    .wavefront_size: 64
  - .agpr_count:     0
    .args:
      - .offset:         0
        .size:           4
        .value_kind:     by_value
      - .offset:         4
        .size:           4
        .value_kind:     by_value
      - .offset:         8
        .size:           4
        .value_kind:     by_value
      - .offset:         12
        .size:           4
        .value_kind:     by_value
      - .offset:         16
        .size:           4
        .value_kind:     by_value
      - .offset:         20
        .size:           4
        .value_kind:     by_value
      - .address_space:  global
        .offset:         24
        .size:           8
        .value_kind:     global_buffer
      - .actual_access:  read_only
        .address_space:  global
        .offset:         32
        .size:           8
        .value_kind:     global_buffer
      - .actual_access:  read_only
        .address_space:  global
        .offset:         40
        .size:           8
        .value_kind:     global_buffer
      - .address_space:  global
        .offset:         48
        .size:           8
        .value_kind:     global_buffer
      - .offset:         56
        .size:           4
        .value_kind:     by_value
      - .offset:         60
        .size:           4
        .value_kind:     by_value
    .group_segment_fixed_size: 65536
    .kernarg_segment_align: 8
    .kernarg_segment_size: 64
    .language:       OpenCL C
    .language_version:
      - 2
      - 0
    .max_flat_workgroup_size: 1024
    .name:           _Z12wvSplitK_hf_I6__halfLi64ELi4ELi16ELi8ELi1ELi3EEviiiiiiPKT_S3_S3_PS1_ii
    .private_segment_fixed_size: 0
    .sgpr_count:     48
    .sgpr_spill_count: 0
    .symbol:         _Z12wvSplitK_hf_I6__halfLi64ELi4ELi16ELi8ELi1ELi3EEviiiiiiPKT_S3_S3_PS1_ii.kd
    .uniform_work_group_size: 1
    .uses_dynamic_stack: false
    .vgpr_count:     68
    .vgpr_spill_count: 0
    .wavefront_size: 64
  - .agpr_count:     0
    .args:
      - .offset:         0
        .size:           4
        .value_kind:     by_value
      - .offset:         4
        .size:           4
        .value_kind:     by_value
      - .offset:         8
        .size:           4
        .value_kind:     by_value
      - .offset:         12
        .size:           4
        .value_kind:     by_value
      - .offset:         16
        .size:           4
        .value_kind:     by_value
      - .offset:         20
        .size:           4
        .value_kind:     by_value
      - .address_space:  global
        .offset:         24
        .size:           8
        .value_kind:     global_buffer
      - .actual_access:  read_only
        .address_space:  global
        .offset:         32
        .size:           8
        .value_kind:     global_buffer
      - .actual_access:  read_only
        .address_space:  global
        .offset:         40
        .size:           8
        .value_kind:     global_buffer
      - .address_space:  global
        .offset:         48
        .size:           8
        .value_kind:     global_buffer
      - .offset:         56
        .size:           4
        .value_kind:     by_value
      - .offset:         60
        .size:           4
        .value_kind:     by_value
    .group_segment_fixed_size: 65536
    .kernarg_segment_align: 8
    .kernarg_segment_size: 64
    .language:       OpenCL C
    .language_version:
      - 2
      - 0
    .max_flat_workgroup_size: 1024
    .name:           _Z16wvSplitK_hf_big_I6__halfLi64ELi4ELi16ELi8ELi1ELi3EEviiiiiiPKT_S3_S3_PS1_ii
    .private_segment_fixed_size: 0
    .sgpr_count:     58
    .sgpr_spill_count: 0
    .symbol:         _Z16wvSplitK_hf_big_I6__halfLi64ELi4ELi16ELi8ELi1ELi3EEviiiiiiPKT_S3_S3_PS1_ii.kd
    .uniform_work_group_size: 1
    .uses_dynamic_stack: false
    .vgpr_count:     68
    .vgpr_spill_count: 0
    .wavefront_size: 64
  - .agpr_count:     0
    .args:
      - .offset:         0
        .size:           4
        .value_kind:     by_value
      - .offset:         4
        .size:           4
        .value_kind:     by_value
      - .offset:         8
        .size:           4
        .value_kind:     by_value
      - .offset:         12
        .size:           4
        .value_kind:     by_value
      - .offset:         16
        .size:           4
        .value_kind:     by_value
      - .offset:         20
        .size:           4
        .value_kind:     by_value
      - .address_space:  global
        .offset:         24
        .size:           8
        .value_kind:     global_buffer
      - .actual_access:  read_only
        .address_space:  global
        .offset:         32
        .size:           8
        .value_kind:     global_buffer
      - .actual_access:  read_only
        .address_space:  global
        .offset:         40
        .size:           8
        .value_kind:     global_buffer
      - .address_space:  global
        .offset:         48
        .size:           8
        .value_kind:     global_buffer
      - .offset:         56
        .size:           4
        .value_kind:     by_value
      - .offset:         60
        .size:           4
        .value_kind:     by_value
    .group_segment_fixed_size: 65536
    .kernarg_segment_align: 8
    .kernarg_segment_size: 64
    .language:       OpenCL C
    .language_version:
      - 2
      - 0
    .max_flat_workgroup_size: 1024
    .name:           _Z16wvSplitK_hf_sml_I6__halfLi64ELi4ELi16ELi8ELi2ELi3EEviiiiiiPKT_S3_S3_PS1_ii
    .private_segment_fixed_size: 0
    .sgpr_count:     36
    .sgpr_spill_count: 0
    .symbol:         _Z16wvSplitK_hf_sml_I6__halfLi64ELi4ELi16ELi8ELi2ELi3EEviiiiiiPKT_S3_S3_PS1_ii.kd
    .uniform_work_group_size: 1
    .uses_dynamic_stack: false
    .vgpr_count:     85
    .vgpr_spill_count: 0
    .wavefront_size: 64
  - .agpr_count:     0
    .args:
      - .offset:         0
        .size:           4
        .value_kind:     by_value
      - .offset:         4
        .size:           4
        .value_kind:     by_value
      - .offset:         8
        .size:           4
        .value_kind:     by_value
      - .offset:         12
        .size:           4
        .value_kind:     by_value
      - .offset:         16
        .size:           4
        .value_kind:     by_value
      - .offset:         20
        .size:           4
        .value_kind:     by_value
      - .address_space:  global
        .offset:         24
        .size:           8
        .value_kind:     global_buffer
      - .actual_access:  read_only
        .address_space:  global
        .offset:         32
        .size:           8
        .value_kind:     global_buffer
      - .actual_access:  read_only
        .address_space:  global
        .offset:         40
        .size:           8
        .value_kind:     global_buffer
      - .address_space:  global
        .offset:         48
        .size:           8
        .value_kind:     global_buffer
      - .offset:         56
        .size:           4
        .value_kind:     by_value
      - .offset:         60
        .size:           4
        .value_kind:     by_value
    .group_segment_fixed_size: 65536
    .kernarg_segment_align: 8
    .kernarg_segment_size: 64
    .language:       OpenCL C
    .language_version:
      - 2
      - 0
    .max_flat_workgroup_size: 1024
    .name:           _Z12wvSplitK_hf_I6__halfLi64ELi4ELi16ELi8ELi2ELi3EEviiiiiiPKT_S3_S3_PS1_ii
    .private_segment_fixed_size: 0
    .sgpr_count:     48
    .sgpr_spill_count: 0
    .symbol:         _Z12wvSplitK_hf_I6__halfLi64ELi4ELi16ELi8ELi2ELi3EEviiiiiiPKT_S3_S3_PS1_ii.kd
    .uniform_work_group_size: 1
    .uses_dynamic_stack: false
    .vgpr_count:     96
    .vgpr_spill_count: 0
    .wavefront_size: 64
  - .agpr_count:     0
    .args:
      - .offset:         0
        .size:           4
        .value_kind:     by_value
      - .offset:         4
        .size:           4
        .value_kind:     by_value
      - .offset:         8
        .size:           4
        .value_kind:     by_value
      - .offset:         12
        .size:           4
        .value_kind:     by_value
      - .offset:         16
        .size:           4
        .value_kind:     by_value
      - .offset:         20
        .size:           4
        .value_kind:     by_value
      - .address_space:  global
        .offset:         24
        .size:           8
        .value_kind:     global_buffer
      - .actual_access:  read_only
        .address_space:  global
        .offset:         32
        .size:           8
        .value_kind:     global_buffer
      - .actual_access:  read_only
        .address_space:  global
        .offset:         40
        .size:           8
        .value_kind:     global_buffer
      - .address_space:  global
        .offset:         48
        .size:           8
        .value_kind:     global_buffer
      - .offset:         56
        .size:           4
        .value_kind:     by_value
      - .offset:         60
        .size:           4
        .value_kind:     by_value
    .group_segment_fixed_size: 65536
    .kernarg_segment_align: 8
    .kernarg_segment_size: 64
    .language:       OpenCL C
    .language_version:
      - 2
      - 0
    .max_flat_workgroup_size: 1024
    .name:           _Z16wvSplitK_hf_big_I6__halfLi64ELi4ELi16ELi8ELi2ELi3EEviiiiiiPKT_S3_S3_PS1_ii
    .private_segment_fixed_size: 0
    .sgpr_count:     58
    .sgpr_spill_count: 0
    .symbol:         _Z16wvSplitK_hf_big_I6__halfLi64ELi4ELi16ELi8ELi2ELi3EEviiiiiiPKT_S3_S3_PS1_ii.kd
    .uniform_work_group_size: 1
    .uses_dynamic_stack: false
    .vgpr_count:     92
    .vgpr_spill_count: 0
    .wavefront_size: 64
  - .agpr_count:     0
    .args:
      - .offset:         0
        .size:           4
        .value_kind:     by_value
      - .offset:         4
        .size:           4
        .value_kind:     by_value
      - .offset:         8
        .size:           4
        .value_kind:     by_value
      - .offset:         12
        .size:           4
        .value_kind:     by_value
      - .offset:         16
        .size:           4
        .value_kind:     by_value
      - .offset:         20
        .size:           4
        .value_kind:     by_value
      - .address_space:  global
        .offset:         24
        .size:           8
        .value_kind:     global_buffer
      - .actual_access:  read_only
        .address_space:  global
        .offset:         32
        .size:           8
        .value_kind:     global_buffer
      - .actual_access:  read_only
        .address_space:  global
        .offset:         40
        .size:           8
        .value_kind:     global_buffer
      - .address_space:  global
        .offset:         48
        .size:           8
        .value_kind:     global_buffer
      - .offset:         56
        .size:           4
        .value_kind:     by_value
      - .offset:         60
        .size:           4
        .value_kind:     by_value
    .group_segment_fixed_size: 65536
    .kernarg_segment_align: 8
    .kernarg_segment_size: 64
    .language:       OpenCL C
    .language_version:
      - 2
      - 0
    .max_flat_workgroup_size: 512
    .name:           _Z16wvSplitK_hf_sml_I6__halfLi32ELi1ELi16ELi8ELi4ELi4EEviiiiiiPKT_S3_S3_PS1_ii
    .private_segment_fixed_size: 0
    .sgpr_count:     43
    .sgpr_spill_count: 0
    .symbol:         _Z16wvSplitK_hf_sml_I6__halfLi32ELi1ELi16ELi8ELi4ELi4EEviiiiiiPKT_S3_S3_PS1_ii.kd
    .uniform_work_group_size: 1
    .uses_dynamic_stack: false
    .vgpr_count:     98
    .vgpr_spill_count: 0
    .wavefront_size: 64
  - .agpr_count:     0
    .args:
      - .offset:         0
        .size:           4
        .value_kind:     by_value
      - .offset:         4
        .size:           4
        .value_kind:     by_value
      - .offset:         8
        .size:           4
        .value_kind:     by_value
      - .offset:         12
        .size:           4
        .value_kind:     by_value
      - .offset:         16
        .size:           4
        .value_kind:     by_value
      - .offset:         20
        .size:           4
        .value_kind:     by_value
      - .address_space:  global
        .offset:         24
        .size:           8
        .value_kind:     global_buffer
      - .actual_access:  read_only
        .address_space:  global
        .offset:         32
        .size:           8
        .value_kind:     global_buffer
      - .actual_access:  read_only
        .address_space:  global
        .offset:         40
        .size:           8
        .value_kind:     global_buffer
      - .address_space:  global
        .offset:         48
        .size:           8
        .value_kind:     global_buffer
      - .offset:         56
        .size:           4
        .value_kind:     by_value
      - .offset:         60
        .size:           4
        .value_kind:     by_value
    .group_segment_fixed_size: 65536
    .kernarg_segment_align: 8
    .kernarg_segment_size: 64
    .language:       OpenCL C
    .language_version:
      - 2
      - 0
    .max_flat_workgroup_size: 512
    .name:           _Z12wvSplitK_hf_I6__halfLi32ELi1ELi16ELi8ELi4ELi4EEviiiiiiPKT_S3_S3_PS1_ii
    .private_segment_fixed_size: 0
    .sgpr_count:     51
    .sgpr_spill_count: 0
    .symbol:         _Z12wvSplitK_hf_I6__halfLi32ELi1ELi16ELi8ELi4ELi4EEviiiiiiPKT_S3_S3_PS1_ii.kd
    .uniform_work_group_size: 1
    .uses_dynamic_stack: false
    .vgpr_count:     107
    .vgpr_spill_count: 0
    .wavefront_size: 64
  - .agpr_count:     0
    .args:
      - .offset:         0
        .size:           4
        .value_kind:     by_value
      - .offset:         4
        .size:           4
        .value_kind:     by_value
      - .offset:         8
        .size:           4
        .value_kind:     by_value
      - .offset:         12
        .size:           4
        .value_kind:     by_value
      - .offset:         16
        .size:           4
        .value_kind:     by_value
      - .offset:         20
        .size:           4
        .value_kind:     by_value
      - .address_space:  global
        .offset:         24
        .size:           8
        .value_kind:     global_buffer
      - .actual_access:  read_only
        .address_space:  global
        .offset:         32
        .size:           8
        .value_kind:     global_buffer
      - .actual_access:  read_only
        .address_space:  global
        .offset:         40
        .size:           8
        .value_kind:     global_buffer
      - .address_space:  global
        .offset:         48
        .size:           8
        .value_kind:     global_buffer
      - .offset:         56
        .size:           4
        .value_kind:     by_value
      - .offset:         60
        .size:           4
        .value_kind:     by_value
    .group_segment_fixed_size: 65536
    .kernarg_segment_align: 8
    .kernarg_segment_size: 64
    .language:       OpenCL C
    .language_version:
      - 2
      - 0
    .max_flat_workgroup_size: 512
    .name:           _Z16wvSplitK_hf_big_I6__halfLi32ELi1ELi16ELi8ELi4ELi4EEviiiiiiPKT_S3_S3_PS1_ii
    .private_segment_fixed_size: 0
    .sgpr_count:     58
    .sgpr_spill_count: 0
    .symbol:         _Z16wvSplitK_hf_big_I6__halfLi32ELi1ELi16ELi8ELi4ELi4EEviiiiiiPKT_S3_S3_PS1_ii.kd
    .uniform_work_group_size: 1
    .uses_dynamic_stack: false
    .vgpr_count:     103
    .vgpr_spill_count: 0
    .wavefront_size: 64
  - .agpr_count:     0
    .args:
      - .offset:         0
        .size:           4
        .value_kind:     by_value
      - .offset:         4
        .size:           4
        .value_kind:     by_value
      - .offset:         8
        .size:           4
        .value_kind:     by_value
      - .offset:         12
        .size:           4
        .value_kind:     by_value
      - .offset:         16
        .size:           4
        .value_kind:     by_value
      - .offset:         20
        .size:           4
        .value_kind:     by_value
      - .address_space:  global
        .offset:         24
        .size:           8
        .value_kind:     global_buffer
      - .actual_access:  read_only
        .address_space:  global
        .offset:         32
        .size:           8
        .value_kind:     global_buffer
      - .actual_access:  read_only
        .address_space:  global
        .offset:         40
        .size:           8
        .value_kind:     global_buffer
      - .address_space:  global
        .offset:         48
        .size:           8
        .value_kind:     global_buffer
      - .offset:         56
        .size:           4
        .value_kind:     by_value
      - .offset:         60
        .size:           4
        .value_kind:     by_value
    .group_segment_fixed_size: 65536
    .kernarg_segment_align: 8
    .kernarg_segment_size: 64
    .language:       OpenCL C
    .language_version:
      - 2
      - 0
    .max_flat_workgroup_size: 512
    .name:           _Z16wvSplitK_hf_sml_I6__halfLi32ELi2ELi16ELi8ELi2ELi4EEviiiiiiPKT_S3_S3_PS1_ii
    .private_segment_fixed_size: 0
    .sgpr_count:     38
    .sgpr_spill_count: 0
    .symbol:         _Z16wvSplitK_hf_sml_I6__halfLi32ELi2ELi16ELi8ELi2ELi4EEviiiiiiPKT_S3_S3_PS1_ii.kd
    .uniform_work_group_size: 1
    .uses_dynamic_stack: false
    .vgpr_count:     70
    .vgpr_spill_count: 0
    .wavefront_size: 64
  - .agpr_count:     0
    .args:
      - .offset:         0
        .size:           4
        .value_kind:     by_value
      - .offset:         4
        .size:           4
        .value_kind:     by_value
      - .offset:         8
        .size:           4
        .value_kind:     by_value
      - .offset:         12
        .size:           4
        .value_kind:     by_value
      - .offset:         16
        .size:           4
        .value_kind:     by_value
      - .offset:         20
        .size:           4
        .value_kind:     by_value
      - .address_space:  global
        .offset:         24
        .size:           8
        .value_kind:     global_buffer
      - .actual_access:  read_only
        .address_space:  global
        .offset:         32
        .size:           8
        .value_kind:     global_buffer
      - .actual_access:  read_only
        .address_space:  global
        .offset:         40
        .size:           8
        .value_kind:     global_buffer
      - .address_space:  global
        .offset:         48
        .size:           8
        .value_kind:     global_buffer
      - .offset:         56
        .size:           4
        .value_kind:     by_value
      - .offset:         60
        .size:           4
        .value_kind:     by_value
    .group_segment_fixed_size: 65536
    .kernarg_segment_align: 8
    .kernarg_segment_size: 64
    .language:       OpenCL C
    .language_version:
      - 2
      - 0
    .max_flat_workgroup_size: 512
    .name:           _Z12wvSplitK_hf_I6__halfLi32ELi2ELi16ELi8ELi2ELi4EEviiiiiiPKT_S3_S3_PS1_ii
    .private_segment_fixed_size: 0
    .sgpr_count:     50
    .sgpr_spill_count: 0
    .symbol:         _Z12wvSplitK_hf_I6__halfLi32ELi2ELi16ELi8ELi2ELi4EEviiiiiiPKT_S3_S3_PS1_ii.kd
    .uniform_work_group_size: 1
    .uses_dynamic_stack: false
    .vgpr_count:     79
    .vgpr_spill_count: 0
    .wavefront_size: 64
  - .agpr_count:     0
    .args:
      - .offset:         0
        .size:           4
        .value_kind:     by_value
      - .offset:         4
        .size:           4
        .value_kind:     by_value
      - .offset:         8
        .size:           4
        .value_kind:     by_value
      - .offset:         12
        .size:           4
        .value_kind:     by_value
      - .offset:         16
        .size:           4
        .value_kind:     by_value
      - .offset:         20
        .size:           4
        .value_kind:     by_value
      - .address_space:  global
        .offset:         24
        .size:           8
        .value_kind:     global_buffer
      - .actual_access:  read_only
        .address_space:  global
        .offset:         32
        .size:           8
        .value_kind:     global_buffer
      - .actual_access:  read_only
        .address_space:  global
        .offset:         40
        .size:           8
        .value_kind:     global_buffer
      - .address_space:  global
        .offset:         48
        .size:           8
        .value_kind:     global_buffer
      - .offset:         56
        .size:           4
        .value_kind:     by_value
      - .offset:         60
        .size:           4
        .value_kind:     by_value
    .group_segment_fixed_size: 65536
    .kernarg_segment_align: 8
    .kernarg_segment_size: 64
    .language:       OpenCL C
    .language_version:
      - 2
      - 0
    .max_flat_workgroup_size: 512
    .name:           _Z16wvSplitK_hf_big_I6__halfLi32ELi2ELi16ELi8ELi2ELi4EEviiiiiiPKT_S3_S3_PS1_ii
    .private_segment_fixed_size: 0
    .sgpr_count:     60
    .sgpr_spill_count: 0
    .symbol:         _Z16wvSplitK_hf_big_I6__halfLi32ELi2ELi16ELi8ELi2ELi4EEviiiiiiPKT_S3_S3_PS1_ii.kd
    .uniform_work_group_size: 1
    .uses_dynamic_stack: false
    .vgpr_count:     76
    .vgpr_spill_count: 0
    .wavefront_size: 64
  - .agpr_count:     0
    .args:
      - .offset:         0
        .size:           4
        .value_kind:     by_value
      - .offset:         4
        .size:           4
        .value_kind:     by_value
      - .offset:         8
        .size:           4
        .value_kind:     by_value
      - .offset:         12
        .size:           4
        .value_kind:     by_value
      - .offset:         16
        .size:           4
        .value_kind:     by_value
      - .offset:         20
        .size:           4
        .value_kind:     by_value
      - .address_space:  global
        .offset:         24
        .size:           8
        .value_kind:     global_buffer
      - .actual_access:  read_only
        .address_space:  global
        .offset:         32
        .size:           8
        .value_kind:     global_buffer
      - .actual_access:  read_only
        .address_space:  global
        .offset:         40
        .size:           8
        .value_kind:     global_buffer
      - .address_space:  global
        .offset:         48
        .size:           8
        .value_kind:     global_buffer
      - .offset:         56
        .size:           4
        .value_kind:     by_value
      - .offset:         60
        .size:           4
        .value_kind:     by_value
    .group_segment_fixed_size: 65536
    .kernarg_segment_align: 8
    .kernarg_segment_size: 64
    .language:       OpenCL C
    .language_version:
      - 2
      - 0
    .max_flat_workgroup_size: 512
    .name:           _Z16wvSplitK_hf_sml_I6__halfLi32ELi3ELi16ELi8ELi2ELi4EEviiiiiiPKT_S3_S3_PS1_ii
    .private_segment_fixed_size: 0
    .sgpr_count:     38
    .sgpr_spill_count: 0
    .symbol:         _Z16wvSplitK_hf_sml_I6__halfLi32ELi3ELi16ELi8ELi2ELi4EEviiiiiiPKT_S3_S3_PS1_ii.kd
    .uniform_work_group_size: 1
    .uses_dynamic_stack: false
    .vgpr_count:     86
    .vgpr_spill_count: 0
    .wavefront_size: 64
  - .agpr_count:     0
    .args:
      - .offset:         0
        .size:           4
        .value_kind:     by_value
      - .offset:         4
        .size:           4
        .value_kind:     by_value
      - .offset:         8
        .size:           4
        .value_kind:     by_value
      - .offset:         12
        .size:           4
        .value_kind:     by_value
      - .offset:         16
        .size:           4
        .value_kind:     by_value
      - .offset:         20
        .size:           4
        .value_kind:     by_value
      - .address_space:  global
        .offset:         24
        .size:           8
        .value_kind:     global_buffer
      - .actual_access:  read_only
        .address_space:  global
        .offset:         32
        .size:           8
        .value_kind:     global_buffer
      - .actual_access:  read_only
        .address_space:  global
        .offset:         40
        .size:           8
        .value_kind:     global_buffer
      - .address_space:  global
        .offset:         48
        .size:           8
        .value_kind:     global_buffer
      - .offset:         56
        .size:           4
        .value_kind:     by_value
      - .offset:         60
        .size:           4
        .value_kind:     by_value
    .group_segment_fixed_size: 65536
    .kernarg_segment_align: 8
    .kernarg_segment_size: 64
    .language:       OpenCL C
    .language_version:
      - 2
      - 0
    .max_flat_workgroup_size: 512
    .name:           _Z12wvSplitK_hf_I6__halfLi32ELi3ELi16ELi8ELi2ELi4EEviiiiiiPKT_S3_S3_PS1_ii
    .private_segment_fixed_size: 0
    .sgpr_count:     50
    .sgpr_spill_count: 0
    .symbol:         _Z12wvSplitK_hf_I6__halfLi32ELi3ELi16ELi8ELi2ELi4EEviiiiiiPKT_S3_S3_PS1_ii.kd
    .uniform_work_group_size: 1
    .uses_dynamic_stack: false
    .vgpr_count:     95
    .vgpr_spill_count: 0
    .wavefront_size: 64
  - .agpr_count:     0
    .args:
      - .offset:         0
        .size:           4
        .value_kind:     by_value
      - .offset:         4
        .size:           4
        .value_kind:     by_value
      - .offset:         8
        .size:           4
        .value_kind:     by_value
      - .offset:         12
        .size:           4
        .value_kind:     by_value
      - .offset:         16
        .size:           4
        .value_kind:     by_value
      - .offset:         20
        .size:           4
        .value_kind:     by_value
      - .address_space:  global
        .offset:         24
        .size:           8
        .value_kind:     global_buffer
      - .actual_access:  read_only
        .address_space:  global
        .offset:         32
        .size:           8
        .value_kind:     global_buffer
      - .actual_access:  read_only
        .address_space:  global
        .offset:         40
        .size:           8
        .value_kind:     global_buffer
      - .address_space:  global
        .offset:         48
        .size:           8
        .value_kind:     global_buffer
      - .offset:         56
        .size:           4
        .value_kind:     by_value
      - .offset:         60
        .size:           4
        .value_kind:     by_value
    .group_segment_fixed_size: 65536
    .kernarg_segment_align: 8
    .kernarg_segment_size: 64
    .language:       OpenCL C
    .language_version:
      - 2
      - 0
    .max_flat_workgroup_size: 512
    .name:           _Z16wvSplitK_hf_big_I6__halfLi32ELi3ELi16ELi8ELi2ELi4EEviiiiiiPKT_S3_S3_PS1_ii
    .private_segment_fixed_size: 0
    .sgpr_count:     60
    .sgpr_spill_count: 0
    .symbol:         _Z16wvSplitK_hf_big_I6__halfLi32ELi3ELi16ELi8ELi2ELi4EEviiiiiiPKT_S3_S3_PS1_ii.kd
    .uniform_work_group_size: 1
    .uses_dynamic_stack: false
    .vgpr_count:     91
    .vgpr_spill_count: 0
    .wavefront_size: 64
  - .agpr_count:     0
    .args:
      - .offset:         0
        .size:           4
        .value_kind:     by_value
      - .offset:         4
        .size:           4
        .value_kind:     by_value
      - .offset:         8
        .size:           4
        .value_kind:     by_value
      - .offset:         12
        .size:           4
        .value_kind:     by_value
      - .offset:         16
        .size:           4
        .value_kind:     by_value
      - .offset:         20
        .size:           4
        .value_kind:     by_value
      - .address_space:  global
        .offset:         24
        .size:           8
        .value_kind:     global_buffer
      - .actual_access:  read_only
        .address_space:  global
        .offset:         32
        .size:           8
        .value_kind:     global_buffer
      - .actual_access:  read_only
        .address_space:  global
        .offset:         40
        .size:           8
        .value_kind:     global_buffer
      - .address_space:  global
        .offset:         48
        .size:           8
        .value_kind:     global_buffer
      - .offset:         56
        .size:           4
        .value_kind:     by_value
      - .offset:         60
        .size:           4
        .value_kind:     by_value
    .group_segment_fixed_size: 65536
    .kernarg_segment_align: 8
    .kernarg_segment_size: 64
    .language:       OpenCL C
    .language_version:
      - 2
      - 0
    .max_flat_workgroup_size: 512
    .name:           _Z16wvSplitK_hf_sml_I6__halfLi32ELi4ELi16ELi8ELi1ELi4EEviiiiiiPKT_S3_S3_PS1_ii
    .private_segment_fixed_size: 0
    .sgpr_count:     37
    .sgpr_spill_count: 0
    .symbol:         _Z16wvSplitK_hf_sml_I6__halfLi32ELi4ELi16ELi8ELi1ELi4EEviiiiiiPKT_S3_S3_PS1_ii.kd
    .uniform_work_group_size: 1
    .uses_dynamic_stack: false
    .vgpr_count:     72
    .vgpr_spill_count: 0
    .wavefront_size: 64
  - .agpr_count:     0
    .args:
      - .offset:         0
        .size:           4
        .value_kind:     by_value
      - .offset:         4
        .size:           4
        .value_kind:     by_value
      - .offset:         8
        .size:           4
        .value_kind:     by_value
      - .offset:         12
        .size:           4
        .value_kind:     by_value
      - .offset:         16
        .size:           4
        .value_kind:     by_value
      - .offset:         20
        .size:           4
        .value_kind:     by_value
      - .address_space:  global
        .offset:         24
        .size:           8
        .value_kind:     global_buffer
      - .actual_access:  read_only
        .address_space:  global
        .offset:         32
        .size:           8
        .value_kind:     global_buffer
      - .actual_access:  read_only
        .address_space:  global
        .offset:         40
        .size:           8
        .value_kind:     global_buffer
      - .address_space:  global
        .offset:         48
        .size:           8
        .value_kind:     global_buffer
      - .offset:         56
        .size:           4
        .value_kind:     by_value
      - .offset:         60
        .size:           4
        .value_kind:     by_value
    .group_segment_fixed_size: 65536
    .kernarg_segment_align: 8
    .kernarg_segment_size: 64
    .language:       OpenCL C
    .language_version:
      - 2
      - 0
    .max_flat_workgroup_size: 512
    .name:           _Z12wvSplitK_hf_I6__halfLi32ELi4ELi16ELi8ELi1ELi4EEviiiiiiPKT_S3_S3_PS1_ii
    .private_segment_fixed_size: 0
    .sgpr_count:     50
    .sgpr_spill_count: 0
    .symbol:         _Z12wvSplitK_hf_I6__halfLi32ELi4ELi16ELi8ELi1ELi4EEviiiiiiPKT_S3_S3_PS1_ii.kd
    .uniform_work_group_size: 1
    .uses_dynamic_stack: false
    .vgpr_count:     80
    .vgpr_spill_count: 0
    .wavefront_size: 64
  - .agpr_count:     0
    .args:
      - .offset:         0
        .size:           4
        .value_kind:     by_value
      - .offset:         4
        .size:           4
        .value_kind:     by_value
      - .offset:         8
        .size:           4
        .value_kind:     by_value
      - .offset:         12
        .size:           4
        .value_kind:     by_value
      - .offset:         16
        .size:           4
        .value_kind:     by_value
      - .offset:         20
        .size:           4
        .value_kind:     by_value
      - .address_space:  global
        .offset:         24
        .size:           8
        .value_kind:     global_buffer
      - .actual_access:  read_only
        .address_space:  global
        .offset:         32
        .size:           8
        .value_kind:     global_buffer
      - .actual_access:  read_only
        .address_space:  global
        .offset:         40
        .size:           8
        .value_kind:     global_buffer
      - .address_space:  global
        .offset:         48
        .size:           8
        .value_kind:     global_buffer
      - .offset:         56
        .size:           4
        .value_kind:     by_value
      - .offset:         60
        .size:           4
        .value_kind:     by_value
    .group_segment_fixed_size: 65536
    .kernarg_segment_align: 8
    .kernarg_segment_size: 64
    .language:       OpenCL C
    .language_version:
      - 2
      - 0
    .max_flat_workgroup_size: 512
    .name:           _Z16wvSplitK_hf_big_I6__halfLi32ELi4ELi16ELi8ELi1ELi4EEviiiiiiPKT_S3_S3_PS1_ii
    .private_segment_fixed_size: 0
    .sgpr_count:     60
    .sgpr_spill_count: 0
    .symbol:         _Z16wvSplitK_hf_big_I6__halfLi32ELi4ELi16ELi8ELi1ELi4EEviiiiiiPKT_S3_S3_PS1_ii.kd
    .uniform_work_group_size: 1
    .uses_dynamic_stack: false
    .vgpr_count:     80
    .vgpr_spill_count: 0
    .wavefront_size: 64
  - .agpr_count:     0
    .args:
      - .offset:         0
        .size:           4
        .value_kind:     by_value
      - .offset:         4
        .size:           4
        .value_kind:     by_value
      - .offset:         8
        .size:           4
        .value_kind:     by_value
      - .offset:         12
        .size:           4
        .value_kind:     by_value
      - .offset:         16
        .size:           4
        .value_kind:     by_value
      - .offset:         20
        .size:           4
        .value_kind:     by_value
      - .address_space:  global
        .offset:         24
        .size:           8
        .value_kind:     global_buffer
      - .actual_access:  read_only
        .address_space:  global
        .offset:         32
        .size:           8
        .value_kind:     global_buffer
      - .actual_access:  read_only
        .address_space:  global
        .offset:         40
        .size:           8
        .value_kind:     global_buffer
      - .address_space:  global
        .offset:         48
        .size:           8
        .value_kind:     global_buffer
      - .offset:         56
        .size:           4
        .value_kind:     by_value
      - .offset:         60
        .size:           4
        .value_kind:     by_value
    .group_segment_fixed_size: 65536
    .kernarg_segment_align: 8
    .kernarg_segment_size: 64
    .language:       OpenCL C
    .language_version:
      - 2
      - 0
    .max_flat_workgroup_size: 512
    .name:           _Z16wvSplitK_hf_sml_I6__halfLi32ELi4ELi16ELi8ELi2ELi4EEviiiiiiPKT_S3_S3_PS1_ii
    .private_segment_fixed_size: 0
    .sgpr_count:     38
    .sgpr_spill_count: 0
    .symbol:         _Z16wvSplitK_hf_sml_I6__halfLi32ELi4ELi16ELi8ELi2ELi4EEviiiiiiPKT_S3_S3_PS1_ii.kd
    .uniform_work_group_size: 1
    .uses_dynamic_stack: false
    .vgpr_count:     98
    .vgpr_spill_count: 0
    .wavefront_size: 64
  - .agpr_count:     0
    .args:
      - .offset:         0
        .size:           4
        .value_kind:     by_value
      - .offset:         4
        .size:           4
        .value_kind:     by_value
      - .offset:         8
        .size:           4
        .value_kind:     by_value
      - .offset:         12
        .size:           4
        .value_kind:     by_value
      - .offset:         16
        .size:           4
        .value_kind:     by_value
      - .offset:         20
        .size:           4
        .value_kind:     by_value
      - .address_space:  global
        .offset:         24
        .size:           8
        .value_kind:     global_buffer
      - .actual_access:  read_only
        .address_space:  global
        .offset:         32
        .size:           8
        .value_kind:     global_buffer
      - .actual_access:  read_only
        .address_space:  global
        .offset:         40
        .size:           8
        .value_kind:     global_buffer
      - .address_space:  global
        .offset:         48
        .size:           8
        .value_kind:     global_buffer
      - .offset:         56
        .size:           4
        .value_kind:     by_value
      - .offset:         60
        .size:           4
        .value_kind:     by_value
    .group_segment_fixed_size: 65536
    .kernarg_segment_align: 8
    .kernarg_segment_size: 64
    .language:       OpenCL C
    .language_version:
      - 2
      - 0
    .max_flat_workgroup_size: 512
    .name:           _Z12wvSplitK_hf_I6__halfLi32ELi4ELi16ELi8ELi2ELi4EEviiiiiiPKT_S3_S3_PS1_ii
    .private_segment_fixed_size: 0
    .sgpr_count:     50
    .sgpr_spill_count: 0
    .symbol:         _Z12wvSplitK_hf_I6__halfLi32ELi4ELi16ELi8ELi2ELi4EEviiiiiiPKT_S3_S3_PS1_ii.kd
    .uniform_work_group_size: 1
    .uses_dynamic_stack: false
    .vgpr_count:     111
    .vgpr_spill_count: 0
    .wavefront_size: 64
  - .agpr_count:     0
    .args:
      - .offset:         0
        .size:           4
        .value_kind:     by_value
      - .offset:         4
        .size:           4
        .value_kind:     by_value
      - .offset:         8
        .size:           4
        .value_kind:     by_value
      - .offset:         12
        .size:           4
        .value_kind:     by_value
      - .offset:         16
        .size:           4
        .value_kind:     by_value
      - .offset:         20
        .size:           4
        .value_kind:     by_value
      - .address_space:  global
        .offset:         24
        .size:           8
        .value_kind:     global_buffer
      - .actual_access:  read_only
        .address_space:  global
        .offset:         32
        .size:           8
        .value_kind:     global_buffer
      - .actual_access:  read_only
        .address_space:  global
        .offset:         40
        .size:           8
        .value_kind:     global_buffer
      - .address_space:  global
        .offset:         48
        .size:           8
        .value_kind:     global_buffer
      - .offset:         56
        .size:           4
        .value_kind:     by_value
      - .offset:         60
        .size:           4
        .value_kind:     by_value
    .group_segment_fixed_size: 65536
    .kernarg_segment_align: 8
    .kernarg_segment_size: 64
    .language:       OpenCL C
    .language_version:
      - 2
      - 0
    .max_flat_workgroup_size: 512
    .name:           _Z16wvSplitK_hf_big_I6__halfLi32ELi4ELi16ELi8ELi2ELi4EEviiiiiiPKT_S3_S3_PS1_ii
    .private_segment_fixed_size: 0
    .sgpr_count:     60
    .sgpr_spill_count: 0
    .symbol:         _Z16wvSplitK_hf_big_I6__halfLi32ELi4ELi16ELi8ELi2ELi4EEviiiiiiPKT_S3_S3_PS1_ii.kd
    .uniform_work_group_size: 1
    .uses_dynamic_stack: false
    .vgpr_count:     106
    .vgpr_spill_count: 0
    .wavefront_size: 64
  - .agpr_count:     0
    .args:
      - .offset:         0
        .size:           4
        .value_kind:     by_value
      - .offset:         4
        .size:           4
        .value_kind:     by_value
      - .offset:         8
        .size:           4
        .value_kind:     by_value
      - .offset:         12
        .size:           4
        .value_kind:     by_value
      - .offset:         16
        .size:           4
        .value_kind:     by_value
      - .offset:         20
        .size:           4
        .value_kind:     by_value
      - .address_space:  global
        .offset:         24
        .size:           8
        .value_kind:     global_buffer
      - .actual_access:  read_only
        .address_space:  global
        .offset:         32
        .size:           8
        .value_kind:     global_buffer
      - .actual_access:  read_only
        .address_space:  global
        .offset:         40
        .size:           8
        .value_kind:     global_buffer
      - .address_space:  global
        .offset:         48
        .size:           8
        .value_kind:     global_buffer
      - .offset:         56
        .size:           4
        .value_kind:     by_value
      - .offset:         60
        .size:           4
        .value_kind:     by_value
    .group_segment_fixed_size: 65536
    .kernarg_segment_align: 8
    .kernarg_segment_size: 64
    .language:       OpenCL C
    .language_version:
      - 2
      - 0
    .max_flat_workgroup_size: 1024
    .name:           _Z16wvSplitK_hf_sml_I6__halfLi64ELi1ELi16ELi8ELi4ELi4EEviiiiiiPKT_S3_S3_PS1_ii
    .private_segment_fixed_size: 0
    .sgpr_count:     43
    .sgpr_spill_count: 0
    .symbol:         _Z16wvSplitK_hf_sml_I6__halfLi64ELi1ELi16ELi8ELi4ELi4EEviiiiiiPKT_S3_S3_PS1_ii.kd
    .uniform_work_group_size: 1
    .uses_dynamic_stack: false
    .vgpr_count:     98
    .vgpr_spill_count: 0
    .wavefront_size: 64
  - .agpr_count:     0
    .args:
      - .offset:         0
        .size:           4
        .value_kind:     by_value
      - .offset:         4
        .size:           4
        .value_kind:     by_value
      - .offset:         8
        .size:           4
        .value_kind:     by_value
      - .offset:         12
        .size:           4
        .value_kind:     by_value
      - .offset:         16
        .size:           4
        .value_kind:     by_value
      - .offset:         20
        .size:           4
        .value_kind:     by_value
      - .address_space:  global
        .offset:         24
        .size:           8
        .value_kind:     global_buffer
      - .actual_access:  read_only
        .address_space:  global
        .offset:         32
        .size:           8
        .value_kind:     global_buffer
      - .actual_access:  read_only
        .address_space:  global
        .offset:         40
        .size:           8
        .value_kind:     global_buffer
      - .address_space:  global
        .offset:         48
        .size:           8
        .value_kind:     global_buffer
      - .offset:         56
        .size:           4
        .value_kind:     by_value
      - .offset:         60
        .size:           4
        .value_kind:     by_value
    .group_segment_fixed_size: 65536
    .kernarg_segment_align: 8
    .kernarg_segment_size: 64
    .language:       OpenCL C
    .language_version:
      - 2
      - 0
    .max_flat_workgroup_size: 1024
    .name:           _Z12wvSplitK_hf_I6__halfLi64ELi1ELi16ELi8ELi4ELi4EEviiiiiiPKT_S3_S3_PS1_ii
    .private_segment_fixed_size: 0
    .sgpr_count:     51
    .sgpr_spill_count: 0
    .symbol:         _Z12wvSplitK_hf_I6__halfLi64ELi1ELi16ELi8ELi4ELi4EEviiiiiiPKT_S3_S3_PS1_ii.kd
    .uniform_work_group_size: 1
    .uses_dynamic_stack: false
    .vgpr_count:     107
    .vgpr_spill_count: 0
    .wavefront_size: 64
  - .agpr_count:     0
    .args:
      - .offset:         0
        .size:           4
        .value_kind:     by_value
      - .offset:         4
        .size:           4
        .value_kind:     by_value
      - .offset:         8
        .size:           4
        .value_kind:     by_value
      - .offset:         12
        .size:           4
        .value_kind:     by_value
      - .offset:         16
        .size:           4
        .value_kind:     by_value
      - .offset:         20
        .size:           4
        .value_kind:     by_value
      - .address_space:  global
        .offset:         24
        .size:           8
        .value_kind:     global_buffer
      - .actual_access:  read_only
        .address_space:  global
        .offset:         32
        .size:           8
        .value_kind:     global_buffer
      - .actual_access:  read_only
        .address_space:  global
        .offset:         40
        .size:           8
        .value_kind:     global_buffer
      - .address_space:  global
        .offset:         48
        .size:           8
        .value_kind:     global_buffer
      - .offset:         56
        .size:           4
        .value_kind:     by_value
      - .offset:         60
        .size:           4
        .value_kind:     by_value
    .group_segment_fixed_size: 65536
    .kernarg_segment_align: 8
    .kernarg_segment_size: 64
    .language:       OpenCL C
    .language_version:
      - 2
      - 0
    .max_flat_workgroup_size: 1024
    .name:           _Z16wvSplitK_hf_big_I6__halfLi64ELi1ELi16ELi8ELi4ELi4EEviiiiiiPKT_S3_S3_PS1_ii
    .private_segment_fixed_size: 0
    .sgpr_count:     58
    .sgpr_spill_count: 0
    .symbol:         _Z16wvSplitK_hf_big_I6__halfLi64ELi1ELi16ELi8ELi4ELi4EEviiiiiiPKT_S3_S3_PS1_ii.kd
    .uniform_work_group_size: 1
    .uses_dynamic_stack: false
    .vgpr_count:     103
    .vgpr_spill_count: 0
    .wavefront_size: 64
  - .agpr_count:     0
    .args:
      - .offset:         0
        .size:           4
        .value_kind:     by_value
      - .offset:         4
        .size:           4
        .value_kind:     by_value
      - .offset:         8
        .size:           4
        .value_kind:     by_value
      - .offset:         12
        .size:           4
        .value_kind:     by_value
      - .offset:         16
        .size:           4
        .value_kind:     by_value
      - .offset:         20
        .size:           4
        .value_kind:     by_value
      - .address_space:  global
        .offset:         24
        .size:           8
        .value_kind:     global_buffer
      - .actual_access:  read_only
        .address_space:  global
        .offset:         32
        .size:           8
        .value_kind:     global_buffer
      - .actual_access:  read_only
        .address_space:  global
        .offset:         40
        .size:           8
        .value_kind:     global_buffer
      - .address_space:  global
        .offset:         48
        .size:           8
        .value_kind:     global_buffer
      - .offset:         56
        .size:           4
        .value_kind:     by_value
      - .offset:         60
        .size:           4
        .value_kind:     by_value
    .group_segment_fixed_size: 65536
    .kernarg_segment_align: 8
    .kernarg_segment_size: 64
    .language:       OpenCL C
    .language_version:
      - 2
      - 0
    .max_flat_workgroup_size: 1024
    .name:           _Z16wvSplitK_hf_sml_I6__halfLi64ELi2ELi16ELi8ELi2ELi4EEviiiiiiPKT_S3_S3_PS1_ii
    .private_segment_fixed_size: 0
    .sgpr_count:     38
    .sgpr_spill_count: 0
    .symbol:         _Z16wvSplitK_hf_sml_I6__halfLi64ELi2ELi16ELi8ELi2ELi4EEviiiiiiPKT_S3_S3_PS1_ii.kd
    .uniform_work_group_size: 1
    .uses_dynamic_stack: false
    .vgpr_count:     70
    .vgpr_spill_count: 0
    .wavefront_size: 64
  - .agpr_count:     0
    .args:
      - .offset:         0
        .size:           4
        .value_kind:     by_value
      - .offset:         4
        .size:           4
        .value_kind:     by_value
      - .offset:         8
        .size:           4
        .value_kind:     by_value
      - .offset:         12
        .size:           4
        .value_kind:     by_value
      - .offset:         16
        .size:           4
        .value_kind:     by_value
      - .offset:         20
        .size:           4
        .value_kind:     by_value
      - .address_space:  global
        .offset:         24
        .size:           8
        .value_kind:     global_buffer
      - .actual_access:  read_only
        .address_space:  global
        .offset:         32
        .size:           8
        .value_kind:     global_buffer
      - .actual_access:  read_only
        .address_space:  global
        .offset:         40
        .size:           8
        .value_kind:     global_buffer
      - .address_space:  global
        .offset:         48
        .size:           8
        .value_kind:     global_buffer
      - .offset:         56
        .size:           4
        .value_kind:     by_value
      - .offset:         60
        .size:           4
        .value_kind:     by_value
    .group_segment_fixed_size: 65536
    .kernarg_segment_align: 8
    .kernarg_segment_size: 64
    .language:       OpenCL C
    .language_version:
      - 2
      - 0
    .max_flat_workgroup_size: 1024
    .name:           _Z12wvSplitK_hf_I6__halfLi64ELi2ELi16ELi8ELi2ELi4EEviiiiiiPKT_S3_S3_PS1_ii
    .private_segment_fixed_size: 0
    .sgpr_count:     50
    .sgpr_spill_count: 0
    .symbol:         _Z12wvSplitK_hf_I6__halfLi64ELi2ELi16ELi8ELi2ELi4EEviiiiiiPKT_S3_S3_PS1_ii.kd
    .uniform_work_group_size: 1
    .uses_dynamic_stack: false
    .vgpr_count:     79
    .vgpr_spill_count: 0
    .wavefront_size: 64
  - .agpr_count:     0
    .args:
      - .offset:         0
        .size:           4
        .value_kind:     by_value
      - .offset:         4
        .size:           4
        .value_kind:     by_value
      - .offset:         8
        .size:           4
        .value_kind:     by_value
      - .offset:         12
        .size:           4
        .value_kind:     by_value
      - .offset:         16
        .size:           4
        .value_kind:     by_value
      - .offset:         20
        .size:           4
        .value_kind:     by_value
      - .address_space:  global
        .offset:         24
        .size:           8
        .value_kind:     global_buffer
      - .actual_access:  read_only
        .address_space:  global
        .offset:         32
        .size:           8
        .value_kind:     global_buffer
      - .actual_access:  read_only
        .address_space:  global
        .offset:         40
        .size:           8
        .value_kind:     global_buffer
      - .address_space:  global
        .offset:         48
        .size:           8
        .value_kind:     global_buffer
      - .offset:         56
        .size:           4
        .value_kind:     by_value
      - .offset:         60
        .size:           4
        .value_kind:     by_value
    .group_segment_fixed_size: 65536
    .kernarg_segment_align: 8
    .kernarg_segment_size: 64
    .language:       OpenCL C
    .language_version:
      - 2
      - 0
    .max_flat_workgroup_size: 1024
    .name:           _Z16wvSplitK_hf_big_I6__halfLi64ELi2ELi16ELi8ELi2ELi4EEviiiiiiPKT_S3_S3_PS1_ii
    .private_segment_fixed_size: 0
    .sgpr_count:     60
    .sgpr_spill_count: 0
    .symbol:         _Z16wvSplitK_hf_big_I6__halfLi64ELi2ELi16ELi8ELi2ELi4EEviiiiiiPKT_S3_S3_PS1_ii.kd
    .uniform_work_group_size: 1
    .uses_dynamic_stack: false
    .vgpr_count:     76
    .vgpr_spill_count: 0
    .wavefront_size: 64
  - .agpr_count:     0
    .args:
      - .offset:         0
        .size:           4
        .value_kind:     by_value
      - .offset:         4
        .size:           4
        .value_kind:     by_value
      - .offset:         8
        .size:           4
        .value_kind:     by_value
      - .offset:         12
        .size:           4
        .value_kind:     by_value
      - .offset:         16
        .size:           4
        .value_kind:     by_value
      - .offset:         20
        .size:           4
        .value_kind:     by_value
      - .address_space:  global
        .offset:         24
        .size:           8
        .value_kind:     global_buffer
      - .actual_access:  read_only
        .address_space:  global
        .offset:         32
        .size:           8
        .value_kind:     global_buffer
      - .actual_access:  read_only
        .address_space:  global
        .offset:         40
        .size:           8
        .value_kind:     global_buffer
      - .address_space:  global
        .offset:         48
        .size:           8
        .value_kind:     global_buffer
      - .offset:         56
        .size:           4
        .value_kind:     by_value
      - .offset:         60
        .size:           4
        .value_kind:     by_value
    .group_segment_fixed_size: 65536
    .kernarg_segment_align: 8
    .kernarg_segment_size: 64
    .language:       OpenCL C
    .language_version:
      - 2
      - 0
    .max_flat_workgroup_size: 1024
    .name:           _Z16wvSplitK_hf_sml_I6__halfLi64ELi3ELi16ELi8ELi2ELi4EEviiiiiiPKT_S3_S3_PS1_ii
    .private_segment_fixed_size: 0
    .sgpr_count:     38
    .sgpr_spill_count: 0
    .symbol:         _Z16wvSplitK_hf_sml_I6__halfLi64ELi3ELi16ELi8ELi2ELi4EEviiiiiiPKT_S3_S3_PS1_ii.kd
    .uniform_work_group_size: 1
    .uses_dynamic_stack: false
    .vgpr_count:     86
    .vgpr_spill_count: 0
    .wavefront_size: 64
  - .agpr_count:     0
    .args:
      - .offset:         0
        .size:           4
        .value_kind:     by_value
      - .offset:         4
        .size:           4
        .value_kind:     by_value
      - .offset:         8
        .size:           4
        .value_kind:     by_value
      - .offset:         12
        .size:           4
        .value_kind:     by_value
      - .offset:         16
        .size:           4
        .value_kind:     by_value
      - .offset:         20
        .size:           4
        .value_kind:     by_value
      - .address_space:  global
        .offset:         24
        .size:           8
        .value_kind:     global_buffer
      - .actual_access:  read_only
        .address_space:  global
        .offset:         32
        .size:           8
        .value_kind:     global_buffer
      - .actual_access:  read_only
        .address_space:  global
        .offset:         40
        .size:           8
        .value_kind:     global_buffer
      - .address_space:  global
        .offset:         48
        .size:           8
        .value_kind:     global_buffer
      - .offset:         56
        .size:           4
        .value_kind:     by_value
      - .offset:         60
        .size:           4
        .value_kind:     by_value
    .group_segment_fixed_size: 65536
    .kernarg_segment_align: 8
    .kernarg_segment_size: 64
    .language:       OpenCL C
    .language_version:
      - 2
      - 0
    .max_flat_workgroup_size: 1024
    .name:           _Z12wvSplitK_hf_I6__halfLi64ELi3ELi16ELi8ELi2ELi4EEviiiiiiPKT_S3_S3_PS1_ii
    .private_segment_fixed_size: 0
    .sgpr_count:     50
    .sgpr_spill_count: 0
    .symbol:         _Z12wvSplitK_hf_I6__halfLi64ELi3ELi16ELi8ELi2ELi4EEviiiiiiPKT_S3_S3_PS1_ii.kd
    .uniform_work_group_size: 1
    .uses_dynamic_stack: false
    .vgpr_count:     95
    .vgpr_spill_count: 0
    .wavefront_size: 64
  - .agpr_count:     0
    .args:
      - .offset:         0
        .size:           4
        .value_kind:     by_value
      - .offset:         4
        .size:           4
        .value_kind:     by_value
      - .offset:         8
        .size:           4
        .value_kind:     by_value
      - .offset:         12
        .size:           4
        .value_kind:     by_value
      - .offset:         16
        .size:           4
        .value_kind:     by_value
      - .offset:         20
        .size:           4
        .value_kind:     by_value
      - .address_space:  global
        .offset:         24
        .size:           8
        .value_kind:     global_buffer
      - .actual_access:  read_only
        .address_space:  global
        .offset:         32
        .size:           8
        .value_kind:     global_buffer
      - .actual_access:  read_only
        .address_space:  global
        .offset:         40
        .size:           8
        .value_kind:     global_buffer
      - .address_space:  global
        .offset:         48
        .size:           8
        .value_kind:     global_buffer
      - .offset:         56
        .size:           4
        .value_kind:     by_value
      - .offset:         60
        .size:           4
        .value_kind:     by_value
    .group_segment_fixed_size: 65536
    .kernarg_segment_align: 8
    .kernarg_segment_size: 64
    .language:       OpenCL C
    .language_version:
      - 2
      - 0
    .max_flat_workgroup_size: 1024
    .name:           _Z16wvSplitK_hf_big_I6__halfLi64ELi3ELi16ELi8ELi2ELi4EEviiiiiiPKT_S3_S3_PS1_ii
    .private_segment_fixed_size: 0
    .sgpr_count:     60
    .sgpr_spill_count: 0
    .symbol:         _Z16wvSplitK_hf_big_I6__halfLi64ELi3ELi16ELi8ELi2ELi4EEviiiiiiPKT_S3_S3_PS1_ii.kd
    .uniform_work_group_size: 1
    .uses_dynamic_stack: false
    .vgpr_count:     91
    .vgpr_spill_count: 0
    .wavefront_size: 64
  - .agpr_count:     0
    .args:
      - .offset:         0
        .size:           4
        .value_kind:     by_value
      - .offset:         4
        .size:           4
        .value_kind:     by_value
      - .offset:         8
        .size:           4
        .value_kind:     by_value
      - .offset:         12
        .size:           4
        .value_kind:     by_value
      - .offset:         16
        .size:           4
        .value_kind:     by_value
      - .offset:         20
        .size:           4
        .value_kind:     by_value
      - .address_space:  global
        .offset:         24
        .size:           8
        .value_kind:     global_buffer
      - .actual_access:  read_only
        .address_space:  global
        .offset:         32
        .size:           8
        .value_kind:     global_buffer
      - .actual_access:  read_only
        .address_space:  global
        .offset:         40
        .size:           8
        .value_kind:     global_buffer
      - .address_space:  global
        .offset:         48
        .size:           8
        .value_kind:     global_buffer
      - .offset:         56
        .size:           4
        .value_kind:     by_value
      - .offset:         60
        .size:           4
        .value_kind:     by_value
    .group_segment_fixed_size: 65536
    .kernarg_segment_align: 8
    .kernarg_segment_size: 64
    .language:       OpenCL C
    .language_version:
      - 2
      - 0
    .max_flat_workgroup_size: 1024
    .name:           _Z16wvSplitK_hf_sml_I6__halfLi64ELi4ELi16ELi8ELi1ELi4EEviiiiiiPKT_S3_S3_PS1_ii
    .private_segment_fixed_size: 0
    .sgpr_count:     37
    .sgpr_spill_count: 0
    .symbol:         _Z16wvSplitK_hf_sml_I6__halfLi64ELi4ELi16ELi8ELi1ELi4EEviiiiiiPKT_S3_S3_PS1_ii.kd
    .uniform_work_group_size: 1
    .uses_dynamic_stack: false
    .vgpr_count:     70
    .vgpr_spill_count: 0
    .wavefront_size: 64
  - .agpr_count:     0
    .args:
      - .offset:         0
        .size:           4
        .value_kind:     by_value
      - .offset:         4
        .size:           4
        .value_kind:     by_value
      - .offset:         8
        .size:           4
        .value_kind:     by_value
      - .offset:         12
        .size:           4
        .value_kind:     by_value
      - .offset:         16
        .size:           4
        .value_kind:     by_value
      - .offset:         20
        .size:           4
        .value_kind:     by_value
      - .address_space:  global
        .offset:         24
        .size:           8
        .value_kind:     global_buffer
      - .actual_access:  read_only
        .address_space:  global
        .offset:         32
        .size:           8
        .value_kind:     global_buffer
      - .actual_access:  read_only
        .address_space:  global
        .offset:         40
        .size:           8
        .value_kind:     global_buffer
      - .address_space:  global
        .offset:         48
        .size:           8
        .value_kind:     global_buffer
      - .offset:         56
        .size:           4
        .value_kind:     by_value
      - .offset:         60
        .size:           4
        .value_kind:     by_value
    .group_segment_fixed_size: 65536
    .kernarg_segment_align: 8
    .kernarg_segment_size: 64
    .language:       OpenCL C
    .language_version:
      - 2
      - 0
    .max_flat_workgroup_size: 1024
    .name:           _Z12wvSplitK_hf_I6__halfLi64ELi4ELi16ELi8ELi1ELi4EEviiiiiiPKT_S3_S3_PS1_ii
    .private_segment_fixed_size: 0
    .sgpr_count:     50
    .sgpr_spill_count: 0
    .symbol:         _Z12wvSplitK_hf_I6__halfLi64ELi4ELi16ELi8ELi1ELi4EEviiiiiiPKT_S3_S3_PS1_ii.kd
    .uniform_work_group_size: 1
    .uses_dynamic_stack: false
    .vgpr_count:     76
    .vgpr_spill_count: 0
    .wavefront_size: 64
  - .agpr_count:     0
    .args:
      - .offset:         0
        .size:           4
        .value_kind:     by_value
      - .offset:         4
        .size:           4
        .value_kind:     by_value
      - .offset:         8
        .size:           4
        .value_kind:     by_value
      - .offset:         12
        .size:           4
        .value_kind:     by_value
      - .offset:         16
        .size:           4
        .value_kind:     by_value
      - .offset:         20
        .size:           4
        .value_kind:     by_value
      - .address_space:  global
        .offset:         24
        .size:           8
        .value_kind:     global_buffer
      - .actual_access:  read_only
        .address_space:  global
        .offset:         32
        .size:           8
        .value_kind:     global_buffer
      - .actual_access:  read_only
        .address_space:  global
        .offset:         40
        .size:           8
        .value_kind:     global_buffer
      - .address_space:  global
        .offset:         48
        .size:           8
        .value_kind:     global_buffer
      - .offset:         56
        .size:           4
        .value_kind:     by_value
      - .offset:         60
        .size:           4
        .value_kind:     by_value
    .group_segment_fixed_size: 65536
    .kernarg_segment_align: 8
    .kernarg_segment_size: 64
    .language:       OpenCL C
    .language_version:
      - 2
      - 0
    .max_flat_workgroup_size: 1024
    .name:           _Z16wvSplitK_hf_big_I6__halfLi64ELi4ELi16ELi8ELi1ELi4EEviiiiiiPKT_S3_S3_PS1_ii
    .private_segment_fixed_size: 0
    .sgpr_count:     60
    .sgpr_spill_count: 0
    .symbol:         _Z16wvSplitK_hf_big_I6__halfLi64ELi4ELi16ELi8ELi1ELi4EEviiiiiiPKT_S3_S3_PS1_ii.kd
    .uniform_work_group_size: 1
    .uses_dynamic_stack: false
    .vgpr_count:     76
    .vgpr_spill_count: 0
    .wavefront_size: 64
  - .agpr_count:     0
    .args:
      - .offset:         0
        .size:           4
        .value_kind:     by_value
      - .offset:         4
        .size:           4
        .value_kind:     by_value
      - .offset:         8
        .size:           4
        .value_kind:     by_value
      - .offset:         12
        .size:           4
        .value_kind:     by_value
      - .offset:         16
        .size:           4
        .value_kind:     by_value
      - .offset:         20
        .size:           4
        .value_kind:     by_value
      - .address_space:  global
        .offset:         24
        .size:           8
        .value_kind:     global_buffer
      - .actual_access:  read_only
        .address_space:  global
        .offset:         32
        .size:           8
        .value_kind:     global_buffer
      - .actual_access:  read_only
        .address_space:  global
        .offset:         40
        .size:           8
        .value_kind:     global_buffer
      - .address_space:  global
        .offset:         48
        .size:           8
        .value_kind:     global_buffer
      - .offset:         56
        .size:           4
        .value_kind:     by_value
      - .offset:         60
        .size:           4
        .value_kind:     by_value
    .group_segment_fixed_size: 65536
    .kernarg_segment_align: 8
    .kernarg_segment_size: 64
    .language:       OpenCL C
    .language_version:
      - 2
      - 0
    .max_flat_workgroup_size: 1024
    .name:           _Z16wvSplitK_hf_sml_I6__halfLi64ELi4ELi16ELi8ELi2ELi4EEviiiiiiPKT_S3_S3_PS1_ii
    .private_segment_fixed_size: 0
    .sgpr_count:     38
    .sgpr_spill_count: 0
    .symbol:         _Z16wvSplitK_hf_sml_I6__halfLi64ELi4ELi16ELi8ELi2ELi4EEviiiiiiPKT_S3_S3_PS1_ii.kd
    .uniform_work_group_size: 1
    .uses_dynamic_stack: false
    .vgpr_count:     98
    .vgpr_spill_count: 0
    .wavefront_size: 64
  - .agpr_count:     0
    .args:
      - .offset:         0
        .size:           4
        .value_kind:     by_value
      - .offset:         4
        .size:           4
        .value_kind:     by_value
      - .offset:         8
        .size:           4
        .value_kind:     by_value
      - .offset:         12
        .size:           4
        .value_kind:     by_value
      - .offset:         16
        .size:           4
        .value_kind:     by_value
      - .offset:         20
        .size:           4
        .value_kind:     by_value
      - .address_space:  global
        .offset:         24
        .size:           8
        .value_kind:     global_buffer
      - .actual_access:  read_only
        .address_space:  global
        .offset:         32
        .size:           8
        .value_kind:     global_buffer
      - .actual_access:  read_only
        .address_space:  global
        .offset:         40
        .size:           8
        .value_kind:     global_buffer
      - .address_space:  global
        .offset:         48
        .size:           8
        .value_kind:     global_buffer
      - .offset:         56
        .size:           4
        .value_kind:     by_value
      - .offset:         60
        .size:           4
        .value_kind:     by_value
    .group_segment_fixed_size: 65536
    .kernarg_segment_align: 8
    .kernarg_segment_size: 64
    .language:       OpenCL C
    .language_version:
      - 2
      - 0
    .max_flat_workgroup_size: 1024
    .name:           _Z12wvSplitK_hf_I6__halfLi64ELi4ELi16ELi8ELi2ELi4EEviiiiiiPKT_S3_S3_PS1_ii
    .private_segment_fixed_size: 0
    .sgpr_count:     50
    .sgpr_spill_count: 0
    .symbol:         _Z12wvSplitK_hf_I6__halfLi64ELi4ELi16ELi8ELi2ELi4EEviiiiiiPKT_S3_S3_PS1_ii.kd
    .uniform_work_group_size: 1
    .uses_dynamic_stack: false
    .vgpr_count:     111
    .vgpr_spill_count: 0
    .wavefront_size: 64
  - .agpr_count:     0
    .args:
      - .offset:         0
        .size:           4
        .value_kind:     by_value
      - .offset:         4
        .size:           4
        .value_kind:     by_value
      - .offset:         8
        .size:           4
        .value_kind:     by_value
      - .offset:         12
        .size:           4
        .value_kind:     by_value
      - .offset:         16
        .size:           4
        .value_kind:     by_value
      - .offset:         20
        .size:           4
        .value_kind:     by_value
      - .address_space:  global
        .offset:         24
        .size:           8
        .value_kind:     global_buffer
      - .actual_access:  read_only
        .address_space:  global
        .offset:         32
        .size:           8
        .value_kind:     global_buffer
      - .actual_access:  read_only
        .address_space:  global
        .offset:         40
        .size:           8
        .value_kind:     global_buffer
      - .address_space:  global
        .offset:         48
        .size:           8
        .value_kind:     global_buffer
      - .offset:         56
        .size:           4
        .value_kind:     by_value
      - .offset:         60
        .size:           4
        .value_kind:     by_value
    .group_segment_fixed_size: 65536
    .kernarg_segment_align: 8
    .kernarg_segment_size: 64
    .language:       OpenCL C
    .language_version:
      - 2
      - 0
    .max_flat_workgroup_size: 1024
    .name:           _Z16wvSplitK_hf_big_I6__halfLi64ELi4ELi16ELi8ELi2ELi4EEviiiiiiPKT_S3_S3_PS1_ii
    .private_segment_fixed_size: 0
    .sgpr_count:     60
    .sgpr_spill_count: 0
    .symbol:         _Z16wvSplitK_hf_big_I6__halfLi64ELi4ELi16ELi8ELi2ELi4EEviiiiiiPKT_S3_S3_PS1_ii.kd
    .uniform_work_group_size: 1
    .uses_dynamic_stack: false
    .vgpr_count:     106
    .vgpr_spill_count: 0
    .wavefront_size: 64
  - .agpr_count:     0
    .args:
      - .offset:         0
        .size:           4
        .value_kind:     by_value
      - .offset:         4
        .size:           4
        .value_kind:     by_value
      - .offset:         8
        .size:           4
        .value_kind:     by_value
      - .offset:         12
        .size:           4
        .value_kind:     by_value
      - .offset:         16
        .size:           4
        .value_kind:     by_value
      - .offset:         20
        .size:           4
        .value_kind:     by_value
      - .address_space:  global
        .offset:         24
        .size:           8
        .value_kind:     global_buffer
      - .actual_access:  read_only
        .address_space:  global
        .offset:         32
        .size:           8
        .value_kind:     global_buffer
      - .actual_access:  read_only
        .address_space:  global
        .offset:         40
        .size:           8
        .value_kind:     global_buffer
      - .address_space:  global
        .offset:         48
        .size:           8
        .value_kind:     global_buffer
      - .offset:         56
        .size:           4
        .value_kind:     by_value
      - .offset:         60
        .size:           4
        .value_kind:     by_value
    .group_segment_fixed_size: 65536
    .kernarg_segment_align: 8
    .kernarg_segment_size: 64
    .language:       OpenCL C
    .language_version:
      - 2
      - 0
    .max_flat_workgroup_size: 512
    .name:           _Z16wvSplitK_hf_sml_I6__halfLi32ELi1ELi16ELi8ELi4ELi5EEviiiiiiPKT_S3_S3_PS1_ii
    .private_segment_fixed_size: 0
    .sgpr_count:     45
    .sgpr_spill_count: 0
    .symbol:         _Z16wvSplitK_hf_sml_I6__halfLi32ELi1ELi16ELi8ELi4ELi5EEviiiiiiPKT_S3_S3_PS1_ii.kd
    .uniform_work_group_size: 1
    .uses_dynamic_stack: false
    .vgpr_count:     116
    .vgpr_spill_count: 0
    .wavefront_size: 64
  - .agpr_count:     0
    .args:
      - .offset:         0
        .size:           4
        .value_kind:     by_value
      - .offset:         4
        .size:           4
        .value_kind:     by_value
      - .offset:         8
        .size:           4
        .value_kind:     by_value
      - .offset:         12
        .size:           4
        .value_kind:     by_value
      - .offset:         16
        .size:           4
        .value_kind:     by_value
      - .offset:         20
        .size:           4
        .value_kind:     by_value
      - .address_space:  global
        .offset:         24
        .size:           8
        .value_kind:     global_buffer
      - .actual_access:  read_only
        .address_space:  global
        .offset:         32
        .size:           8
        .value_kind:     global_buffer
      - .actual_access:  read_only
        .address_space:  global
        .offset:         40
        .size:           8
        .value_kind:     global_buffer
      - .address_space:  global
        .offset:         48
        .size:           8
        .value_kind:     global_buffer
      - .offset:         56
        .size:           4
        .value_kind:     by_value
      - .offset:         60
        .size:           4
        .value_kind:     by_value
    .group_segment_fixed_size: 65536
    .kernarg_segment_align: 8
    .kernarg_segment_size: 64
    .language:       OpenCL C
    .language_version:
      - 2
      - 0
    .max_flat_workgroup_size: 512
    .name:           _Z12wvSplitK_hf_I6__halfLi32ELi1ELi16ELi8ELi4ELi5EEviiiiiiPKT_S3_S3_PS1_ii
    .private_segment_fixed_size: 0
    .sgpr_count:     53
    .sgpr_spill_count: 0
    .symbol:         _Z12wvSplitK_hf_I6__halfLi32ELi1ELi16ELi8ELi4ELi5EEviiiiiiPKT_S3_S3_PS1_ii.kd
    .uniform_work_group_size: 1
    .uses_dynamic_stack: false
    .vgpr_count:     127
    .vgpr_spill_count: 0
    .wavefront_size: 64
  - .agpr_count:     0
    .args:
      - .offset:         0
        .size:           4
        .value_kind:     by_value
      - .offset:         4
        .size:           4
        .value_kind:     by_value
      - .offset:         8
        .size:           4
        .value_kind:     by_value
      - .offset:         12
        .size:           4
        .value_kind:     by_value
      - .offset:         16
        .size:           4
        .value_kind:     by_value
      - .offset:         20
        .size:           4
        .value_kind:     by_value
      - .address_space:  global
        .offset:         24
        .size:           8
        .value_kind:     global_buffer
      - .actual_access:  read_only
        .address_space:  global
        .offset:         32
        .size:           8
        .value_kind:     global_buffer
      - .actual_access:  read_only
        .address_space:  global
        .offset:         40
        .size:           8
        .value_kind:     global_buffer
      - .address_space:  global
        .offset:         48
        .size:           8
        .value_kind:     global_buffer
      - .offset:         56
        .size:           4
        .value_kind:     by_value
      - .offset:         60
        .size:           4
        .value_kind:     by_value
    .group_segment_fixed_size: 65536
    .kernarg_segment_align: 8
    .kernarg_segment_size: 64
    .language:       OpenCL C
    .language_version:
      - 2
      - 0
    .max_flat_workgroup_size: 512
    .name:           _Z16wvSplitK_hf_big_I6__halfLi32ELi1ELi16ELi8ELi4ELi5EEviiiiiiPKT_S3_S3_PS1_ii
    .private_segment_fixed_size: 0
    .sgpr_count:     60
    .sgpr_spill_count: 0
    .symbol:         _Z16wvSplitK_hf_big_I6__halfLi32ELi1ELi16ELi8ELi4ELi5EEviiiiiiPKT_S3_S3_PS1_ii.kd
    .uniform_work_group_size: 1
    .uses_dynamic_stack: false
    .vgpr_count:     122
    .vgpr_spill_count: 0
    .wavefront_size: 64
  - .agpr_count:     0
    .args:
      - .offset:         0
        .size:           4
        .value_kind:     by_value
      - .offset:         4
        .size:           4
        .value_kind:     by_value
      - .offset:         8
        .size:           4
        .value_kind:     by_value
      - .offset:         12
        .size:           4
        .value_kind:     by_value
      - .offset:         16
        .size:           4
        .value_kind:     by_value
      - .offset:         20
        .size:           4
        .value_kind:     by_value
      - .address_space:  global
        .offset:         24
        .size:           8
        .value_kind:     global_buffer
      - .actual_access:  read_only
        .address_space:  global
        .offset:         32
        .size:           8
        .value_kind:     global_buffer
      - .actual_access:  read_only
        .address_space:  global
        .offset:         40
        .size:           8
        .value_kind:     global_buffer
      - .address_space:  global
        .offset:         48
        .size:           8
        .value_kind:     global_buffer
      - .offset:         56
        .size:           4
        .value_kind:     by_value
      - .offset:         60
        .size:           4
        .value_kind:     by_value
    .group_segment_fixed_size: 65536
    .kernarg_segment_align: 8
    .kernarg_segment_size: 64
    .language:       OpenCL C
    .language_version:
      - 2
      - 0
    .max_flat_workgroup_size: 512
    .name:           _Z16wvSplitK_hf_sml_I6__halfLi32ELi2ELi16ELi8ELi2ELi5EEviiiiiiPKT_S3_S3_PS1_ii
    .private_segment_fixed_size: 0
    .sgpr_count:     41
    .sgpr_spill_count: 0
    .symbol:         _Z16wvSplitK_hf_sml_I6__halfLi32ELi2ELi16ELi8ELi2ELi5EEviiiiiiPKT_S3_S3_PS1_ii.kd
    .uniform_work_group_size: 1
    .uses_dynamic_stack: false
    .vgpr_count:     81
    .vgpr_spill_count: 0
    .wavefront_size: 64
  - .agpr_count:     0
    .args:
      - .offset:         0
        .size:           4
        .value_kind:     by_value
      - .offset:         4
        .size:           4
        .value_kind:     by_value
      - .offset:         8
        .size:           4
        .value_kind:     by_value
      - .offset:         12
        .size:           4
        .value_kind:     by_value
      - .offset:         16
        .size:           4
        .value_kind:     by_value
      - .offset:         20
        .size:           4
        .value_kind:     by_value
      - .address_space:  global
        .offset:         24
        .size:           8
        .value_kind:     global_buffer
      - .actual_access:  read_only
        .address_space:  global
        .offset:         32
        .size:           8
        .value_kind:     global_buffer
      - .actual_access:  read_only
        .address_space:  global
        .offset:         40
        .size:           8
        .value_kind:     global_buffer
      - .address_space:  global
        .offset:         48
        .size:           8
        .value_kind:     global_buffer
      - .offset:         56
        .size:           4
        .value_kind:     by_value
      - .offset:         60
        .size:           4
        .value_kind:     by_value
    .group_segment_fixed_size: 65536
    .kernarg_segment_align: 8
    .kernarg_segment_size: 64
    .language:       OpenCL C
    .language_version:
      - 2
      - 0
    .max_flat_workgroup_size: 512
    .name:           _Z12wvSplitK_hf_I6__halfLi32ELi2ELi16ELi8ELi2ELi5EEviiiiiiPKT_S3_S3_PS1_ii
    .private_segment_fixed_size: 0
    .sgpr_count:     52
    .sgpr_spill_count: 0
    .symbol:         _Z12wvSplitK_hf_I6__halfLi32ELi2ELi16ELi8ELi2ELi5EEviiiiiiPKT_S3_S3_PS1_ii.kd
    .uniform_work_group_size: 1
    .uses_dynamic_stack: false
    .vgpr_count:     92
    .vgpr_spill_count: 0
    .wavefront_size: 64
  - .agpr_count:     0
    .args:
      - .offset:         0
        .size:           4
        .value_kind:     by_value
      - .offset:         4
        .size:           4
        .value_kind:     by_value
      - .offset:         8
        .size:           4
        .value_kind:     by_value
      - .offset:         12
        .size:           4
        .value_kind:     by_value
      - .offset:         16
        .size:           4
        .value_kind:     by_value
      - .offset:         20
        .size:           4
        .value_kind:     by_value
      - .address_space:  global
        .offset:         24
        .size:           8
        .value_kind:     global_buffer
      - .actual_access:  read_only
        .address_space:  global
        .offset:         32
        .size:           8
        .value_kind:     global_buffer
      - .actual_access:  read_only
        .address_space:  global
        .offset:         40
        .size:           8
        .value_kind:     global_buffer
      - .address_space:  global
        .offset:         48
        .size:           8
        .value_kind:     global_buffer
      - .offset:         56
        .size:           4
        .value_kind:     by_value
      - .offset:         60
        .size:           4
        .value_kind:     by_value
    .group_segment_fixed_size: 65536
    .kernarg_segment_align: 8
    .kernarg_segment_size: 64
    .language:       OpenCL C
    .language_version:
      - 2
      - 0
    .max_flat_workgroup_size: 512
    .name:           _Z16wvSplitK_hf_big_I6__halfLi32ELi2ELi16ELi8ELi2ELi5EEviiiiiiPKT_S3_S3_PS1_ii
    .private_segment_fixed_size: 0
    .sgpr_count:     62
    .sgpr_spill_count: 0
    .symbol:         _Z16wvSplitK_hf_big_I6__halfLi32ELi2ELi16ELi8ELi2ELi5EEviiiiiiPKT_S3_S3_PS1_ii.kd
    .uniform_work_group_size: 1
    .uses_dynamic_stack: false
    .vgpr_count:     88
    .vgpr_spill_count: 0
    .wavefront_size: 64
  - .agpr_count:     0
    .args:
      - .offset:         0
        .size:           4
        .value_kind:     by_value
      - .offset:         4
        .size:           4
        .value_kind:     by_value
      - .offset:         8
        .size:           4
        .value_kind:     by_value
      - .offset:         12
        .size:           4
        .value_kind:     by_value
      - .offset:         16
        .size:           4
        .value_kind:     by_value
      - .offset:         20
        .size:           4
        .value_kind:     by_value
      - .address_space:  global
        .offset:         24
        .size:           8
        .value_kind:     global_buffer
      - .actual_access:  read_only
        .address_space:  global
        .offset:         32
        .size:           8
        .value_kind:     global_buffer
      - .actual_access:  read_only
        .address_space:  global
        .offset:         40
        .size:           8
        .value_kind:     global_buffer
      - .address_space:  global
        .offset:         48
        .size:           8
        .value_kind:     global_buffer
      - .offset:         56
        .size:           4
        .value_kind:     by_value
      - .offset:         60
        .size:           4
        .value_kind:     by_value
    .group_segment_fixed_size: 65536
    .kernarg_segment_align: 8
    .kernarg_segment_size: 64
    .language:       OpenCL C
    .language_version:
      - 2
      - 0
    .max_flat_workgroup_size: 512
    .name:           _Z16wvSplitK_hf_sml_I6__halfLi32ELi3ELi16ELi8ELi2ELi5EEviiiiiiPKT_S3_S3_PS1_ii
    .private_segment_fixed_size: 0
    .sgpr_count:     41
    .sgpr_spill_count: 0
    .symbol:         _Z16wvSplitK_hf_sml_I6__halfLi32ELi3ELi16ELi8ELi2ELi5EEviiiiiiPKT_S3_S3_PS1_ii.kd
    .uniform_work_group_size: 1
    .uses_dynamic_stack: false
    .vgpr_count:     98
    .vgpr_spill_count: 0
    .wavefront_size: 64
  - .agpr_count:     0
    .args:
      - .offset:         0
        .size:           4
        .value_kind:     by_value
      - .offset:         4
        .size:           4
        .value_kind:     by_value
      - .offset:         8
        .size:           4
        .value_kind:     by_value
      - .offset:         12
        .size:           4
        .value_kind:     by_value
      - .offset:         16
        .size:           4
        .value_kind:     by_value
      - .offset:         20
        .size:           4
        .value_kind:     by_value
      - .address_space:  global
        .offset:         24
        .size:           8
        .value_kind:     global_buffer
      - .actual_access:  read_only
        .address_space:  global
        .offset:         32
        .size:           8
        .value_kind:     global_buffer
      - .actual_access:  read_only
        .address_space:  global
        .offset:         40
        .size:           8
        .value_kind:     global_buffer
      - .address_space:  global
        .offset:         48
        .size:           8
        .value_kind:     global_buffer
      - .offset:         56
        .size:           4
        .value_kind:     by_value
      - .offset:         60
        .size:           4
        .value_kind:     by_value
    .group_segment_fixed_size: 65536
    .kernarg_segment_align: 8
    .kernarg_segment_size: 64
    .language:       OpenCL C
    .language_version:
      - 2
      - 0
    .max_flat_workgroup_size: 512
    .name:           _Z12wvSplitK_hf_I6__halfLi32ELi3ELi16ELi8ELi2ELi5EEviiiiiiPKT_S3_S3_PS1_ii
    .private_segment_fixed_size: 0
    .sgpr_count:     52
    .sgpr_spill_count: 0
    .symbol:         _Z12wvSplitK_hf_I6__halfLi32ELi3ELi16ELi8ELi2ELi5EEviiiiiiPKT_S3_S3_PS1_ii.kd
    .uniform_work_group_size: 1
    .uses_dynamic_stack: false
    .vgpr_count:     109
    .vgpr_spill_count: 0
    .wavefront_size: 64
  - .agpr_count:     0
    .args:
      - .offset:         0
        .size:           4
        .value_kind:     by_value
      - .offset:         4
        .size:           4
        .value_kind:     by_value
      - .offset:         8
        .size:           4
        .value_kind:     by_value
      - .offset:         12
        .size:           4
        .value_kind:     by_value
      - .offset:         16
        .size:           4
        .value_kind:     by_value
      - .offset:         20
        .size:           4
        .value_kind:     by_value
      - .address_space:  global
        .offset:         24
        .size:           8
        .value_kind:     global_buffer
      - .actual_access:  read_only
        .address_space:  global
        .offset:         32
        .size:           8
        .value_kind:     global_buffer
      - .actual_access:  read_only
        .address_space:  global
        .offset:         40
        .size:           8
        .value_kind:     global_buffer
      - .address_space:  global
        .offset:         48
        .size:           8
        .value_kind:     global_buffer
      - .offset:         56
        .size:           4
        .value_kind:     by_value
      - .offset:         60
        .size:           4
        .value_kind:     by_value
    .group_segment_fixed_size: 65536
    .kernarg_segment_align: 8
    .kernarg_segment_size: 64
    .language:       OpenCL C
    .language_version:
      - 2
      - 0
    .max_flat_workgroup_size: 512
    .name:           _Z16wvSplitK_hf_big_I6__halfLi32ELi3ELi16ELi8ELi2ELi5EEviiiiiiPKT_S3_S3_PS1_ii
    .private_segment_fixed_size: 0
    .sgpr_count:     62
    .sgpr_spill_count: 0
    .symbol:         _Z16wvSplitK_hf_big_I6__halfLi32ELi3ELi16ELi8ELi2ELi5EEviiiiiiPKT_S3_S3_PS1_ii.kd
    .uniform_work_group_size: 1
    .uses_dynamic_stack: false
    .vgpr_count:     104
    .vgpr_spill_count: 0
    .wavefront_size: 64
  - .agpr_count:     0
    .args:
      - .offset:         0
        .size:           4
        .value_kind:     by_value
      - .offset:         4
        .size:           4
        .value_kind:     by_value
      - .offset:         8
        .size:           4
        .value_kind:     by_value
      - .offset:         12
        .size:           4
        .value_kind:     by_value
      - .offset:         16
        .size:           4
        .value_kind:     by_value
      - .offset:         20
        .size:           4
        .value_kind:     by_value
      - .address_space:  global
        .offset:         24
        .size:           8
        .value_kind:     global_buffer
      - .actual_access:  read_only
        .address_space:  global
        .offset:         32
        .size:           8
        .value_kind:     global_buffer
      - .actual_access:  read_only
        .address_space:  global
        .offset:         40
        .size:           8
        .value_kind:     global_buffer
      - .address_space:  global
        .offset:         48
        .size:           8
        .value_kind:     global_buffer
      - .offset:         56
        .size:           4
        .value_kind:     by_value
      - .offset:         60
        .size:           4
        .value_kind:     by_value
    .group_segment_fixed_size: 65536
    .kernarg_segment_align: 8
    .kernarg_segment_size: 64
    .language:       OpenCL C
    .language_version:
      - 2
      - 0
    .max_flat_workgroup_size: 512
    .name:           _Z16wvSplitK_hf_sml_I6__halfLi32ELi4ELi16ELi8ELi1ELi5EEviiiiiiPKT_S3_S3_PS1_ii
    .private_segment_fixed_size: 0
    .sgpr_count:     40
    .sgpr_spill_count: 0
    .symbol:         _Z16wvSplitK_hf_sml_I6__halfLi32ELi4ELi16ELi8ELi1ELi5EEviiiiiiPKT_S3_S3_PS1_ii.kd
    .uniform_work_group_size: 1
    .uses_dynamic_stack: false
    .vgpr_count:     88
    .vgpr_spill_count: 0
    .wavefront_size: 64
  - .agpr_count:     0
    .args:
      - .offset:         0
        .size:           4
        .value_kind:     by_value
      - .offset:         4
        .size:           4
        .value_kind:     by_value
      - .offset:         8
        .size:           4
        .value_kind:     by_value
      - .offset:         12
        .size:           4
        .value_kind:     by_value
      - .offset:         16
        .size:           4
        .value_kind:     by_value
      - .offset:         20
        .size:           4
        .value_kind:     by_value
      - .address_space:  global
        .offset:         24
        .size:           8
        .value_kind:     global_buffer
      - .actual_access:  read_only
        .address_space:  global
        .offset:         32
        .size:           8
        .value_kind:     global_buffer
      - .actual_access:  read_only
        .address_space:  global
        .offset:         40
        .size:           8
        .value_kind:     global_buffer
      - .address_space:  global
        .offset:         48
        .size:           8
        .value_kind:     global_buffer
      - .offset:         56
        .size:           4
        .value_kind:     by_value
      - .offset:         60
        .size:           4
        .value_kind:     by_value
    .group_segment_fixed_size: 65536
    .kernarg_segment_align: 8
    .kernarg_segment_size: 64
    .language:       OpenCL C
    .language_version:
      - 2
      - 0
    .max_flat_workgroup_size: 512
    .name:           _Z12wvSplitK_hf_I6__halfLi32ELi4ELi16ELi8ELi1ELi5EEviiiiiiPKT_S3_S3_PS1_ii
    .private_segment_fixed_size: 0
    .sgpr_count:     52
    .sgpr_spill_count: 0
    .symbol:         _Z12wvSplitK_hf_I6__halfLi32ELi4ELi16ELi8ELi1ELi5EEviiiiiiPKT_S3_S3_PS1_ii.kd
    .uniform_work_group_size: 1
    .uses_dynamic_stack: false
    .vgpr_count:     96
    .vgpr_spill_count: 0
    .wavefront_size: 64
  - .agpr_count:     0
    .args:
      - .offset:         0
        .size:           4
        .value_kind:     by_value
      - .offset:         4
        .size:           4
        .value_kind:     by_value
      - .offset:         8
        .size:           4
        .value_kind:     by_value
      - .offset:         12
        .size:           4
        .value_kind:     by_value
      - .offset:         16
        .size:           4
        .value_kind:     by_value
      - .offset:         20
        .size:           4
        .value_kind:     by_value
      - .address_space:  global
        .offset:         24
        .size:           8
        .value_kind:     global_buffer
      - .actual_access:  read_only
        .address_space:  global
        .offset:         32
        .size:           8
        .value_kind:     global_buffer
      - .actual_access:  read_only
        .address_space:  global
        .offset:         40
        .size:           8
        .value_kind:     global_buffer
      - .address_space:  global
        .offset:         48
        .size:           8
        .value_kind:     global_buffer
      - .offset:         56
        .size:           4
        .value_kind:     by_value
      - .offset:         60
        .size:           4
        .value_kind:     by_value
    .group_segment_fixed_size: 65536
    .kernarg_segment_align: 8
    .kernarg_segment_size: 64
    .language:       OpenCL C
    .language_version:
      - 2
      - 0
    .max_flat_workgroup_size: 512
    .name:           _Z16wvSplitK_hf_big_I6__halfLi32ELi4ELi16ELi8ELi1ELi5EEviiiiiiPKT_S3_S3_PS1_ii
    .private_segment_fixed_size: 0
    .sgpr_count:     62
    .sgpr_spill_count: 0
    .symbol:         _Z16wvSplitK_hf_big_I6__halfLi32ELi4ELi16ELi8ELi1ELi5EEviiiiiiPKT_S3_S3_PS1_ii.kd
    .uniform_work_group_size: 1
    .uses_dynamic_stack: false
    .vgpr_count:     96
    .vgpr_spill_count: 0
    .wavefront_size: 64
  - .agpr_count:     0
    .args:
      - .offset:         0
        .size:           4
        .value_kind:     by_value
      - .offset:         4
        .size:           4
        .value_kind:     by_value
      - .offset:         8
        .size:           4
        .value_kind:     by_value
      - .offset:         12
        .size:           4
        .value_kind:     by_value
      - .offset:         16
        .size:           4
        .value_kind:     by_value
      - .offset:         20
        .size:           4
        .value_kind:     by_value
      - .address_space:  global
        .offset:         24
        .size:           8
        .value_kind:     global_buffer
      - .actual_access:  read_only
        .address_space:  global
        .offset:         32
        .size:           8
        .value_kind:     global_buffer
      - .actual_access:  read_only
        .address_space:  global
        .offset:         40
        .size:           8
        .value_kind:     global_buffer
      - .address_space:  global
        .offset:         48
        .size:           8
        .value_kind:     global_buffer
      - .offset:         56
        .size:           4
        .value_kind:     by_value
      - .offset:         60
        .size:           4
        .value_kind:     by_value
    .group_segment_fixed_size: 65536
    .kernarg_segment_align: 8
    .kernarg_segment_size: 64
    .language:       OpenCL C
    .language_version:
      - 2
      - 0
    .max_flat_workgroup_size: 512
    .name:           _Z16wvSplitK_hf_sml_I6__halfLi32ELi4ELi16ELi8ELi2ELi5EEviiiiiiPKT_S3_S3_PS1_ii
    .private_segment_fixed_size: 0
    .sgpr_count:     41
    .sgpr_spill_count: 0
    .symbol:         _Z16wvSplitK_hf_sml_I6__halfLi32ELi4ELi16ELi8ELi2ELi5EEviiiiiiPKT_S3_S3_PS1_ii.kd
    .uniform_work_group_size: 1
    .uses_dynamic_stack: false
    .vgpr_count:     111
    .vgpr_spill_count: 0
    .wavefront_size: 64
  - .agpr_count:     0
    .args:
      - .offset:         0
        .size:           4
        .value_kind:     by_value
      - .offset:         4
        .size:           4
        .value_kind:     by_value
      - .offset:         8
        .size:           4
        .value_kind:     by_value
      - .offset:         12
        .size:           4
        .value_kind:     by_value
      - .offset:         16
        .size:           4
        .value_kind:     by_value
      - .offset:         20
        .size:           4
        .value_kind:     by_value
      - .address_space:  global
        .offset:         24
        .size:           8
        .value_kind:     global_buffer
      - .actual_access:  read_only
        .address_space:  global
        .offset:         32
        .size:           8
        .value_kind:     global_buffer
      - .actual_access:  read_only
        .address_space:  global
        .offset:         40
        .size:           8
        .value_kind:     global_buffer
      - .address_space:  global
        .offset:         48
        .size:           8
        .value_kind:     global_buffer
      - .offset:         56
        .size:           4
        .value_kind:     by_value
      - .offset:         60
        .size:           4
        .value_kind:     by_value
    .group_segment_fixed_size: 65536
    .kernarg_segment_align: 8
    .kernarg_segment_size: 64
    .language:       OpenCL C
    .language_version:
      - 2
      - 0
    .max_flat_workgroup_size: 512
    .name:           _Z12wvSplitK_hf_I6__halfLi32ELi4ELi16ELi8ELi2ELi5EEviiiiiiPKT_S3_S3_PS1_ii
    .private_segment_fixed_size: 0
    .sgpr_count:     52
    .sgpr_spill_count: 0
    .symbol:         _Z12wvSplitK_hf_I6__halfLi32ELi4ELi16ELi8ELi2ELi5EEviiiiiiPKT_S3_S3_PS1_ii.kd
    .uniform_work_group_size: 1
    .uses_dynamic_stack: false
    .vgpr_count:     126
    .vgpr_spill_count: 0
    .wavefront_size: 64
  - .agpr_count:     0
    .args:
      - .offset:         0
        .size:           4
        .value_kind:     by_value
      - .offset:         4
        .size:           4
        .value_kind:     by_value
      - .offset:         8
        .size:           4
        .value_kind:     by_value
      - .offset:         12
        .size:           4
        .value_kind:     by_value
      - .offset:         16
        .size:           4
        .value_kind:     by_value
      - .offset:         20
        .size:           4
        .value_kind:     by_value
      - .address_space:  global
        .offset:         24
        .size:           8
        .value_kind:     global_buffer
      - .actual_access:  read_only
        .address_space:  global
        .offset:         32
        .size:           8
        .value_kind:     global_buffer
      - .actual_access:  read_only
        .address_space:  global
        .offset:         40
        .size:           8
        .value_kind:     global_buffer
      - .address_space:  global
        .offset:         48
        .size:           8
        .value_kind:     global_buffer
      - .offset:         56
        .size:           4
        .value_kind:     by_value
      - .offset:         60
        .size:           4
        .value_kind:     by_value
    .group_segment_fixed_size: 65536
    .kernarg_segment_align: 8
    .kernarg_segment_size: 64
    .language:       OpenCL C
    .language_version:
      - 2
      - 0
    .max_flat_workgroup_size: 512
    .name:           _Z16wvSplitK_hf_big_I6__halfLi32ELi4ELi16ELi8ELi2ELi5EEviiiiiiPKT_S3_S3_PS1_ii
    .private_segment_fixed_size: 0
    .sgpr_count:     62
    .sgpr_spill_count: 0
    .symbol:         _Z16wvSplitK_hf_big_I6__halfLi32ELi4ELi16ELi8ELi2ELi5EEviiiiiiPKT_S3_S3_PS1_ii.kd
    .uniform_work_group_size: 1
    .uses_dynamic_stack: false
    .vgpr_count:     120
    .vgpr_spill_count: 0
    .wavefront_size: 64
  - .agpr_count:     0
    .args:
      - .offset:         0
        .size:           4
        .value_kind:     by_value
      - .offset:         4
        .size:           4
        .value_kind:     by_value
      - .offset:         8
        .size:           4
        .value_kind:     by_value
      - .offset:         12
        .size:           4
        .value_kind:     by_value
      - .offset:         16
        .size:           4
        .value_kind:     by_value
      - .offset:         20
        .size:           4
        .value_kind:     by_value
      - .address_space:  global
        .offset:         24
        .size:           8
        .value_kind:     global_buffer
      - .actual_access:  read_only
        .address_space:  global
        .offset:         32
        .size:           8
        .value_kind:     global_buffer
      - .actual_access:  read_only
        .address_space:  global
        .offset:         40
        .size:           8
        .value_kind:     global_buffer
      - .address_space:  global
        .offset:         48
        .size:           8
        .value_kind:     global_buffer
      - .offset:         56
        .size:           4
        .value_kind:     by_value
      - .offset:         60
        .size:           4
        .value_kind:     by_value
    .group_segment_fixed_size: 65536
    .kernarg_segment_align: 8
    .kernarg_segment_size: 64
    .language:       OpenCL C
    .language_version:
      - 2
      - 0
    .max_flat_workgroup_size: 1024
    .name:           _Z16wvSplitK_hf_sml_I6__halfLi64ELi1ELi16ELi8ELi4ELi5EEviiiiiiPKT_S3_S3_PS1_ii
    .private_segment_fixed_size: 0
    .sgpr_count:     45
    .sgpr_spill_count: 0
    .symbol:         _Z16wvSplitK_hf_sml_I6__halfLi64ELi1ELi16ELi8ELi4ELi5EEviiiiiiPKT_S3_S3_PS1_ii.kd
    .uniform_work_group_size: 1
    .uses_dynamic_stack: false
    .vgpr_count:     116
    .vgpr_spill_count: 0
    .wavefront_size: 64
  - .agpr_count:     0
    .args:
      - .offset:         0
        .size:           4
        .value_kind:     by_value
      - .offset:         4
        .size:           4
        .value_kind:     by_value
      - .offset:         8
        .size:           4
        .value_kind:     by_value
      - .offset:         12
        .size:           4
        .value_kind:     by_value
      - .offset:         16
        .size:           4
        .value_kind:     by_value
      - .offset:         20
        .size:           4
        .value_kind:     by_value
      - .address_space:  global
        .offset:         24
        .size:           8
        .value_kind:     global_buffer
      - .actual_access:  read_only
        .address_space:  global
        .offset:         32
        .size:           8
        .value_kind:     global_buffer
      - .actual_access:  read_only
        .address_space:  global
        .offset:         40
        .size:           8
        .value_kind:     global_buffer
      - .address_space:  global
        .offset:         48
        .size:           8
        .value_kind:     global_buffer
      - .offset:         56
        .size:           4
        .value_kind:     by_value
      - .offset:         60
        .size:           4
        .value_kind:     by_value
    .group_segment_fixed_size: 65536
    .kernarg_segment_align: 8
    .kernarg_segment_size: 64
    .language:       OpenCL C
    .language_version:
      - 2
      - 0
    .max_flat_workgroup_size: 1024
    .name:           _Z12wvSplitK_hf_I6__halfLi64ELi1ELi16ELi8ELi4ELi5EEviiiiiiPKT_S3_S3_PS1_ii
    .private_segment_fixed_size: 0
    .sgpr_count:     53
    .sgpr_spill_count: 0
    .symbol:         _Z12wvSplitK_hf_I6__halfLi64ELi1ELi16ELi8ELi4ELi5EEviiiiiiPKT_S3_S3_PS1_ii.kd
    .uniform_work_group_size: 1
    .uses_dynamic_stack: false
    .vgpr_count:     127
    .vgpr_spill_count: 0
    .wavefront_size: 64
  - .agpr_count:     0
    .args:
      - .offset:         0
        .size:           4
        .value_kind:     by_value
      - .offset:         4
        .size:           4
        .value_kind:     by_value
      - .offset:         8
        .size:           4
        .value_kind:     by_value
      - .offset:         12
        .size:           4
        .value_kind:     by_value
      - .offset:         16
        .size:           4
        .value_kind:     by_value
      - .offset:         20
        .size:           4
        .value_kind:     by_value
      - .address_space:  global
        .offset:         24
        .size:           8
        .value_kind:     global_buffer
      - .actual_access:  read_only
        .address_space:  global
        .offset:         32
        .size:           8
        .value_kind:     global_buffer
      - .actual_access:  read_only
        .address_space:  global
        .offset:         40
        .size:           8
        .value_kind:     global_buffer
      - .address_space:  global
        .offset:         48
        .size:           8
        .value_kind:     global_buffer
      - .offset:         56
        .size:           4
        .value_kind:     by_value
      - .offset:         60
        .size:           4
        .value_kind:     by_value
    .group_segment_fixed_size: 65536
    .kernarg_segment_align: 8
    .kernarg_segment_size: 64
    .language:       OpenCL C
    .language_version:
      - 2
      - 0
    .max_flat_workgroup_size: 1024
    .name:           _Z16wvSplitK_hf_big_I6__halfLi64ELi1ELi16ELi8ELi4ELi5EEviiiiiiPKT_S3_S3_PS1_ii
    .private_segment_fixed_size: 0
    .sgpr_count:     60
    .sgpr_spill_count: 0
    .symbol:         _Z16wvSplitK_hf_big_I6__halfLi64ELi1ELi16ELi8ELi4ELi5EEviiiiiiPKT_S3_S3_PS1_ii.kd
    .uniform_work_group_size: 1
    .uses_dynamic_stack: false
    .vgpr_count:     122
    .vgpr_spill_count: 0
    .wavefront_size: 64
  - .agpr_count:     0
    .args:
      - .offset:         0
        .size:           4
        .value_kind:     by_value
      - .offset:         4
        .size:           4
        .value_kind:     by_value
      - .offset:         8
        .size:           4
        .value_kind:     by_value
      - .offset:         12
        .size:           4
        .value_kind:     by_value
      - .offset:         16
        .size:           4
        .value_kind:     by_value
      - .offset:         20
        .size:           4
        .value_kind:     by_value
      - .address_space:  global
        .offset:         24
        .size:           8
        .value_kind:     global_buffer
      - .actual_access:  read_only
        .address_space:  global
        .offset:         32
        .size:           8
        .value_kind:     global_buffer
      - .actual_access:  read_only
        .address_space:  global
        .offset:         40
        .size:           8
        .value_kind:     global_buffer
      - .address_space:  global
        .offset:         48
        .size:           8
        .value_kind:     global_buffer
      - .offset:         56
        .size:           4
        .value_kind:     by_value
      - .offset:         60
        .size:           4
        .value_kind:     by_value
    .group_segment_fixed_size: 65536
    .kernarg_segment_align: 8
    .kernarg_segment_size: 64
    .language:       OpenCL C
    .language_version:
      - 2
      - 0
    .max_flat_workgroup_size: 1024
    .name:           _Z16wvSplitK_hf_sml_I6__halfLi64ELi2ELi16ELi8ELi2ELi5EEviiiiiiPKT_S3_S3_PS1_ii
    .private_segment_fixed_size: 0
    .sgpr_count:     41
    .sgpr_spill_count: 0
    .symbol:         _Z16wvSplitK_hf_sml_I6__halfLi64ELi2ELi16ELi8ELi2ELi5EEviiiiiiPKT_S3_S3_PS1_ii.kd
    .uniform_work_group_size: 1
    .uses_dynamic_stack: false
    .vgpr_count:     81
    .vgpr_spill_count: 0
    .wavefront_size: 64
  - .agpr_count:     0
    .args:
      - .offset:         0
        .size:           4
        .value_kind:     by_value
      - .offset:         4
        .size:           4
        .value_kind:     by_value
      - .offset:         8
        .size:           4
        .value_kind:     by_value
      - .offset:         12
        .size:           4
        .value_kind:     by_value
      - .offset:         16
        .size:           4
        .value_kind:     by_value
      - .offset:         20
        .size:           4
        .value_kind:     by_value
      - .address_space:  global
        .offset:         24
        .size:           8
        .value_kind:     global_buffer
      - .actual_access:  read_only
        .address_space:  global
        .offset:         32
        .size:           8
        .value_kind:     global_buffer
      - .actual_access:  read_only
        .address_space:  global
        .offset:         40
        .size:           8
        .value_kind:     global_buffer
      - .address_space:  global
        .offset:         48
        .size:           8
        .value_kind:     global_buffer
      - .offset:         56
        .size:           4
        .value_kind:     by_value
      - .offset:         60
        .size:           4
        .value_kind:     by_value
    .group_segment_fixed_size: 65536
    .kernarg_segment_align: 8
    .kernarg_segment_size: 64
    .language:       OpenCL C
    .language_version:
      - 2
      - 0
    .max_flat_workgroup_size: 1024
    .name:           _Z12wvSplitK_hf_I6__halfLi64ELi2ELi16ELi8ELi2ELi5EEviiiiiiPKT_S3_S3_PS1_ii
    .private_segment_fixed_size: 0
    .sgpr_count:     52
    .sgpr_spill_count: 0
    .symbol:         _Z12wvSplitK_hf_I6__halfLi64ELi2ELi16ELi8ELi2ELi5EEviiiiiiPKT_S3_S3_PS1_ii.kd
    .uniform_work_group_size: 1
    .uses_dynamic_stack: false
    .vgpr_count:     92
    .vgpr_spill_count: 0
    .wavefront_size: 64
  - .agpr_count:     0
    .args:
      - .offset:         0
        .size:           4
        .value_kind:     by_value
      - .offset:         4
        .size:           4
        .value_kind:     by_value
      - .offset:         8
        .size:           4
        .value_kind:     by_value
      - .offset:         12
        .size:           4
        .value_kind:     by_value
      - .offset:         16
        .size:           4
        .value_kind:     by_value
      - .offset:         20
        .size:           4
        .value_kind:     by_value
      - .address_space:  global
        .offset:         24
        .size:           8
        .value_kind:     global_buffer
      - .actual_access:  read_only
        .address_space:  global
        .offset:         32
        .size:           8
        .value_kind:     global_buffer
      - .actual_access:  read_only
        .address_space:  global
        .offset:         40
        .size:           8
        .value_kind:     global_buffer
      - .address_space:  global
        .offset:         48
        .size:           8
        .value_kind:     global_buffer
      - .offset:         56
        .size:           4
        .value_kind:     by_value
      - .offset:         60
        .size:           4
        .value_kind:     by_value
    .group_segment_fixed_size: 65536
    .kernarg_segment_align: 8
    .kernarg_segment_size: 64
    .language:       OpenCL C
    .language_version:
      - 2
      - 0
    .max_flat_workgroup_size: 1024
    .name:           _Z16wvSplitK_hf_big_I6__halfLi64ELi2ELi16ELi8ELi2ELi5EEviiiiiiPKT_S3_S3_PS1_ii
    .private_segment_fixed_size: 0
    .sgpr_count:     62
    .sgpr_spill_count: 0
    .symbol:         _Z16wvSplitK_hf_big_I6__halfLi64ELi2ELi16ELi8ELi2ELi5EEviiiiiiPKT_S3_S3_PS1_ii.kd
    .uniform_work_group_size: 1
    .uses_dynamic_stack: false
    .vgpr_count:     88
    .vgpr_spill_count: 0
    .wavefront_size: 64
  - .agpr_count:     0
    .args:
      - .offset:         0
        .size:           4
        .value_kind:     by_value
      - .offset:         4
        .size:           4
        .value_kind:     by_value
      - .offset:         8
        .size:           4
        .value_kind:     by_value
      - .offset:         12
        .size:           4
        .value_kind:     by_value
      - .offset:         16
        .size:           4
        .value_kind:     by_value
      - .offset:         20
        .size:           4
        .value_kind:     by_value
      - .address_space:  global
        .offset:         24
        .size:           8
        .value_kind:     global_buffer
      - .actual_access:  read_only
        .address_space:  global
        .offset:         32
        .size:           8
        .value_kind:     global_buffer
      - .actual_access:  read_only
        .address_space:  global
        .offset:         40
        .size:           8
        .value_kind:     global_buffer
      - .address_space:  global
        .offset:         48
        .size:           8
        .value_kind:     global_buffer
      - .offset:         56
        .size:           4
        .value_kind:     by_value
      - .offset:         60
        .size:           4
        .value_kind:     by_value
    .group_segment_fixed_size: 65536
    .kernarg_segment_align: 8
    .kernarg_segment_size: 64
    .language:       OpenCL C
    .language_version:
      - 2
      - 0
    .max_flat_workgroup_size: 1024
    .name:           _Z16wvSplitK_hf_sml_I6__halfLi64ELi3ELi16ELi8ELi2ELi5EEviiiiiiPKT_S3_S3_PS1_ii
    .private_segment_fixed_size: 0
    .sgpr_count:     41
    .sgpr_spill_count: 0
    .symbol:         _Z16wvSplitK_hf_sml_I6__halfLi64ELi3ELi16ELi8ELi2ELi5EEviiiiiiPKT_S3_S3_PS1_ii.kd
    .uniform_work_group_size: 1
    .uses_dynamic_stack: false
    .vgpr_count:     98
    .vgpr_spill_count: 0
    .wavefront_size: 64
  - .agpr_count:     0
    .args:
      - .offset:         0
        .size:           4
        .value_kind:     by_value
      - .offset:         4
        .size:           4
        .value_kind:     by_value
      - .offset:         8
        .size:           4
        .value_kind:     by_value
      - .offset:         12
        .size:           4
        .value_kind:     by_value
      - .offset:         16
        .size:           4
        .value_kind:     by_value
      - .offset:         20
        .size:           4
        .value_kind:     by_value
      - .address_space:  global
        .offset:         24
        .size:           8
        .value_kind:     global_buffer
      - .actual_access:  read_only
        .address_space:  global
        .offset:         32
        .size:           8
        .value_kind:     global_buffer
      - .actual_access:  read_only
        .address_space:  global
        .offset:         40
        .size:           8
        .value_kind:     global_buffer
      - .address_space:  global
        .offset:         48
        .size:           8
        .value_kind:     global_buffer
      - .offset:         56
        .size:           4
        .value_kind:     by_value
      - .offset:         60
        .size:           4
        .value_kind:     by_value
    .group_segment_fixed_size: 65536
    .kernarg_segment_align: 8
    .kernarg_segment_size: 64
    .language:       OpenCL C
    .language_version:
      - 2
      - 0
    .max_flat_workgroup_size: 1024
    .name:           _Z12wvSplitK_hf_I6__halfLi64ELi3ELi16ELi8ELi2ELi5EEviiiiiiPKT_S3_S3_PS1_ii
    .private_segment_fixed_size: 0
    .sgpr_count:     52
    .sgpr_spill_count: 0
    .symbol:         _Z12wvSplitK_hf_I6__halfLi64ELi3ELi16ELi8ELi2ELi5EEviiiiiiPKT_S3_S3_PS1_ii.kd
    .uniform_work_group_size: 1
    .uses_dynamic_stack: false
    .vgpr_count:     109
    .vgpr_spill_count: 0
    .wavefront_size: 64
  - .agpr_count:     0
    .args:
      - .offset:         0
        .size:           4
        .value_kind:     by_value
      - .offset:         4
        .size:           4
        .value_kind:     by_value
      - .offset:         8
        .size:           4
        .value_kind:     by_value
      - .offset:         12
        .size:           4
        .value_kind:     by_value
      - .offset:         16
        .size:           4
        .value_kind:     by_value
      - .offset:         20
        .size:           4
        .value_kind:     by_value
      - .address_space:  global
        .offset:         24
        .size:           8
        .value_kind:     global_buffer
      - .actual_access:  read_only
        .address_space:  global
        .offset:         32
        .size:           8
        .value_kind:     global_buffer
      - .actual_access:  read_only
        .address_space:  global
        .offset:         40
        .size:           8
        .value_kind:     global_buffer
      - .address_space:  global
        .offset:         48
        .size:           8
        .value_kind:     global_buffer
      - .offset:         56
        .size:           4
        .value_kind:     by_value
      - .offset:         60
        .size:           4
        .value_kind:     by_value
    .group_segment_fixed_size: 65536
    .kernarg_segment_align: 8
    .kernarg_segment_size: 64
    .language:       OpenCL C
    .language_version:
      - 2
      - 0
    .max_flat_workgroup_size: 1024
    .name:           _Z16wvSplitK_hf_big_I6__halfLi64ELi3ELi16ELi8ELi2ELi5EEviiiiiiPKT_S3_S3_PS1_ii
    .private_segment_fixed_size: 0
    .sgpr_count:     62
    .sgpr_spill_count: 0
    .symbol:         _Z16wvSplitK_hf_big_I6__halfLi64ELi3ELi16ELi8ELi2ELi5EEviiiiiiPKT_S3_S3_PS1_ii.kd
    .uniform_work_group_size: 1
    .uses_dynamic_stack: false
    .vgpr_count:     104
    .vgpr_spill_count: 0
    .wavefront_size: 64
  - .agpr_count:     0
    .args:
      - .offset:         0
        .size:           4
        .value_kind:     by_value
      - .offset:         4
        .size:           4
        .value_kind:     by_value
      - .offset:         8
        .size:           4
        .value_kind:     by_value
      - .offset:         12
        .size:           4
        .value_kind:     by_value
      - .offset:         16
        .size:           4
        .value_kind:     by_value
      - .offset:         20
        .size:           4
        .value_kind:     by_value
      - .address_space:  global
        .offset:         24
        .size:           8
        .value_kind:     global_buffer
      - .actual_access:  read_only
        .address_space:  global
        .offset:         32
        .size:           8
        .value_kind:     global_buffer
      - .actual_access:  read_only
        .address_space:  global
        .offset:         40
        .size:           8
        .value_kind:     global_buffer
      - .address_space:  global
        .offset:         48
        .size:           8
        .value_kind:     global_buffer
      - .offset:         56
        .size:           4
        .value_kind:     by_value
      - .offset:         60
        .size:           4
        .value_kind:     by_value
    .group_segment_fixed_size: 65536
    .kernarg_segment_align: 8
    .kernarg_segment_size: 64
    .language:       OpenCL C
    .language_version:
      - 2
      - 0
    .max_flat_workgroup_size: 1024
    .name:           _Z16wvSplitK_hf_sml_I6__halfLi64ELi4ELi16ELi8ELi1ELi5EEviiiiiiPKT_S3_S3_PS1_ii
    .private_segment_fixed_size: 0
    .sgpr_count:     40
    .sgpr_spill_count: 0
    .symbol:         _Z16wvSplitK_hf_sml_I6__halfLi64ELi4ELi16ELi8ELi1ELi5EEviiiiiiPKT_S3_S3_PS1_ii.kd
    .uniform_work_group_size: 1
    .uses_dynamic_stack: false
    .vgpr_count:     84
    .vgpr_spill_count: 0
    .wavefront_size: 64
  - .agpr_count:     0
    .args:
      - .offset:         0
        .size:           4
        .value_kind:     by_value
      - .offset:         4
        .size:           4
        .value_kind:     by_value
      - .offset:         8
        .size:           4
        .value_kind:     by_value
      - .offset:         12
        .size:           4
        .value_kind:     by_value
      - .offset:         16
        .size:           4
        .value_kind:     by_value
      - .offset:         20
        .size:           4
        .value_kind:     by_value
      - .address_space:  global
        .offset:         24
        .size:           8
        .value_kind:     global_buffer
      - .actual_access:  read_only
        .address_space:  global
        .offset:         32
        .size:           8
        .value_kind:     global_buffer
      - .actual_access:  read_only
        .address_space:  global
        .offset:         40
        .size:           8
        .value_kind:     global_buffer
      - .address_space:  global
        .offset:         48
        .size:           8
        .value_kind:     global_buffer
      - .offset:         56
        .size:           4
        .value_kind:     by_value
      - .offset:         60
        .size:           4
        .value_kind:     by_value
    .group_segment_fixed_size: 65536
    .kernarg_segment_align: 8
    .kernarg_segment_size: 64
    .language:       OpenCL C
    .language_version:
      - 2
      - 0
    .max_flat_workgroup_size: 1024
    .name:           _Z12wvSplitK_hf_I6__halfLi64ELi4ELi16ELi8ELi1ELi5EEviiiiiiPKT_S3_S3_PS1_ii
    .private_segment_fixed_size: 0
    .sgpr_count:     52
    .sgpr_spill_count: 0
    .symbol:         _Z12wvSplitK_hf_I6__halfLi64ELi4ELi16ELi8ELi1ELi5EEviiiiiiPKT_S3_S3_PS1_ii.kd
    .uniform_work_group_size: 1
    .uses_dynamic_stack: false
    .vgpr_count:     92
    .vgpr_spill_count: 0
    .wavefront_size: 64
  - .agpr_count:     0
    .args:
      - .offset:         0
        .size:           4
        .value_kind:     by_value
      - .offset:         4
        .size:           4
        .value_kind:     by_value
      - .offset:         8
        .size:           4
        .value_kind:     by_value
      - .offset:         12
        .size:           4
        .value_kind:     by_value
      - .offset:         16
        .size:           4
        .value_kind:     by_value
      - .offset:         20
        .size:           4
        .value_kind:     by_value
      - .address_space:  global
        .offset:         24
        .size:           8
        .value_kind:     global_buffer
      - .actual_access:  read_only
        .address_space:  global
        .offset:         32
        .size:           8
        .value_kind:     global_buffer
      - .actual_access:  read_only
        .address_space:  global
        .offset:         40
        .size:           8
        .value_kind:     global_buffer
      - .address_space:  global
        .offset:         48
        .size:           8
        .value_kind:     global_buffer
      - .offset:         56
        .size:           4
        .value_kind:     by_value
      - .offset:         60
        .size:           4
        .value_kind:     by_value
    .group_segment_fixed_size: 65536
    .kernarg_segment_align: 8
    .kernarg_segment_size: 64
    .language:       OpenCL C
    .language_version:
      - 2
      - 0
    .max_flat_workgroup_size: 1024
    .name:           _Z16wvSplitK_hf_big_I6__halfLi64ELi4ELi16ELi8ELi1ELi5EEviiiiiiPKT_S3_S3_PS1_ii
    .private_segment_fixed_size: 0
    .sgpr_count:     62
    .sgpr_spill_count: 0
    .symbol:         _Z16wvSplitK_hf_big_I6__halfLi64ELi4ELi16ELi8ELi1ELi5EEviiiiiiPKT_S3_S3_PS1_ii.kd
    .uniform_work_group_size: 1
    .uses_dynamic_stack: false
    .vgpr_count:     92
    .vgpr_spill_count: 0
    .wavefront_size: 64
  - .agpr_count:     0
    .args:
      - .offset:         0
        .size:           4
        .value_kind:     by_value
      - .offset:         4
        .size:           4
        .value_kind:     by_value
      - .offset:         8
        .size:           4
        .value_kind:     by_value
      - .offset:         12
        .size:           4
        .value_kind:     by_value
      - .offset:         16
        .size:           4
        .value_kind:     by_value
      - .offset:         20
        .size:           4
        .value_kind:     by_value
      - .address_space:  global
        .offset:         24
        .size:           8
        .value_kind:     global_buffer
      - .actual_access:  read_only
        .address_space:  global
        .offset:         32
        .size:           8
        .value_kind:     global_buffer
      - .actual_access:  read_only
        .address_space:  global
        .offset:         40
        .size:           8
        .value_kind:     global_buffer
      - .address_space:  global
        .offset:         48
        .size:           8
        .value_kind:     global_buffer
      - .offset:         56
        .size:           4
        .value_kind:     by_value
      - .offset:         60
        .size:           4
        .value_kind:     by_value
    .group_segment_fixed_size: 65536
    .kernarg_segment_align: 8
    .kernarg_segment_size: 64
    .language:       OpenCL C
    .language_version:
      - 2
      - 0
    .max_flat_workgroup_size: 1024
    .name:           _Z16wvSplitK_hf_sml_I6__halfLi64ELi4ELi16ELi8ELi2ELi5EEviiiiiiPKT_S3_S3_PS1_ii
    .private_segment_fixed_size: 0
    .sgpr_count:     41
    .sgpr_spill_count: 0
    .symbol:         _Z16wvSplitK_hf_sml_I6__halfLi64ELi4ELi16ELi8ELi2ELi5EEviiiiiiPKT_S3_S3_PS1_ii.kd
    .uniform_work_group_size: 1
    .uses_dynamic_stack: false
    .vgpr_count:     111
    .vgpr_spill_count: 0
    .wavefront_size: 64
  - .agpr_count:     0
    .args:
      - .offset:         0
        .size:           4
        .value_kind:     by_value
      - .offset:         4
        .size:           4
        .value_kind:     by_value
      - .offset:         8
        .size:           4
        .value_kind:     by_value
      - .offset:         12
        .size:           4
        .value_kind:     by_value
      - .offset:         16
        .size:           4
        .value_kind:     by_value
      - .offset:         20
        .size:           4
        .value_kind:     by_value
      - .address_space:  global
        .offset:         24
        .size:           8
        .value_kind:     global_buffer
      - .actual_access:  read_only
        .address_space:  global
        .offset:         32
        .size:           8
        .value_kind:     global_buffer
      - .actual_access:  read_only
        .address_space:  global
        .offset:         40
        .size:           8
        .value_kind:     global_buffer
      - .address_space:  global
        .offset:         48
        .size:           8
        .value_kind:     global_buffer
      - .offset:         56
        .size:           4
        .value_kind:     by_value
      - .offset:         60
        .size:           4
        .value_kind:     by_value
    .group_segment_fixed_size: 65536
    .kernarg_segment_align: 8
    .kernarg_segment_size: 64
    .language:       OpenCL C
    .language_version:
      - 2
      - 0
    .max_flat_workgroup_size: 1024
    .name:           _Z12wvSplitK_hf_I6__halfLi64ELi4ELi16ELi8ELi2ELi5EEviiiiiiPKT_S3_S3_PS1_ii
    .private_segment_fixed_size: 0
    .sgpr_count:     52
    .sgpr_spill_count: 0
    .symbol:         _Z12wvSplitK_hf_I6__halfLi64ELi4ELi16ELi8ELi2ELi5EEviiiiiiPKT_S3_S3_PS1_ii.kd
    .uniform_work_group_size: 1
    .uses_dynamic_stack: false
    .vgpr_count:     126
    .vgpr_spill_count: 0
    .wavefront_size: 64
  - .agpr_count:     0
    .args:
      - .offset:         0
        .size:           4
        .value_kind:     by_value
      - .offset:         4
        .size:           4
        .value_kind:     by_value
      - .offset:         8
        .size:           4
        .value_kind:     by_value
      - .offset:         12
        .size:           4
        .value_kind:     by_value
      - .offset:         16
        .size:           4
        .value_kind:     by_value
      - .offset:         20
        .size:           4
        .value_kind:     by_value
      - .address_space:  global
        .offset:         24
        .size:           8
        .value_kind:     global_buffer
      - .actual_access:  read_only
        .address_space:  global
        .offset:         32
        .size:           8
        .value_kind:     global_buffer
      - .actual_access:  read_only
        .address_space:  global
        .offset:         40
        .size:           8
        .value_kind:     global_buffer
      - .address_space:  global
        .offset:         48
        .size:           8
        .value_kind:     global_buffer
      - .offset:         56
        .size:           4
        .value_kind:     by_value
      - .offset:         60
        .size:           4
        .value_kind:     by_value
    .group_segment_fixed_size: 65536
    .kernarg_segment_align: 8
    .kernarg_segment_size: 64
    .language:       OpenCL C
    .language_version:
      - 2
      - 0
    .max_flat_workgroup_size: 1024
    .name:           _Z16wvSplitK_hf_big_I6__halfLi64ELi4ELi16ELi8ELi2ELi5EEviiiiiiPKT_S3_S3_PS1_ii
    .private_segment_fixed_size: 0
    .sgpr_count:     62
    .sgpr_spill_count: 0
    .symbol:         _Z16wvSplitK_hf_big_I6__halfLi64ELi4ELi16ELi8ELi2ELi5EEviiiiiiPKT_S3_S3_PS1_ii.kd
    .uniform_work_group_size: 1
    .uses_dynamic_stack: false
    .vgpr_count:     120
    .vgpr_spill_count: 0
    .wavefront_size: 64
  - .agpr_count:     0
    .args:
      - .offset:         0
        .size:           4
        .value_kind:     by_value
      - .offset:         4
        .size:           4
        .value_kind:     by_value
      - .offset:         8
        .size:           4
        .value_kind:     by_value
      - .offset:         12
        .size:           4
        .value_kind:     by_value
      - .offset:         16
        .size:           4
        .value_kind:     by_value
      - .offset:         20
        .size:           4
        .value_kind:     by_value
      - .address_space:  global
        .offset:         24
        .size:           8
        .value_kind:     global_buffer
      - .actual_access:  read_only
        .address_space:  global
        .offset:         32
        .size:           8
        .value_kind:     global_buffer
      - .actual_access:  read_only
        .address_space:  global
        .offset:         40
        .size:           8
        .value_kind:     global_buffer
      - .address_space:  global
        .offset:         48
        .size:           8
        .value_kind:     global_buffer
      - .offset:         56
        .size:           4
        .value_kind:     by_value
      - .offset:         60
        .size:           4
        .value_kind:     by_value
    .group_segment_fixed_size: 65536
    .kernarg_segment_align: 8
    .kernarg_segment_size: 64
    .language:       OpenCL C
    .language_version:
      - 2
      - 0
    .max_flat_workgroup_size: 512
    .name:           _Z16wvSplitK_hf_sml_I14__hip_bfloat16Li32ELi1ELi16ELi8ELi4ELi1EEviiiiiiPKT_S3_S3_PS1_ii
    .private_segment_fixed_size: 0
    .sgpr_count:     38
    .sgpr_spill_count: 0
    .symbol:         _Z16wvSplitK_hf_sml_I14__hip_bfloat16Li32ELi1ELi16ELi8ELi4ELi1EEviiiiiiPKT_S3_S3_PS1_ii.kd
    .uniform_work_group_size: 1
    .uses_dynamic_stack: false
    .vgpr_count:     48
    .vgpr_spill_count: 0
    .wavefront_size: 64
  - .agpr_count:     0
    .args:
      - .offset:         0
        .size:           4
        .value_kind:     by_value
      - .offset:         4
        .size:           4
        .value_kind:     by_value
      - .offset:         8
        .size:           4
        .value_kind:     by_value
      - .offset:         12
        .size:           4
        .value_kind:     by_value
      - .offset:         16
        .size:           4
        .value_kind:     by_value
      - .offset:         20
        .size:           4
        .value_kind:     by_value
      - .address_space:  global
        .offset:         24
        .size:           8
        .value_kind:     global_buffer
      - .actual_access:  read_only
        .address_space:  global
        .offset:         32
        .size:           8
        .value_kind:     global_buffer
      - .actual_access:  read_only
        .address_space:  global
        .offset:         40
        .size:           8
        .value_kind:     global_buffer
      - .address_space:  global
        .offset:         48
        .size:           8
        .value_kind:     global_buffer
      - .offset:         56
        .size:           4
        .value_kind:     by_value
      - .offset:         60
        .size:           4
        .value_kind:     by_value
    .group_segment_fixed_size: 65536
    .kernarg_segment_align: 8
    .kernarg_segment_size: 64
    .language:       OpenCL C
    .language_version:
      - 2
      - 0
    .max_flat_workgroup_size: 512
    .name:           _Z12wvSplitK_hf_I14__hip_bfloat16Li32ELi1ELi16ELi8ELi4ELi1EEviiiiiiPKT_S3_S3_PS1_ii
    .private_segment_fixed_size: 0
    .sgpr_count:     48
    .sgpr_spill_count: 0
    .symbol:         _Z12wvSplitK_hf_I14__hip_bfloat16Li32ELi1ELi16ELi8ELi4ELi1EEviiiiiiPKT_S3_S3_PS1_ii.kd
    .uniform_work_group_size: 1
    .uses_dynamic_stack: false
    .vgpr_count:     54
    .vgpr_spill_count: 0
    .wavefront_size: 64
  - .agpr_count:     0
    .args:
      - .offset:         0
        .size:           4
        .value_kind:     by_value
      - .offset:         4
        .size:           4
        .value_kind:     by_value
      - .offset:         8
        .size:           4
        .value_kind:     by_value
      - .offset:         12
        .size:           4
        .value_kind:     by_value
      - .offset:         16
        .size:           4
        .value_kind:     by_value
      - .offset:         20
        .size:           4
        .value_kind:     by_value
      - .address_space:  global
        .offset:         24
        .size:           8
        .value_kind:     global_buffer
      - .actual_access:  read_only
        .address_space:  global
        .offset:         32
        .size:           8
        .value_kind:     global_buffer
      - .actual_access:  read_only
        .address_space:  global
        .offset:         40
        .size:           8
        .value_kind:     global_buffer
      - .address_space:  global
        .offset:         48
        .size:           8
        .value_kind:     global_buffer
      - .offset:         56
        .size:           4
        .value_kind:     by_value
      - .offset:         60
        .size:           4
        .value_kind:     by_value
    .group_segment_fixed_size: 65536
    .kernarg_segment_align: 8
    .kernarg_segment_size: 64
    .language:       OpenCL C
    .language_version:
      - 2
      - 0
    .max_flat_workgroup_size: 512
    .name:           _Z16wvSplitK_hf_big_I14__hip_bfloat16Li32ELi1ELi16ELi8ELi4ELi1EEviiiiiiPKT_S3_S3_PS1_ii
    .private_segment_fixed_size: 0
    .sgpr_count:     54
    .sgpr_spill_count: 0
    .symbol:         _Z16wvSplitK_hf_big_I14__hip_bfloat16Li32ELi1ELi16ELi8ELi4ELi1EEviiiiiiPKT_S3_S3_PS1_ii.kd
    .uniform_work_group_size: 1
    .uses_dynamic_stack: false
    .vgpr_count:     50
    .vgpr_spill_count: 0
    .wavefront_size: 64
  - .agpr_count:     0
    .args:
      - .offset:         0
        .size:           4
        .value_kind:     by_value
      - .offset:         4
        .size:           4
        .value_kind:     by_value
      - .offset:         8
        .size:           4
        .value_kind:     by_value
      - .offset:         12
        .size:           4
        .value_kind:     by_value
      - .offset:         16
        .size:           4
        .value_kind:     by_value
      - .offset:         20
        .size:           4
        .value_kind:     by_value
      - .address_space:  global
        .offset:         24
        .size:           8
        .value_kind:     global_buffer
      - .actual_access:  read_only
        .address_space:  global
        .offset:         32
        .size:           8
        .value_kind:     global_buffer
      - .actual_access:  read_only
        .address_space:  global
        .offset:         40
        .size:           8
        .value_kind:     global_buffer
      - .address_space:  global
        .offset:         48
        .size:           8
        .value_kind:     global_buffer
      - .offset:         56
        .size:           4
        .value_kind:     by_value
      - .offset:         60
        .size:           4
        .value_kind:     by_value
    .group_segment_fixed_size: 65536
    .kernarg_segment_align: 8
    .kernarg_segment_size: 64
    .language:       OpenCL C
    .language_version:
      - 2
      - 0
    .max_flat_workgroup_size: 512
    .name:           _Z16wvSplitK_hf_sml_I14__hip_bfloat16Li32ELi2ELi16ELi8ELi2ELi1EEviiiiiiPKT_S3_S3_PS1_ii
    .private_segment_fixed_size: 0
    .sgpr_count:     34
    .sgpr_spill_count: 0
    .symbol:         _Z16wvSplitK_hf_sml_I14__hip_bfloat16Li32ELi2ELi16ELi8ELi2ELi1EEviiiiiiPKT_S3_S3_PS1_ii.kd
    .uniform_work_group_size: 1
    .uses_dynamic_stack: false
    .vgpr_count:     44
    .vgpr_spill_count: 0
    .wavefront_size: 64
  - .agpr_count:     0
    .args:
      - .offset:         0
        .size:           4
        .value_kind:     by_value
      - .offset:         4
        .size:           4
        .value_kind:     by_value
      - .offset:         8
        .size:           4
        .value_kind:     by_value
      - .offset:         12
        .size:           4
        .value_kind:     by_value
      - .offset:         16
        .size:           4
        .value_kind:     by_value
      - .offset:         20
        .size:           4
        .value_kind:     by_value
      - .address_space:  global
        .offset:         24
        .size:           8
        .value_kind:     global_buffer
      - .actual_access:  read_only
        .address_space:  global
        .offset:         32
        .size:           8
        .value_kind:     global_buffer
      - .actual_access:  read_only
        .address_space:  global
        .offset:         40
        .size:           8
        .value_kind:     global_buffer
      - .address_space:  global
        .offset:         48
        .size:           8
        .value_kind:     global_buffer
      - .offset:         56
        .size:           4
        .value_kind:     by_value
      - .offset:         60
        .size:           4
        .value_kind:     by_value
    .group_segment_fixed_size: 65536
    .kernarg_segment_align: 8
    .kernarg_segment_size: 64
    .language:       OpenCL C
    .language_version:
      - 2
      - 0
    .max_flat_workgroup_size: 512
    .name:           _Z12wvSplitK_hf_I14__hip_bfloat16Li32ELi2ELi16ELi8ELi2ELi1EEviiiiiiPKT_S3_S3_PS1_ii
    .private_segment_fixed_size: 0
    .sgpr_count:     43
    .sgpr_spill_count: 0
    .symbol:         _Z12wvSplitK_hf_I14__hip_bfloat16Li32ELi2ELi16ELi8ELi2ELi1EEviiiiiiPKT_S3_S3_PS1_ii.kd
    .uniform_work_group_size: 1
    .uses_dynamic_stack: false
    .vgpr_count:     51
    .vgpr_spill_count: 0
    .wavefront_size: 64
  - .agpr_count:     0
    .args:
      - .offset:         0
        .size:           4
        .value_kind:     by_value
      - .offset:         4
        .size:           4
        .value_kind:     by_value
      - .offset:         8
        .size:           4
        .value_kind:     by_value
      - .offset:         12
        .size:           4
        .value_kind:     by_value
      - .offset:         16
        .size:           4
        .value_kind:     by_value
      - .offset:         20
        .size:           4
        .value_kind:     by_value
      - .address_space:  global
        .offset:         24
        .size:           8
        .value_kind:     global_buffer
      - .actual_access:  read_only
        .address_space:  global
        .offset:         32
        .size:           8
        .value_kind:     global_buffer
      - .actual_access:  read_only
        .address_space:  global
        .offset:         40
        .size:           8
        .value_kind:     global_buffer
      - .address_space:  global
        .offset:         48
        .size:           8
        .value_kind:     global_buffer
      - .offset:         56
        .size:           4
        .value_kind:     by_value
      - .offset:         60
        .size:           4
        .value_kind:     by_value
    .group_segment_fixed_size: 65536
    .kernarg_segment_align: 8
    .kernarg_segment_size: 64
    .language:       OpenCL C
    .language_version:
      - 2
      - 0
    .max_flat_workgroup_size: 512
    .name:           _Z16wvSplitK_hf_big_I14__hip_bfloat16Li32ELi2ELi16ELi8ELi2ELi1EEviiiiiiPKT_S3_S3_PS1_ii
    .private_segment_fixed_size: 0
    .sgpr_count:     56
    .sgpr_spill_count: 0
    .symbol:         _Z16wvSplitK_hf_big_I14__hip_bfloat16Li32ELi2ELi16ELi8ELi2ELi1EEviiiiiiPKT_S3_S3_PS1_ii.kd
    .uniform_work_group_size: 1
    .uses_dynamic_stack: false
    .vgpr_count:     47
    .vgpr_spill_count: 0
    .wavefront_size: 64
  - .agpr_count:     0
    .args:
      - .offset:         0
        .size:           4
        .value_kind:     by_value
      - .offset:         4
        .size:           4
        .value_kind:     by_value
      - .offset:         8
        .size:           4
        .value_kind:     by_value
      - .offset:         12
        .size:           4
        .value_kind:     by_value
      - .offset:         16
        .size:           4
        .value_kind:     by_value
      - .offset:         20
        .size:           4
        .value_kind:     by_value
      - .address_space:  global
        .offset:         24
        .size:           8
        .value_kind:     global_buffer
      - .actual_access:  read_only
        .address_space:  global
        .offset:         32
        .size:           8
        .value_kind:     global_buffer
      - .actual_access:  read_only
        .address_space:  global
        .offset:         40
        .size:           8
        .value_kind:     global_buffer
      - .address_space:  global
        .offset:         48
        .size:           8
        .value_kind:     global_buffer
      - .offset:         56
        .size:           4
        .value_kind:     by_value
      - .offset:         60
        .size:           4
        .value_kind:     by_value
    .group_segment_fixed_size: 65536
    .kernarg_segment_align: 8
    .kernarg_segment_size: 64
    .language:       OpenCL C
    .language_version:
      - 2
      - 0
    .max_flat_workgroup_size: 512
    .name:           _Z16wvSplitK_hf_sml_I14__hip_bfloat16Li32ELi3ELi16ELi8ELi2ELi1EEviiiiiiPKT_S3_S3_PS1_ii
    .private_segment_fixed_size: 0
    .sgpr_count:     34
    .sgpr_spill_count: 0
    .symbol:         _Z16wvSplitK_hf_sml_I14__hip_bfloat16Li32ELi3ELi16ELi8ELi2ELi1EEviiiiiiPKT_S3_S3_PS1_ii.kd
    .uniform_work_group_size: 1
    .uses_dynamic_stack: false
    .vgpr_count:     61
    .vgpr_spill_count: 0
    .wavefront_size: 64
  - .agpr_count:     0
    .args:
      - .offset:         0
        .size:           4
        .value_kind:     by_value
      - .offset:         4
        .size:           4
        .value_kind:     by_value
      - .offset:         8
        .size:           4
        .value_kind:     by_value
      - .offset:         12
        .size:           4
        .value_kind:     by_value
      - .offset:         16
        .size:           4
        .value_kind:     by_value
      - .offset:         20
        .size:           4
        .value_kind:     by_value
      - .address_space:  global
        .offset:         24
        .size:           8
        .value_kind:     global_buffer
      - .actual_access:  read_only
        .address_space:  global
        .offset:         32
        .size:           8
        .value_kind:     global_buffer
      - .actual_access:  read_only
        .address_space:  global
        .offset:         40
        .size:           8
        .value_kind:     global_buffer
      - .address_space:  global
        .offset:         48
        .size:           8
        .value_kind:     global_buffer
      - .offset:         56
        .size:           4
        .value_kind:     by_value
      - .offset:         60
        .size:           4
        .value_kind:     by_value
    .group_segment_fixed_size: 65536
    .kernarg_segment_align: 8
    .kernarg_segment_size: 64
    .language:       OpenCL C
    .language_version:
      - 2
      - 0
    .max_flat_workgroup_size: 512
    .name:           _Z12wvSplitK_hf_I14__hip_bfloat16Li32ELi3ELi16ELi8ELi2ELi1EEviiiiiiPKT_S3_S3_PS1_ii
    .private_segment_fixed_size: 0
    .sgpr_count:     43
    .sgpr_spill_count: 0
    .symbol:         _Z12wvSplitK_hf_I14__hip_bfloat16Li32ELi3ELi16ELi8ELi2ELi1EEviiiiiiPKT_S3_S3_PS1_ii.kd
    .uniform_work_group_size: 1
    .uses_dynamic_stack: false
    .vgpr_count:     68
    .vgpr_spill_count: 0
    .wavefront_size: 64
  - .agpr_count:     0
    .args:
      - .offset:         0
        .size:           4
        .value_kind:     by_value
      - .offset:         4
        .size:           4
        .value_kind:     by_value
      - .offset:         8
        .size:           4
        .value_kind:     by_value
      - .offset:         12
        .size:           4
        .value_kind:     by_value
      - .offset:         16
        .size:           4
        .value_kind:     by_value
      - .offset:         20
        .size:           4
        .value_kind:     by_value
      - .address_space:  global
        .offset:         24
        .size:           8
        .value_kind:     global_buffer
      - .actual_access:  read_only
        .address_space:  global
        .offset:         32
        .size:           8
        .value_kind:     global_buffer
      - .actual_access:  read_only
        .address_space:  global
        .offset:         40
        .size:           8
        .value_kind:     global_buffer
      - .address_space:  global
        .offset:         48
        .size:           8
        .value_kind:     global_buffer
      - .offset:         56
        .size:           4
        .value_kind:     by_value
      - .offset:         60
        .size:           4
        .value_kind:     by_value
    .group_segment_fixed_size: 65536
    .kernarg_segment_align: 8
    .kernarg_segment_size: 64
    .language:       OpenCL C
    .language_version:
      - 2
      - 0
    .max_flat_workgroup_size: 512
    .name:           _Z16wvSplitK_hf_big_I14__hip_bfloat16Li32ELi3ELi16ELi8ELi2ELi1EEviiiiiiPKT_S3_S3_PS1_ii
    .private_segment_fixed_size: 0
    .sgpr_count:     56
    .sgpr_spill_count: 0
    .symbol:         _Z16wvSplitK_hf_big_I14__hip_bfloat16Li32ELi3ELi16ELi8ELi2ELi1EEviiiiiiPKT_S3_S3_PS1_ii.kd
    .uniform_work_group_size: 1
    .uses_dynamic_stack: false
    .vgpr_count:     62
    .vgpr_spill_count: 0
    .wavefront_size: 64
  - .agpr_count:     0
    .args:
      - .offset:         0
        .size:           4
        .value_kind:     by_value
      - .offset:         4
        .size:           4
        .value_kind:     by_value
      - .offset:         8
        .size:           4
        .value_kind:     by_value
      - .offset:         12
        .size:           4
        .value_kind:     by_value
      - .offset:         16
        .size:           4
        .value_kind:     by_value
      - .offset:         20
        .size:           4
        .value_kind:     by_value
      - .address_space:  global
        .offset:         24
        .size:           8
        .value_kind:     global_buffer
      - .actual_access:  read_only
        .address_space:  global
        .offset:         32
        .size:           8
        .value_kind:     global_buffer
      - .actual_access:  read_only
        .address_space:  global
        .offset:         40
        .size:           8
        .value_kind:     global_buffer
      - .address_space:  global
        .offset:         48
        .size:           8
        .value_kind:     global_buffer
      - .offset:         56
        .size:           4
        .value_kind:     by_value
      - .offset:         60
        .size:           4
        .value_kind:     by_value
    .group_segment_fixed_size: 65536
    .kernarg_segment_align: 8
    .kernarg_segment_size: 64
    .language:       OpenCL C
    .language_version:
      - 2
      - 0
    .max_flat_workgroup_size: 512
    .name:           _Z16wvSplitK_hf_sml_I14__hip_bfloat16Li32ELi4ELi16ELi8ELi1ELi1EEviiiiiiPKT_S3_S3_PS1_ii
    .private_segment_fixed_size: 0
    .sgpr_count:     33
    .sgpr_spill_count: 0
    .symbol:         _Z16wvSplitK_hf_sml_I14__hip_bfloat16Li32ELi4ELi16ELi8ELi1ELi1EEviiiiiiPKT_S3_S3_PS1_ii.kd
    .uniform_work_group_size: 1
    .uses_dynamic_stack: false
    .vgpr_count:     52
    .vgpr_spill_count: 0
    .wavefront_size: 64
  - .agpr_count:     0
    .args:
      - .offset:         0
        .size:           4
        .value_kind:     by_value
      - .offset:         4
        .size:           4
        .value_kind:     by_value
      - .offset:         8
        .size:           4
        .value_kind:     by_value
      - .offset:         12
        .size:           4
        .value_kind:     by_value
      - .offset:         16
        .size:           4
        .value_kind:     by_value
      - .offset:         20
        .size:           4
        .value_kind:     by_value
      - .address_space:  global
        .offset:         24
        .size:           8
        .value_kind:     global_buffer
      - .actual_access:  read_only
        .address_space:  global
        .offset:         32
        .size:           8
        .value_kind:     global_buffer
      - .actual_access:  read_only
        .address_space:  global
        .offset:         40
        .size:           8
        .value_kind:     global_buffer
      - .address_space:  global
        .offset:         48
        .size:           8
        .value_kind:     global_buffer
      - .offset:         56
        .size:           4
        .value_kind:     by_value
      - .offset:         60
        .size:           4
        .value_kind:     by_value
    .group_segment_fixed_size: 65536
    .kernarg_segment_align: 8
    .kernarg_segment_size: 64
    .language:       OpenCL C
    .language_version:
      - 2
      - 0
    .max_flat_workgroup_size: 512
    .name:           _Z12wvSplitK_hf_I14__hip_bfloat16Li32ELi4ELi16ELi8ELi1ELi1EEviiiiiiPKT_S3_S3_PS1_ii
    .private_segment_fixed_size: 0
    .sgpr_count:     43
    .sgpr_spill_count: 0
    .symbol:         _Z12wvSplitK_hf_I14__hip_bfloat16Li32ELi4ELi16ELi8ELi1ELi1EEviiiiiiPKT_S3_S3_PS1_ii.kd
    .uniform_work_group_size: 1
    .uses_dynamic_stack: false
    .vgpr_count:     63
    .vgpr_spill_count: 0
    .wavefront_size: 64
  - .agpr_count:     0
    .args:
      - .offset:         0
        .size:           4
        .value_kind:     by_value
      - .offset:         4
        .size:           4
        .value_kind:     by_value
      - .offset:         8
        .size:           4
        .value_kind:     by_value
      - .offset:         12
        .size:           4
        .value_kind:     by_value
      - .offset:         16
        .size:           4
        .value_kind:     by_value
      - .offset:         20
        .size:           4
        .value_kind:     by_value
      - .address_space:  global
        .offset:         24
        .size:           8
        .value_kind:     global_buffer
      - .actual_access:  read_only
        .address_space:  global
        .offset:         32
        .size:           8
        .value_kind:     global_buffer
      - .actual_access:  read_only
        .address_space:  global
        .offset:         40
        .size:           8
        .value_kind:     global_buffer
      - .address_space:  global
        .offset:         48
        .size:           8
        .value_kind:     global_buffer
      - .offset:         56
        .size:           4
        .value_kind:     by_value
      - .offset:         60
        .size:           4
        .value_kind:     by_value
    .group_segment_fixed_size: 65536
    .kernarg_segment_align: 8
    .kernarg_segment_size: 64
    .language:       OpenCL C
    .language_version:
      - 2
      - 0
    .max_flat_workgroup_size: 512
    .name:           _Z16wvSplitK_hf_big_I14__hip_bfloat16Li32ELi4ELi16ELi8ELi1ELi1EEviiiiiiPKT_S3_S3_PS1_ii
    .private_segment_fixed_size: 0
    .sgpr_count:     56
    .sgpr_spill_count: 0
    .symbol:         _Z16wvSplitK_hf_big_I14__hip_bfloat16Li32ELi4ELi16ELi8ELi1ELi1EEviiiiiiPKT_S3_S3_PS1_ii.kd
    .uniform_work_group_size: 1
    .uses_dynamic_stack: false
    .vgpr_count:     56
    .vgpr_spill_count: 0
    .wavefront_size: 64
  - .agpr_count:     0
    .args:
      - .offset:         0
        .size:           4
        .value_kind:     by_value
      - .offset:         4
        .size:           4
        .value_kind:     by_value
      - .offset:         8
        .size:           4
        .value_kind:     by_value
      - .offset:         12
        .size:           4
        .value_kind:     by_value
      - .offset:         16
        .size:           4
        .value_kind:     by_value
      - .offset:         20
        .size:           4
        .value_kind:     by_value
      - .address_space:  global
        .offset:         24
        .size:           8
        .value_kind:     global_buffer
      - .actual_access:  read_only
        .address_space:  global
        .offset:         32
        .size:           8
        .value_kind:     global_buffer
      - .actual_access:  read_only
        .address_space:  global
        .offset:         40
        .size:           8
        .value_kind:     global_buffer
      - .address_space:  global
        .offset:         48
        .size:           8
        .value_kind:     global_buffer
      - .offset:         56
        .size:           4
        .value_kind:     by_value
      - .offset:         60
        .size:           4
        .value_kind:     by_value
    .group_segment_fixed_size: 65536
    .kernarg_segment_align: 8
    .kernarg_segment_size: 64
    .language:       OpenCL C
    .language_version:
      - 2
      - 0
    .max_flat_workgroup_size: 512
    .name:           _Z16wvSplitK_hf_sml_I14__hip_bfloat16Li32ELi4ELi16ELi8ELi2ELi1EEviiiiiiPKT_S3_S3_PS1_ii
    .private_segment_fixed_size: 0
    .sgpr_count:     34
    .sgpr_spill_count: 0
    .symbol:         _Z16wvSplitK_hf_sml_I14__hip_bfloat16Li32ELi4ELi16ELi8ELi2ELi1EEviiiiiiPKT_S3_S3_PS1_ii.kd
    .uniform_work_group_size: 1
    .uses_dynamic_stack: false
    .vgpr_count:     72
    .vgpr_spill_count: 0
    .wavefront_size: 64
  - .agpr_count:     0
    .args:
      - .offset:         0
        .size:           4
        .value_kind:     by_value
      - .offset:         4
        .size:           4
        .value_kind:     by_value
      - .offset:         8
        .size:           4
        .value_kind:     by_value
      - .offset:         12
        .size:           4
        .value_kind:     by_value
      - .offset:         16
        .size:           4
        .value_kind:     by_value
      - .offset:         20
        .size:           4
        .value_kind:     by_value
      - .address_space:  global
        .offset:         24
        .size:           8
        .value_kind:     global_buffer
      - .actual_access:  read_only
        .address_space:  global
        .offset:         32
        .size:           8
        .value_kind:     global_buffer
      - .actual_access:  read_only
        .address_space:  global
        .offset:         40
        .size:           8
        .value_kind:     global_buffer
      - .address_space:  global
        .offset:         48
        .size:           8
        .value_kind:     global_buffer
      - .offset:         56
        .size:           4
        .value_kind:     by_value
      - .offset:         60
        .size:           4
        .value_kind:     by_value
    .group_segment_fixed_size: 65536
    .kernarg_segment_align: 8
    .kernarg_segment_size: 64
    .language:       OpenCL C
    .language_version:
      - 2
      - 0
    .max_flat_workgroup_size: 512
    .name:           _Z12wvSplitK_hf_I14__hip_bfloat16Li32ELi4ELi16ELi8ELi2ELi1EEviiiiiiPKT_S3_S3_PS1_ii
    .private_segment_fixed_size: 0
    .sgpr_count:     43
    .sgpr_spill_count: 0
    .symbol:         _Z12wvSplitK_hf_I14__hip_bfloat16Li32ELi4ELi16ELi8ELi2ELi1EEviiiiiiPKT_S3_S3_PS1_ii.kd
    .uniform_work_group_size: 1
    .uses_dynamic_stack: false
    .vgpr_count:     85
    .vgpr_spill_count: 0
    .wavefront_size: 64
  - .agpr_count:     0
    .args:
      - .offset:         0
        .size:           4
        .value_kind:     by_value
      - .offset:         4
        .size:           4
        .value_kind:     by_value
      - .offset:         8
        .size:           4
        .value_kind:     by_value
      - .offset:         12
        .size:           4
        .value_kind:     by_value
      - .offset:         16
        .size:           4
        .value_kind:     by_value
      - .offset:         20
        .size:           4
        .value_kind:     by_value
      - .address_space:  global
        .offset:         24
        .size:           8
        .value_kind:     global_buffer
      - .actual_access:  read_only
        .address_space:  global
        .offset:         32
        .size:           8
        .value_kind:     global_buffer
      - .actual_access:  read_only
        .address_space:  global
        .offset:         40
        .size:           8
        .value_kind:     global_buffer
      - .address_space:  global
        .offset:         48
        .size:           8
        .value_kind:     global_buffer
      - .offset:         56
        .size:           4
        .value_kind:     by_value
      - .offset:         60
        .size:           4
        .value_kind:     by_value
    .group_segment_fixed_size: 65536
    .kernarg_segment_align: 8
    .kernarg_segment_size: 64
    .language:       OpenCL C
    .language_version:
      - 2
      - 0
    .max_flat_workgroup_size: 512
    .name:           _Z16wvSplitK_hf_big_I14__hip_bfloat16Li32ELi4ELi16ELi8ELi2ELi1EEviiiiiiPKT_S3_S3_PS1_ii
    .private_segment_fixed_size: 0
    .sgpr_count:     56
    .sgpr_spill_count: 0
    .symbol:         _Z16wvSplitK_hf_big_I14__hip_bfloat16Li32ELi4ELi16ELi8ELi2ELi1EEviiiiiiPKT_S3_S3_PS1_ii.kd
    .uniform_work_group_size: 1
    .uses_dynamic_stack: false
    .vgpr_count:     77
    .vgpr_spill_count: 0
    .wavefront_size: 64
  - .agpr_count:     0
    .args:
      - .offset:         0
        .size:           4
        .value_kind:     by_value
      - .offset:         4
        .size:           4
        .value_kind:     by_value
      - .offset:         8
        .size:           4
        .value_kind:     by_value
      - .offset:         12
        .size:           4
        .value_kind:     by_value
      - .offset:         16
        .size:           4
        .value_kind:     by_value
      - .offset:         20
        .size:           4
        .value_kind:     by_value
      - .address_space:  global
        .offset:         24
        .size:           8
        .value_kind:     global_buffer
      - .actual_access:  read_only
        .address_space:  global
        .offset:         32
        .size:           8
        .value_kind:     global_buffer
      - .actual_access:  read_only
        .address_space:  global
        .offset:         40
        .size:           8
        .value_kind:     global_buffer
      - .address_space:  global
        .offset:         48
        .size:           8
        .value_kind:     global_buffer
      - .offset:         56
        .size:           4
        .value_kind:     by_value
      - .offset:         60
        .size:           4
        .value_kind:     by_value
    .group_segment_fixed_size: 65536
    .kernarg_segment_align: 8
    .kernarg_segment_size: 64
    .language:       OpenCL C
    .language_version:
      - 2
      - 0
    .max_flat_workgroup_size: 1024
    .name:           _Z16wvSplitK_hf_sml_I14__hip_bfloat16Li64ELi1ELi16ELi8ELi4ELi1EEviiiiiiPKT_S3_S3_PS1_ii
    .private_segment_fixed_size: 0
    .sgpr_count:     38
    .sgpr_spill_count: 0
    .symbol:         _Z16wvSplitK_hf_sml_I14__hip_bfloat16Li64ELi1ELi16ELi8ELi4ELi1EEviiiiiiPKT_S3_S3_PS1_ii.kd
    .uniform_work_group_size: 1
    .uses_dynamic_stack: false
    .vgpr_count:     48
    .vgpr_spill_count: 0
    .wavefront_size: 64
  - .agpr_count:     0
    .args:
      - .offset:         0
        .size:           4
        .value_kind:     by_value
      - .offset:         4
        .size:           4
        .value_kind:     by_value
      - .offset:         8
        .size:           4
        .value_kind:     by_value
      - .offset:         12
        .size:           4
        .value_kind:     by_value
      - .offset:         16
        .size:           4
        .value_kind:     by_value
      - .offset:         20
        .size:           4
        .value_kind:     by_value
      - .address_space:  global
        .offset:         24
        .size:           8
        .value_kind:     global_buffer
      - .actual_access:  read_only
        .address_space:  global
        .offset:         32
        .size:           8
        .value_kind:     global_buffer
      - .actual_access:  read_only
        .address_space:  global
        .offset:         40
        .size:           8
        .value_kind:     global_buffer
      - .address_space:  global
        .offset:         48
        .size:           8
        .value_kind:     global_buffer
      - .offset:         56
        .size:           4
        .value_kind:     by_value
      - .offset:         60
        .size:           4
        .value_kind:     by_value
    .group_segment_fixed_size: 65536
    .kernarg_segment_align: 8
    .kernarg_segment_size: 64
    .language:       OpenCL C
    .language_version:
      - 2
      - 0
    .max_flat_workgroup_size: 1024
    .name:           _Z12wvSplitK_hf_I14__hip_bfloat16Li64ELi1ELi16ELi8ELi4ELi1EEviiiiiiPKT_S3_S3_PS1_ii
    .private_segment_fixed_size: 0
    .sgpr_count:     48
    .sgpr_spill_count: 0
    .symbol:         _Z12wvSplitK_hf_I14__hip_bfloat16Li64ELi1ELi16ELi8ELi4ELi1EEviiiiiiPKT_S3_S3_PS1_ii.kd
    .uniform_work_group_size: 1
    .uses_dynamic_stack: false
    .vgpr_count:     54
    .vgpr_spill_count: 0
    .wavefront_size: 64
  - .agpr_count:     0
    .args:
      - .offset:         0
        .size:           4
        .value_kind:     by_value
      - .offset:         4
        .size:           4
        .value_kind:     by_value
      - .offset:         8
        .size:           4
        .value_kind:     by_value
      - .offset:         12
        .size:           4
        .value_kind:     by_value
      - .offset:         16
        .size:           4
        .value_kind:     by_value
      - .offset:         20
        .size:           4
        .value_kind:     by_value
      - .address_space:  global
        .offset:         24
        .size:           8
        .value_kind:     global_buffer
      - .actual_access:  read_only
        .address_space:  global
        .offset:         32
        .size:           8
        .value_kind:     global_buffer
      - .actual_access:  read_only
        .address_space:  global
        .offset:         40
        .size:           8
        .value_kind:     global_buffer
      - .address_space:  global
        .offset:         48
        .size:           8
        .value_kind:     global_buffer
      - .offset:         56
        .size:           4
        .value_kind:     by_value
      - .offset:         60
        .size:           4
        .value_kind:     by_value
    .group_segment_fixed_size: 65536
    .kernarg_segment_align: 8
    .kernarg_segment_size: 64
    .language:       OpenCL C
    .language_version:
      - 2
      - 0
    .max_flat_workgroup_size: 1024
    .name:           _Z16wvSplitK_hf_big_I14__hip_bfloat16Li64ELi1ELi16ELi8ELi4ELi1EEviiiiiiPKT_S3_S3_PS1_ii
    .private_segment_fixed_size: 0
    .sgpr_count:     54
    .sgpr_spill_count: 0
    .symbol:         _Z16wvSplitK_hf_big_I14__hip_bfloat16Li64ELi1ELi16ELi8ELi4ELi1EEviiiiiiPKT_S3_S3_PS1_ii.kd
    .uniform_work_group_size: 1
    .uses_dynamic_stack: false
    .vgpr_count:     50
    .vgpr_spill_count: 0
    .wavefront_size: 64
  - .agpr_count:     0
    .args:
      - .offset:         0
        .size:           4
        .value_kind:     by_value
      - .offset:         4
        .size:           4
        .value_kind:     by_value
      - .offset:         8
        .size:           4
        .value_kind:     by_value
      - .offset:         12
        .size:           4
        .value_kind:     by_value
      - .offset:         16
        .size:           4
        .value_kind:     by_value
      - .offset:         20
        .size:           4
        .value_kind:     by_value
      - .address_space:  global
        .offset:         24
        .size:           8
        .value_kind:     global_buffer
      - .actual_access:  read_only
        .address_space:  global
        .offset:         32
        .size:           8
        .value_kind:     global_buffer
      - .actual_access:  read_only
        .address_space:  global
        .offset:         40
        .size:           8
        .value_kind:     global_buffer
      - .address_space:  global
        .offset:         48
        .size:           8
        .value_kind:     global_buffer
      - .offset:         56
        .size:           4
        .value_kind:     by_value
      - .offset:         60
        .size:           4
        .value_kind:     by_value
    .group_segment_fixed_size: 65536
    .kernarg_segment_align: 8
    .kernarg_segment_size: 64
    .language:       OpenCL C
    .language_version:
      - 2
      - 0
    .max_flat_workgroup_size: 1024
    .name:           _Z16wvSplitK_hf_sml_I14__hip_bfloat16Li64ELi2ELi16ELi8ELi2ELi1EEviiiiiiPKT_S3_S3_PS1_ii
    .private_segment_fixed_size: 0
    .sgpr_count:     34
    .sgpr_spill_count: 0
    .symbol:         _Z16wvSplitK_hf_sml_I14__hip_bfloat16Li64ELi2ELi16ELi8ELi2ELi1EEviiiiiiPKT_S3_S3_PS1_ii.kd
    .uniform_work_group_size: 1
    .uses_dynamic_stack: false
    .vgpr_count:     44
    .vgpr_spill_count: 0
    .wavefront_size: 64
  - .agpr_count:     0
    .args:
      - .offset:         0
        .size:           4
        .value_kind:     by_value
      - .offset:         4
        .size:           4
        .value_kind:     by_value
      - .offset:         8
        .size:           4
        .value_kind:     by_value
      - .offset:         12
        .size:           4
        .value_kind:     by_value
      - .offset:         16
        .size:           4
        .value_kind:     by_value
      - .offset:         20
        .size:           4
        .value_kind:     by_value
      - .address_space:  global
        .offset:         24
        .size:           8
        .value_kind:     global_buffer
      - .actual_access:  read_only
        .address_space:  global
        .offset:         32
        .size:           8
        .value_kind:     global_buffer
      - .actual_access:  read_only
        .address_space:  global
        .offset:         40
        .size:           8
        .value_kind:     global_buffer
      - .address_space:  global
        .offset:         48
        .size:           8
        .value_kind:     global_buffer
      - .offset:         56
        .size:           4
        .value_kind:     by_value
      - .offset:         60
        .size:           4
        .value_kind:     by_value
    .group_segment_fixed_size: 65536
    .kernarg_segment_align: 8
    .kernarg_segment_size: 64
    .language:       OpenCL C
    .language_version:
      - 2
      - 0
    .max_flat_workgroup_size: 1024
    .name:           _Z12wvSplitK_hf_I14__hip_bfloat16Li64ELi2ELi16ELi8ELi2ELi1EEviiiiiiPKT_S3_S3_PS1_ii
    .private_segment_fixed_size: 0
    .sgpr_count:     43
    .sgpr_spill_count: 0
    .symbol:         _Z12wvSplitK_hf_I14__hip_bfloat16Li64ELi2ELi16ELi8ELi2ELi1EEviiiiiiPKT_S3_S3_PS1_ii.kd
    .uniform_work_group_size: 1
    .uses_dynamic_stack: false
    .vgpr_count:     51
    .vgpr_spill_count: 0
    .wavefront_size: 64
  - .agpr_count:     0
    .args:
      - .offset:         0
        .size:           4
        .value_kind:     by_value
      - .offset:         4
        .size:           4
        .value_kind:     by_value
      - .offset:         8
        .size:           4
        .value_kind:     by_value
      - .offset:         12
        .size:           4
        .value_kind:     by_value
      - .offset:         16
        .size:           4
        .value_kind:     by_value
      - .offset:         20
        .size:           4
        .value_kind:     by_value
      - .address_space:  global
        .offset:         24
        .size:           8
        .value_kind:     global_buffer
      - .actual_access:  read_only
        .address_space:  global
        .offset:         32
        .size:           8
        .value_kind:     global_buffer
      - .actual_access:  read_only
        .address_space:  global
        .offset:         40
        .size:           8
        .value_kind:     global_buffer
      - .address_space:  global
        .offset:         48
        .size:           8
        .value_kind:     global_buffer
      - .offset:         56
        .size:           4
        .value_kind:     by_value
      - .offset:         60
        .size:           4
        .value_kind:     by_value
    .group_segment_fixed_size: 65536
    .kernarg_segment_align: 8
    .kernarg_segment_size: 64
    .language:       OpenCL C
    .language_version:
      - 2
      - 0
    .max_flat_workgroup_size: 1024
    .name:           _Z16wvSplitK_hf_big_I14__hip_bfloat16Li64ELi2ELi16ELi8ELi2ELi1EEviiiiiiPKT_S3_S3_PS1_ii
    .private_segment_fixed_size: 0
    .sgpr_count:     56
    .sgpr_spill_count: 0
    .symbol:         _Z16wvSplitK_hf_big_I14__hip_bfloat16Li64ELi2ELi16ELi8ELi2ELi1EEviiiiiiPKT_S3_S3_PS1_ii.kd
    .uniform_work_group_size: 1
    .uses_dynamic_stack: false
    .vgpr_count:     47
    .vgpr_spill_count: 0
    .wavefront_size: 64
  - .agpr_count:     0
    .args:
      - .offset:         0
        .size:           4
        .value_kind:     by_value
      - .offset:         4
        .size:           4
        .value_kind:     by_value
      - .offset:         8
        .size:           4
        .value_kind:     by_value
      - .offset:         12
        .size:           4
        .value_kind:     by_value
      - .offset:         16
        .size:           4
        .value_kind:     by_value
      - .offset:         20
        .size:           4
        .value_kind:     by_value
      - .address_space:  global
        .offset:         24
        .size:           8
        .value_kind:     global_buffer
      - .actual_access:  read_only
        .address_space:  global
        .offset:         32
        .size:           8
        .value_kind:     global_buffer
      - .actual_access:  read_only
        .address_space:  global
        .offset:         40
        .size:           8
        .value_kind:     global_buffer
      - .address_space:  global
        .offset:         48
        .size:           8
        .value_kind:     global_buffer
      - .offset:         56
        .size:           4
        .value_kind:     by_value
      - .offset:         60
        .size:           4
        .value_kind:     by_value
    .group_segment_fixed_size: 65536
    .kernarg_segment_align: 8
    .kernarg_segment_size: 64
    .language:       OpenCL C
    .language_version:
      - 2
      - 0
    .max_flat_workgroup_size: 1024
    .name:           _Z16wvSplitK_hf_sml_I14__hip_bfloat16Li64ELi3ELi16ELi8ELi2ELi1EEviiiiiiPKT_S3_S3_PS1_ii
    .private_segment_fixed_size: 0
    .sgpr_count:     34
    .sgpr_spill_count: 0
    .symbol:         _Z16wvSplitK_hf_sml_I14__hip_bfloat16Li64ELi3ELi16ELi8ELi2ELi1EEviiiiiiPKT_S3_S3_PS1_ii.kd
    .uniform_work_group_size: 1
    .uses_dynamic_stack: false
    .vgpr_count:     61
    .vgpr_spill_count: 0
    .wavefront_size: 64
  - .agpr_count:     0
    .args:
      - .offset:         0
        .size:           4
        .value_kind:     by_value
      - .offset:         4
        .size:           4
        .value_kind:     by_value
      - .offset:         8
        .size:           4
        .value_kind:     by_value
      - .offset:         12
        .size:           4
        .value_kind:     by_value
      - .offset:         16
        .size:           4
        .value_kind:     by_value
      - .offset:         20
        .size:           4
        .value_kind:     by_value
      - .address_space:  global
        .offset:         24
        .size:           8
        .value_kind:     global_buffer
      - .actual_access:  read_only
        .address_space:  global
        .offset:         32
        .size:           8
        .value_kind:     global_buffer
      - .actual_access:  read_only
        .address_space:  global
        .offset:         40
        .size:           8
        .value_kind:     global_buffer
      - .address_space:  global
        .offset:         48
        .size:           8
        .value_kind:     global_buffer
      - .offset:         56
        .size:           4
        .value_kind:     by_value
      - .offset:         60
        .size:           4
        .value_kind:     by_value
    .group_segment_fixed_size: 65536
    .kernarg_segment_align: 8
    .kernarg_segment_size: 64
    .language:       OpenCL C
    .language_version:
      - 2
      - 0
    .max_flat_workgroup_size: 1024
    .name:           _Z12wvSplitK_hf_I14__hip_bfloat16Li64ELi3ELi16ELi8ELi2ELi1EEviiiiiiPKT_S3_S3_PS1_ii
    .private_segment_fixed_size: 0
    .sgpr_count:     43
    .sgpr_spill_count: 0
    .symbol:         _Z12wvSplitK_hf_I14__hip_bfloat16Li64ELi3ELi16ELi8ELi2ELi1EEviiiiiiPKT_S3_S3_PS1_ii.kd
    .uniform_work_group_size: 1
    .uses_dynamic_stack: false
    .vgpr_count:     68
    .vgpr_spill_count: 0
    .wavefront_size: 64
  - .agpr_count:     0
    .args:
      - .offset:         0
        .size:           4
        .value_kind:     by_value
      - .offset:         4
        .size:           4
        .value_kind:     by_value
      - .offset:         8
        .size:           4
        .value_kind:     by_value
      - .offset:         12
        .size:           4
        .value_kind:     by_value
      - .offset:         16
        .size:           4
        .value_kind:     by_value
      - .offset:         20
        .size:           4
        .value_kind:     by_value
      - .address_space:  global
        .offset:         24
        .size:           8
        .value_kind:     global_buffer
      - .actual_access:  read_only
        .address_space:  global
        .offset:         32
        .size:           8
        .value_kind:     global_buffer
      - .actual_access:  read_only
        .address_space:  global
        .offset:         40
        .size:           8
        .value_kind:     global_buffer
      - .address_space:  global
        .offset:         48
        .size:           8
        .value_kind:     global_buffer
      - .offset:         56
        .size:           4
        .value_kind:     by_value
      - .offset:         60
        .size:           4
        .value_kind:     by_value
    .group_segment_fixed_size: 65536
    .kernarg_segment_align: 8
    .kernarg_segment_size: 64
    .language:       OpenCL C
    .language_version:
      - 2
      - 0
    .max_flat_workgroup_size: 1024
    .name:           _Z16wvSplitK_hf_big_I14__hip_bfloat16Li64ELi3ELi16ELi8ELi2ELi1EEviiiiiiPKT_S3_S3_PS1_ii
    .private_segment_fixed_size: 0
    .sgpr_count:     56
    .sgpr_spill_count: 0
    .symbol:         _Z16wvSplitK_hf_big_I14__hip_bfloat16Li64ELi3ELi16ELi8ELi2ELi1EEviiiiiiPKT_S3_S3_PS1_ii.kd
    .uniform_work_group_size: 1
    .uses_dynamic_stack: false
    .vgpr_count:     62
    .vgpr_spill_count: 0
    .wavefront_size: 64
  - .agpr_count:     0
    .args:
      - .offset:         0
        .size:           4
        .value_kind:     by_value
      - .offset:         4
        .size:           4
        .value_kind:     by_value
      - .offset:         8
        .size:           4
        .value_kind:     by_value
      - .offset:         12
        .size:           4
        .value_kind:     by_value
      - .offset:         16
        .size:           4
        .value_kind:     by_value
      - .offset:         20
        .size:           4
        .value_kind:     by_value
      - .address_space:  global
        .offset:         24
        .size:           8
        .value_kind:     global_buffer
      - .actual_access:  read_only
        .address_space:  global
        .offset:         32
        .size:           8
        .value_kind:     global_buffer
      - .actual_access:  read_only
        .address_space:  global
        .offset:         40
        .size:           8
        .value_kind:     global_buffer
      - .address_space:  global
        .offset:         48
        .size:           8
        .value_kind:     global_buffer
      - .offset:         56
        .size:           4
        .value_kind:     by_value
      - .offset:         60
        .size:           4
        .value_kind:     by_value
    .group_segment_fixed_size: 65536
    .kernarg_segment_align: 8
    .kernarg_segment_size: 64
    .language:       OpenCL C
    .language_version:
      - 2
      - 0
    .max_flat_workgroup_size: 1024
    .name:           _Z16wvSplitK_hf_sml_I14__hip_bfloat16Li64ELi4ELi16ELi8ELi1ELi1EEviiiiiiPKT_S3_S3_PS1_ii
    .private_segment_fixed_size: 0
    .sgpr_count:     33
    .sgpr_spill_count: 0
    .symbol:         _Z16wvSplitK_hf_sml_I14__hip_bfloat16Li64ELi4ELi16ELi8ELi1ELi1EEviiiiiiPKT_S3_S3_PS1_ii.kd
    .uniform_work_group_size: 1
    .uses_dynamic_stack: false
    .vgpr_count:     52
    .vgpr_spill_count: 0
    .wavefront_size: 64
  - .agpr_count:     0
    .args:
      - .offset:         0
        .size:           4
        .value_kind:     by_value
      - .offset:         4
        .size:           4
        .value_kind:     by_value
      - .offset:         8
        .size:           4
        .value_kind:     by_value
      - .offset:         12
        .size:           4
        .value_kind:     by_value
      - .offset:         16
        .size:           4
        .value_kind:     by_value
      - .offset:         20
        .size:           4
        .value_kind:     by_value
      - .address_space:  global
        .offset:         24
        .size:           8
        .value_kind:     global_buffer
      - .actual_access:  read_only
        .address_space:  global
        .offset:         32
        .size:           8
        .value_kind:     global_buffer
      - .actual_access:  read_only
        .address_space:  global
        .offset:         40
        .size:           8
        .value_kind:     global_buffer
      - .address_space:  global
        .offset:         48
        .size:           8
        .value_kind:     global_buffer
      - .offset:         56
        .size:           4
        .value_kind:     by_value
      - .offset:         60
        .size:           4
        .value_kind:     by_value
    .group_segment_fixed_size: 65536
    .kernarg_segment_align: 8
    .kernarg_segment_size: 64
    .language:       OpenCL C
    .language_version:
      - 2
      - 0
    .max_flat_workgroup_size: 1024
    .name:           _Z12wvSplitK_hf_I14__hip_bfloat16Li64ELi4ELi16ELi8ELi1ELi1EEviiiiiiPKT_S3_S3_PS1_ii
    .private_segment_fixed_size: 0
    .sgpr_count:     43
    .sgpr_spill_count: 0
    .symbol:         _Z12wvSplitK_hf_I14__hip_bfloat16Li64ELi4ELi16ELi8ELi1ELi1EEviiiiiiPKT_S3_S3_PS1_ii.kd
    .uniform_work_group_size: 1
    .uses_dynamic_stack: false
    .vgpr_count:     63
    .vgpr_spill_count: 0
    .wavefront_size: 64
  - .agpr_count:     0
    .args:
      - .offset:         0
        .size:           4
        .value_kind:     by_value
      - .offset:         4
        .size:           4
        .value_kind:     by_value
      - .offset:         8
        .size:           4
        .value_kind:     by_value
      - .offset:         12
        .size:           4
        .value_kind:     by_value
      - .offset:         16
        .size:           4
        .value_kind:     by_value
      - .offset:         20
        .size:           4
        .value_kind:     by_value
      - .address_space:  global
        .offset:         24
        .size:           8
        .value_kind:     global_buffer
      - .actual_access:  read_only
        .address_space:  global
        .offset:         32
        .size:           8
        .value_kind:     global_buffer
      - .actual_access:  read_only
        .address_space:  global
        .offset:         40
        .size:           8
        .value_kind:     global_buffer
      - .address_space:  global
        .offset:         48
        .size:           8
        .value_kind:     global_buffer
      - .offset:         56
        .size:           4
        .value_kind:     by_value
      - .offset:         60
        .size:           4
        .value_kind:     by_value
    .group_segment_fixed_size: 65536
    .kernarg_segment_align: 8
    .kernarg_segment_size: 64
    .language:       OpenCL C
    .language_version:
      - 2
      - 0
    .max_flat_workgroup_size: 1024
    .name:           _Z16wvSplitK_hf_big_I14__hip_bfloat16Li64ELi4ELi16ELi8ELi1ELi1EEviiiiiiPKT_S3_S3_PS1_ii
    .private_segment_fixed_size: 0
    .sgpr_count:     56
    .sgpr_spill_count: 0
    .symbol:         _Z16wvSplitK_hf_big_I14__hip_bfloat16Li64ELi4ELi16ELi8ELi1ELi1EEviiiiiiPKT_S3_S3_PS1_ii.kd
    .uniform_work_group_size: 1
    .uses_dynamic_stack: false
    .vgpr_count:     56
    .vgpr_spill_count: 0
    .wavefront_size: 64
  - .agpr_count:     0
    .args:
      - .offset:         0
        .size:           4
        .value_kind:     by_value
      - .offset:         4
        .size:           4
        .value_kind:     by_value
      - .offset:         8
        .size:           4
        .value_kind:     by_value
      - .offset:         12
        .size:           4
        .value_kind:     by_value
      - .offset:         16
        .size:           4
        .value_kind:     by_value
      - .offset:         20
        .size:           4
        .value_kind:     by_value
      - .address_space:  global
        .offset:         24
        .size:           8
        .value_kind:     global_buffer
      - .actual_access:  read_only
        .address_space:  global
        .offset:         32
        .size:           8
        .value_kind:     global_buffer
      - .actual_access:  read_only
        .address_space:  global
        .offset:         40
        .size:           8
        .value_kind:     global_buffer
      - .address_space:  global
        .offset:         48
        .size:           8
        .value_kind:     global_buffer
      - .offset:         56
        .size:           4
        .value_kind:     by_value
      - .offset:         60
        .size:           4
        .value_kind:     by_value
    .group_segment_fixed_size: 65536
    .kernarg_segment_align: 8
    .kernarg_segment_size: 64
    .language:       OpenCL C
    .language_version:
      - 2
      - 0
    .max_flat_workgroup_size: 1024
    .name:           _Z16wvSplitK_hf_sml_I14__hip_bfloat16Li64ELi4ELi16ELi8ELi2ELi1EEviiiiiiPKT_S3_S3_PS1_ii
    .private_segment_fixed_size: 0
    .sgpr_count:     34
    .sgpr_spill_count: 0
    .symbol:         _Z16wvSplitK_hf_sml_I14__hip_bfloat16Li64ELi4ELi16ELi8ELi2ELi1EEviiiiiiPKT_S3_S3_PS1_ii.kd
    .uniform_work_group_size: 1
    .uses_dynamic_stack: false
    .vgpr_count:     72
    .vgpr_spill_count: 0
    .wavefront_size: 64
  - .agpr_count:     0
    .args:
      - .offset:         0
        .size:           4
        .value_kind:     by_value
      - .offset:         4
        .size:           4
        .value_kind:     by_value
      - .offset:         8
        .size:           4
        .value_kind:     by_value
      - .offset:         12
        .size:           4
        .value_kind:     by_value
      - .offset:         16
        .size:           4
        .value_kind:     by_value
      - .offset:         20
        .size:           4
        .value_kind:     by_value
      - .address_space:  global
        .offset:         24
        .size:           8
        .value_kind:     global_buffer
      - .actual_access:  read_only
        .address_space:  global
        .offset:         32
        .size:           8
        .value_kind:     global_buffer
      - .actual_access:  read_only
        .address_space:  global
        .offset:         40
        .size:           8
        .value_kind:     global_buffer
      - .address_space:  global
        .offset:         48
        .size:           8
        .value_kind:     global_buffer
      - .offset:         56
        .size:           4
        .value_kind:     by_value
      - .offset:         60
        .size:           4
        .value_kind:     by_value
    .group_segment_fixed_size: 65536
    .kernarg_segment_align: 8
    .kernarg_segment_size: 64
    .language:       OpenCL C
    .language_version:
      - 2
      - 0
    .max_flat_workgroup_size: 1024
    .name:           _Z12wvSplitK_hf_I14__hip_bfloat16Li64ELi4ELi16ELi8ELi2ELi1EEviiiiiiPKT_S3_S3_PS1_ii
    .private_segment_fixed_size: 0
    .sgpr_count:     43
    .sgpr_spill_count: 0
    .symbol:         _Z12wvSplitK_hf_I14__hip_bfloat16Li64ELi4ELi16ELi8ELi2ELi1EEviiiiiiPKT_S3_S3_PS1_ii.kd
    .uniform_work_group_size: 1
    .uses_dynamic_stack: false
    .vgpr_count:     85
    .vgpr_spill_count: 0
    .wavefront_size: 64
  - .agpr_count:     0
    .args:
      - .offset:         0
        .size:           4
        .value_kind:     by_value
      - .offset:         4
        .size:           4
        .value_kind:     by_value
      - .offset:         8
        .size:           4
        .value_kind:     by_value
      - .offset:         12
        .size:           4
        .value_kind:     by_value
      - .offset:         16
        .size:           4
        .value_kind:     by_value
      - .offset:         20
        .size:           4
        .value_kind:     by_value
      - .address_space:  global
        .offset:         24
        .size:           8
        .value_kind:     global_buffer
      - .actual_access:  read_only
        .address_space:  global
        .offset:         32
        .size:           8
        .value_kind:     global_buffer
      - .actual_access:  read_only
        .address_space:  global
        .offset:         40
        .size:           8
        .value_kind:     global_buffer
      - .address_space:  global
        .offset:         48
        .size:           8
        .value_kind:     global_buffer
      - .offset:         56
        .size:           4
        .value_kind:     by_value
      - .offset:         60
        .size:           4
        .value_kind:     by_value
    .group_segment_fixed_size: 65536
    .kernarg_segment_align: 8
    .kernarg_segment_size: 64
    .language:       OpenCL C
    .language_version:
      - 2
      - 0
    .max_flat_workgroup_size: 1024
    .name:           _Z16wvSplitK_hf_big_I14__hip_bfloat16Li64ELi4ELi16ELi8ELi2ELi1EEviiiiiiPKT_S3_S3_PS1_ii
    .private_segment_fixed_size: 0
    .sgpr_count:     56
    .sgpr_spill_count: 0
    .symbol:         _Z16wvSplitK_hf_big_I14__hip_bfloat16Li64ELi4ELi16ELi8ELi2ELi1EEviiiiiiPKT_S3_S3_PS1_ii.kd
    .uniform_work_group_size: 1
    .uses_dynamic_stack: false
    .vgpr_count:     77
    .vgpr_spill_count: 0
    .wavefront_size: 64
  - .agpr_count:     0
    .args:
      - .offset:         0
        .size:           4
        .value_kind:     by_value
      - .offset:         4
        .size:           4
        .value_kind:     by_value
      - .offset:         8
        .size:           4
        .value_kind:     by_value
      - .offset:         12
        .size:           4
        .value_kind:     by_value
      - .offset:         16
        .size:           4
        .value_kind:     by_value
      - .offset:         20
        .size:           4
        .value_kind:     by_value
      - .address_space:  global
        .offset:         24
        .size:           8
        .value_kind:     global_buffer
      - .actual_access:  read_only
        .address_space:  global
        .offset:         32
        .size:           8
        .value_kind:     global_buffer
      - .actual_access:  read_only
        .address_space:  global
        .offset:         40
        .size:           8
        .value_kind:     global_buffer
      - .address_space:  global
        .offset:         48
        .size:           8
        .value_kind:     global_buffer
      - .offset:         56
        .size:           4
        .value_kind:     by_value
      - .offset:         60
        .size:           4
        .value_kind:     by_value
    .group_segment_fixed_size: 65536
    .kernarg_segment_align: 8
    .kernarg_segment_size: 64
    .language:       OpenCL C
    .language_version:
      - 2
      - 0
    .max_flat_workgroup_size: 512
    .name:           _Z16wvSplitK_hf_sml_I14__hip_bfloat16Li32ELi1ELi16ELi8ELi4ELi2EEviiiiiiPKT_S3_S3_PS1_ii
    .private_segment_fixed_size: 0
    .sgpr_count:     41
    .sgpr_spill_count: 0
    .symbol:         _Z16wvSplitK_hf_sml_I14__hip_bfloat16Li32ELi1ELi16ELi8ELi4ELi2EEviiiiiiPKT_S3_S3_PS1_ii.kd
    .uniform_work_group_size: 1
    .uses_dynamic_stack: false
    .vgpr_count:     68
    .vgpr_spill_count: 0
    .wavefront_size: 64
  - .agpr_count:     0
    .args:
      - .offset:         0
        .size:           4
        .value_kind:     by_value
      - .offset:         4
        .size:           4
        .value_kind:     by_value
      - .offset:         8
        .size:           4
        .value_kind:     by_value
      - .offset:         12
        .size:           4
        .value_kind:     by_value
      - .offset:         16
        .size:           4
        .value_kind:     by_value
      - .offset:         20
        .size:           4
        .value_kind:     by_value
      - .address_space:  global
        .offset:         24
        .size:           8
        .value_kind:     global_buffer
      - .actual_access:  read_only
        .address_space:  global
        .offset:         32
        .size:           8
        .value_kind:     global_buffer
      - .actual_access:  read_only
        .address_space:  global
        .offset:         40
        .size:           8
        .value_kind:     global_buffer
      - .address_space:  global
        .offset:         48
        .size:           8
        .value_kind:     global_buffer
      - .offset:         56
        .size:           4
        .value_kind:     by_value
      - .offset:         60
        .size:           4
        .value_kind:     by_value
    .group_segment_fixed_size: 65536
    .kernarg_segment_align: 8
    .kernarg_segment_size: 64
    .language:       OpenCL C
    .language_version:
      - 2
      - 0
    .max_flat_workgroup_size: 512
    .name:           _Z12wvSplitK_hf_I14__hip_bfloat16Li32ELi1ELi16ELi8ELi4ELi2EEviiiiiiPKT_S3_S3_PS1_ii
    .private_segment_fixed_size: 0
    .sgpr_count:     50
    .sgpr_spill_count: 0
    .symbol:         _Z12wvSplitK_hf_I14__hip_bfloat16Li32ELi1ELi16ELi8ELi4ELi2EEviiiiiiPKT_S3_S3_PS1_ii.kd
    .uniform_work_group_size: 1
    .uses_dynamic_stack: false
    .vgpr_count:     75
    .vgpr_spill_count: 0
    .wavefront_size: 64
  - .agpr_count:     0
    .args:
      - .offset:         0
        .size:           4
        .value_kind:     by_value
      - .offset:         4
        .size:           4
        .value_kind:     by_value
      - .offset:         8
        .size:           4
        .value_kind:     by_value
      - .offset:         12
        .size:           4
        .value_kind:     by_value
      - .offset:         16
        .size:           4
        .value_kind:     by_value
      - .offset:         20
        .size:           4
        .value_kind:     by_value
      - .address_space:  global
        .offset:         24
        .size:           8
        .value_kind:     global_buffer
      - .actual_access:  read_only
        .address_space:  global
        .offset:         32
        .size:           8
        .value_kind:     global_buffer
      - .actual_access:  read_only
        .address_space:  global
        .offset:         40
        .size:           8
        .value_kind:     global_buffer
      - .address_space:  global
        .offset:         48
        .size:           8
        .value_kind:     global_buffer
      - .offset:         56
        .size:           4
        .value_kind:     by_value
      - .offset:         60
        .size:           4
        .value_kind:     by_value
    .group_segment_fixed_size: 65536
    .kernarg_segment_align: 8
    .kernarg_segment_size: 64
    .language:       OpenCL C
    .language_version:
      - 2
      - 0
    .max_flat_workgroup_size: 512
    .name:           _Z16wvSplitK_hf_big_I14__hip_bfloat16Li32ELi1ELi16ELi8ELi4ELi2EEviiiiiiPKT_S3_S3_PS1_ii
    .private_segment_fixed_size: 0
    .sgpr_count:     56
    .sgpr_spill_count: 0
    .symbol:         _Z16wvSplitK_hf_big_I14__hip_bfloat16Li32ELi1ELi16ELi8ELi4ELi2EEviiiiiiPKT_S3_S3_PS1_ii.kd
    .uniform_work_group_size: 1
    .uses_dynamic_stack: false
    .vgpr_count:     71
    .vgpr_spill_count: 0
    .wavefront_size: 64
  - .agpr_count:     0
    .args:
      - .offset:         0
        .size:           4
        .value_kind:     by_value
      - .offset:         4
        .size:           4
        .value_kind:     by_value
      - .offset:         8
        .size:           4
        .value_kind:     by_value
      - .offset:         12
        .size:           4
        .value_kind:     by_value
      - .offset:         16
        .size:           4
        .value_kind:     by_value
      - .offset:         20
        .size:           4
        .value_kind:     by_value
      - .address_space:  global
        .offset:         24
        .size:           8
        .value_kind:     global_buffer
      - .actual_access:  read_only
        .address_space:  global
        .offset:         32
        .size:           8
        .value_kind:     global_buffer
      - .actual_access:  read_only
        .address_space:  global
        .offset:         40
        .size:           8
        .value_kind:     global_buffer
      - .address_space:  global
        .offset:         48
        .size:           8
        .value_kind:     global_buffer
      - .offset:         56
        .size:           4
        .value_kind:     by_value
      - .offset:         60
        .size:           4
        .value_kind:     by_value
    .group_segment_fixed_size: 65536
    .kernarg_segment_align: 8
    .kernarg_segment_size: 64
    .language:       OpenCL C
    .language_version:
      - 2
      - 0
    .max_flat_workgroup_size: 512
    .name:           _Z16wvSplitK_hf_sml_I14__hip_bfloat16Li32ELi2ELi16ELi8ELi2ELi2EEviiiiiiPKT_S3_S3_PS1_ii
    .private_segment_fixed_size: 0
    .sgpr_count:     36
    .sgpr_spill_count: 0
    .symbol:         _Z16wvSplitK_hf_sml_I14__hip_bfloat16Li32ELi2ELi16ELi8ELi2ELi2EEviiiiiiPKT_S3_S3_PS1_ii.kd
    .uniform_work_group_size: 1
    .uses_dynamic_stack: false
    .vgpr_count:     60
    .vgpr_spill_count: 0
    .wavefront_size: 64
  - .agpr_count:     0
    .args:
      - .offset:         0
        .size:           4
        .value_kind:     by_value
      - .offset:         4
        .size:           4
        .value_kind:     by_value
      - .offset:         8
        .size:           4
        .value_kind:     by_value
      - .offset:         12
        .size:           4
        .value_kind:     by_value
      - .offset:         16
        .size:           4
        .value_kind:     by_value
      - .offset:         20
        .size:           4
        .value_kind:     by_value
      - .address_space:  global
        .offset:         24
        .size:           8
        .value_kind:     global_buffer
      - .actual_access:  read_only
        .address_space:  global
        .offset:         32
        .size:           8
        .value_kind:     global_buffer
      - .actual_access:  read_only
        .address_space:  global
        .offset:         40
        .size:           8
        .value_kind:     global_buffer
      - .address_space:  global
        .offset:         48
        .size:           8
        .value_kind:     global_buffer
      - .offset:         56
        .size:           4
        .value_kind:     by_value
      - .offset:         60
        .size:           4
        .value_kind:     by_value
    .group_segment_fixed_size: 65536
    .kernarg_segment_align: 8
    .kernarg_segment_size: 64
    .language:       OpenCL C
    .language_version:
      - 2
      - 0
    .max_flat_workgroup_size: 512
    .name:           _Z12wvSplitK_hf_I14__hip_bfloat16Li32ELi2ELi16ELi8ELi2ELi2EEviiiiiiPKT_S3_S3_PS1_ii
    .private_segment_fixed_size: 0
    .sgpr_count:     47
    .sgpr_spill_count: 0
    .symbol:         _Z12wvSplitK_hf_I14__hip_bfloat16Li32ELi2ELi16ELi8ELi2ELi2EEviiiiiiPKT_S3_S3_PS1_ii.kd
    .uniform_work_group_size: 1
    .uses_dynamic_stack: false
    .vgpr_count:     66
    .vgpr_spill_count: 0
    .wavefront_size: 64
  - .agpr_count:     0
    .args:
      - .offset:         0
        .size:           4
        .value_kind:     by_value
      - .offset:         4
        .size:           4
        .value_kind:     by_value
      - .offset:         8
        .size:           4
        .value_kind:     by_value
      - .offset:         12
        .size:           4
        .value_kind:     by_value
      - .offset:         16
        .size:           4
        .value_kind:     by_value
      - .offset:         20
        .size:           4
        .value_kind:     by_value
      - .address_space:  global
        .offset:         24
        .size:           8
        .value_kind:     global_buffer
      - .actual_access:  read_only
        .address_space:  global
        .offset:         32
        .size:           8
        .value_kind:     global_buffer
      - .actual_access:  read_only
        .address_space:  global
        .offset:         40
        .size:           8
        .value_kind:     global_buffer
      - .address_space:  global
        .offset:         48
        .size:           8
        .value_kind:     global_buffer
      - .offset:         56
        .size:           4
        .value_kind:     by_value
      - .offset:         60
        .size:           4
        .value_kind:     by_value
    .group_segment_fixed_size: 65536
    .kernarg_segment_align: 8
    .kernarg_segment_size: 64
    .language:       OpenCL C
    .language_version:
      - 2
      - 0
    .max_flat_workgroup_size: 512
    .name:           _Z16wvSplitK_hf_big_I14__hip_bfloat16Li32ELi2ELi16ELi8ELi2ELi2EEviiiiiiPKT_S3_S3_PS1_ii
    .private_segment_fixed_size: 0
    .sgpr_count:     58
    .sgpr_spill_count: 0
    .symbol:         _Z16wvSplitK_hf_big_I14__hip_bfloat16Li32ELi2ELi16ELi8ELi2ELi2EEviiiiiiPKT_S3_S3_PS1_ii.kd
    .uniform_work_group_size: 1
    .uses_dynamic_stack: false
    .vgpr_count:     64
    .vgpr_spill_count: 0
    .wavefront_size: 64
  - .agpr_count:     0
    .args:
      - .offset:         0
        .size:           4
        .value_kind:     by_value
      - .offset:         4
        .size:           4
        .value_kind:     by_value
      - .offset:         8
        .size:           4
        .value_kind:     by_value
      - .offset:         12
        .size:           4
        .value_kind:     by_value
      - .offset:         16
        .size:           4
        .value_kind:     by_value
      - .offset:         20
        .size:           4
        .value_kind:     by_value
      - .address_space:  global
        .offset:         24
        .size:           8
        .value_kind:     global_buffer
      - .actual_access:  read_only
        .address_space:  global
        .offset:         32
        .size:           8
        .value_kind:     global_buffer
      - .actual_access:  read_only
        .address_space:  global
        .offset:         40
        .size:           8
        .value_kind:     global_buffer
      - .address_space:  global
        .offset:         48
        .size:           8
        .value_kind:     global_buffer
      - .offset:         56
        .size:           4
        .value_kind:     by_value
      - .offset:         60
        .size:           4
        .value_kind:     by_value
    .group_segment_fixed_size: 65536
    .kernarg_segment_align: 8
    .kernarg_segment_size: 64
    .language:       OpenCL C
    .language_version:
      - 2
      - 0
    .max_flat_workgroup_size: 512
    .name:           _Z16wvSplitK_hf_sml_I14__hip_bfloat16Li32ELi3ELi16ELi8ELi2ELi2EEviiiiiiPKT_S3_S3_PS1_ii
    .private_segment_fixed_size: 0
    .sgpr_count:     36
    .sgpr_spill_count: 0
    .symbol:         _Z16wvSplitK_hf_sml_I14__hip_bfloat16Li32ELi3ELi16ELi8ELi2ELi2EEviiiiiiPKT_S3_S3_PS1_ii.kd
    .uniform_work_group_size: 1
    .uses_dynamic_stack: false
    .vgpr_count:     79
    .vgpr_spill_count: 0
    .wavefront_size: 64
  - .agpr_count:     0
    .args:
      - .offset:         0
        .size:           4
        .value_kind:     by_value
      - .offset:         4
        .size:           4
        .value_kind:     by_value
      - .offset:         8
        .size:           4
        .value_kind:     by_value
      - .offset:         12
        .size:           4
        .value_kind:     by_value
      - .offset:         16
        .size:           4
        .value_kind:     by_value
      - .offset:         20
        .size:           4
        .value_kind:     by_value
      - .address_space:  global
        .offset:         24
        .size:           8
        .value_kind:     global_buffer
      - .actual_access:  read_only
        .address_space:  global
        .offset:         32
        .size:           8
        .value_kind:     global_buffer
      - .actual_access:  read_only
        .address_space:  global
        .offset:         40
        .size:           8
        .value_kind:     global_buffer
      - .address_space:  global
        .offset:         48
        .size:           8
        .value_kind:     global_buffer
      - .offset:         56
        .size:           4
        .value_kind:     by_value
      - .offset:         60
        .size:           4
        .value_kind:     by_value
    .group_segment_fixed_size: 65536
    .kernarg_segment_align: 8
    .kernarg_segment_size: 64
    .language:       OpenCL C
    .language_version:
      - 2
      - 0
    .max_flat_workgroup_size: 512
    .name:           _Z12wvSplitK_hf_I14__hip_bfloat16Li32ELi3ELi16ELi8ELi2ELi2EEviiiiiiPKT_S3_S3_PS1_ii
    .private_segment_fixed_size: 0
    .sgpr_count:     49
    .sgpr_spill_count: 0
    .symbol:         _Z12wvSplitK_hf_I14__hip_bfloat16Li32ELi3ELi16ELi8ELi2ELi2EEviiiiiiPKT_S3_S3_PS1_ii.kd
    .uniform_work_group_size: 1
    .uses_dynamic_stack: false
    .vgpr_count:     87
    .vgpr_spill_count: 0
    .wavefront_size: 64
  - .agpr_count:     0
    .args:
      - .offset:         0
        .size:           4
        .value_kind:     by_value
      - .offset:         4
        .size:           4
        .value_kind:     by_value
      - .offset:         8
        .size:           4
        .value_kind:     by_value
      - .offset:         12
        .size:           4
        .value_kind:     by_value
      - .offset:         16
        .size:           4
        .value_kind:     by_value
      - .offset:         20
        .size:           4
        .value_kind:     by_value
      - .address_space:  global
        .offset:         24
        .size:           8
        .value_kind:     global_buffer
      - .actual_access:  read_only
        .address_space:  global
        .offset:         32
        .size:           8
        .value_kind:     global_buffer
      - .actual_access:  read_only
        .address_space:  global
        .offset:         40
        .size:           8
        .value_kind:     global_buffer
      - .address_space:  global
        .offset:         48
        .size:           8
        .value_kind:     global_buffer
      - .offset:         56
        .size:           4
        .value_kind:     by_value
      - .offset:         60
        .size:           4
        .value_kind:     by_value
    .group_segment_fixed_size: 65536
    .kernarg_segment_align: 8
    .kernarg_segment_size: 64
    .language:       OpenCL C
    .language_version:
      - 2
      - 0
    .max_flat_workgroup_size: 512
    .name:           _Z16wvSplitK_hf_big_I14__hip_bfloat16Li32ELi3ELi16ELi8ELi2ELi2EEviiiiiiPKT_S3_S3_PS1_ii
    .private_segment_fixed_size: 0
    .sgpr_count:     58
    .sgpr_spill_count: 0
    .symbol:         _Z16wvSplitK_hf_big_I14__hip_bfloat16Li32ELi3ELi16ELi8ELi2ELi2EEviiiiiiPKT_S3_S3_PS1_ii.kd
    .uniform_work_group_size: 1
    .uses_dynamic_stack: false
    .vgpr_count:     83
    .vgpr_spill_count: 0
    .wavefront_size: 64
  - .agpr_count:     0
    .args:
      - .offset:         0
        .size:           4
        .value_kind:     by_value
      - .offset:         4
        .size:           4
        .value_kind:     by_value
      - .offset:         8
        .size:           4
        .value_kind:     by_value
      - .offset:         12
        .size:           4
        .value_kind:     by_value
      - .offset:         16
        .size:           4
        .value_kind:     by_value
      - .offset:         20
        .size:           4
        .value_kind:     by_value
      - .address_space:  global
        .offset:         24
        .size:           8
        .value_kind:     global_buffer
      - .actual_access:  read_only
        .address_space:  global
        .offset:         32
        .size:           8
        .value_kind:     global_buffer
      - .actual_access:  read_only
        .address_space:  global
        .offset:         40
        .size:           8
        .value_kind:     global_buffer
      - .address_space:  global
        .offset:         48
        .size:           8
        .value_kind:     global_buffer
      - .offset:         56
        .size:           4
        .value_kind:     by_value
      - .offset:         60
        .size:           4
        .value_kind:     by_value
    .group_segment_fixed_size: 65536
    .kernarg_segment_align: 8
    .kernarg_segment_size: 64
    .language:       OpenCL C
    .language_version:
      - 2
      - 0
    .max_flat_workgroup_size: 512
    .name:           _Z16wvSplitK_hf_sml_I14__hip_bfloat16Li32ELi4ELi16ELi8ELi1ELi2EEviiiiiiPKT_S3_S3_PS1_ii
    .private_segment_fixed_size: 0
    .sgpr_count:     35
    .sgpr_spill_count: 0
    .symbol:         _Z16wvSplitK_hf_sml_I14__hip_bfloat16Li32ELi4ELi16ELi8ELi1ELi2EEviiiiiiPKT_S3_S3_PS1_ii.kd
    .uniform_work_group_size: 1
    .uses_dynamic_stack: false
    .vgpr_count:     71
    .vgpr_spill_count: 0
    .wavefront_size: 64
  - .agpr_count:     0
    .args:
      - .offset:         0
        .size:           4
        .value_kind:     by_value
      - .offset:         4
        .size:           4
        .value_kind:     by_value
      - .offset:         8
        .size:           4
        .value_kind:     by_value
      - .offset:         12
        .size:           4
        .value_kind:     by_value
      - .offset:         16
        .size:           4
        .value_kind:     by_value
      - .offset:         20
        .size:           4
        .value_kind:     by_value
      - .address_space:  global
        .offset:         24
        .size:           8
        .value_kind:     global_buffer
      - .actual_access:  read_only
        .address_space:  global
        .offset:         32
        .size:           8
        .value_kind:     global_buffer
      - .actual_access:  read_only
        .address_space:  global
        .offset:         40
        .size:           8
        .value_kind:     global_buffer
      - .address_space:  global
        .offset:         48
        .size:           8
        .value_kind:     global_buffer
      - .offset:         56
        .size:           4
        .value_kind:     by_value
      - .offset:         60
        .size:           4
        .value_kind:     by_value
    .group_segment_fixed_size: 65536
    .kernarg_segment_align: 8
    .kernarg_segment_size: 64
    .language:       OpenCL C
    .language_version:
      - 2
      - 0
    .max_flat_workgroup_size: 512
    .name:           _Z12wvSplitK_hf_I14__hip_bfloat16Li32ELi4ELi16ELi8ELi1ELi2EEviiiiiiPKT_S3_S3_PS1_ii
    .private_segment_fixed_size: 0
    .sgpr_count:     49
    .sgpr_spill_count: 0
    .symbol:         _Z12wvSplitK_hf_I14__hip_bfloat16Li32ELi4ELi16ELi8ELi1ELi2EEviiiiiiPKT_S3_S3_PS1_ii.kd
    .uniform_work_group_size: 1
    .uses_dynamic_stack: false
    .vgpr_count:     84
    .vgpr_spill_count: 0
    .wavefront_size: 64
  - .agpr_count:     0
    .args:
      - .offset:         0
        .size:           4
        .value_kind:     by_value
      - .offset:         4
        .size:           4
        .value_kind:     by_value
      - .offset:         8
        .size:           4
        .value_kind:     by_value
      - .offset:         12
        .size:           4
        .value_kind:     by_value
      - .offset:         16
        .size:           4
        .value_kind:     by_value
      - .offset:         20
        .size:           4
        .value_kind:     by_value
      - .address_space:  global
        .offset:         24
        .size:           8
        .value_kind:     global_buffer
      - .actual_access:  read_only
        .address_space:  global
        .offset:         32
        .size:           8
        .value_kind:     global_buffer
      - .actual_access:  read_only
        .address_space:  global
        .offset:         40
        .size:           8
        .value_kind:     global_buffer
      - .address_space:  global
        .offset:         48
        .size:           8
        .value_kind:     global_buffer
      - .offset:         56
        .size:           4
        .value_kind:     by_value
      - .offset:         60
        .size:           4
        .value_kind:     by_value
    .group_segment_fixed_size: 65536
    .kernarg_segment_align: 8
    .kernarg_segment_size: 64
    .language:       OpenCL C
    .language_version:
      - 2
      - 0
    .max_flat_workgroup_size: 512
    .name:           _Z16wvSplitK_hf_big_I14__hip_bfloat16Li32ELi4ELi16ELi8ELi1ELi2EEviiiiiiPKT_S3_S3_PS1_ii
    .private_segment_fixed_size: 0
    .sgpr_count:     60
    .sgpr_spill_count: 0
    .symbol:         _Z16wvSplitK_hf_big_I14__hip_bfloat16Li32ELi4ELi16ELi8ELi1ELi2EEviiiiiiPKT_S3_S3_PS1_ii.kd
    .uniform_work_group_size: 1
    .uses_dynamic_stack: false
    .vgpr_count:     77
    .vgpr_spill_count: 0
    .wavefront_size: 64
  - .agpr_count:     0
    .args:
      - .offset:         0
        .size:           4
        .value_kind:     by_value
      - .offset:         4
        .size:           4
        .value_kind:     by_value
      - .offset:         8
        .size:           4
        .value_kind:     by_value
      - .offset:         12
        .size:           4
        .value_kind:     by_value
      - .offset:         16
        .size:           4
        .value_kind:     by_value
      - .offset:         20
        .size:           4
        .value_kind:     by_value
      - .address_space:  global
        .offset:         24
        .size:           8
        .value_kind:     global_buffer
      - .actual_access:  read_only
        .address_space:  global
        .offset:         32
        .size:           8
        .value_kind:     global_buffer
      - .actual_access:  read_only
        .address_space:  global
        .offset:         40
        .size:           8
        .value_kind:     global_buffer
      - .address_space:  global
        .offset:         48
        .size:           8
        .value_kind:     global_buffer
      - .offset:         56
        .size:           4
        .value_kind:     by_value
      - .offset:         60
        .size:           4
        .value_kind:     by_value
    .group_segment_fixed_size: 65536
    .kernarg_segment_align: 8
    .kernarg_segment_size: 64
    .language:       OpenCL C
    .language_version:
      - 2
      - 0
    .max_flat_workgroup_size: 512
    .name:           _Z16wvSplitK_hf_sml_I14__hip_bfloat16Li32ELi4ELi16ELi8ELi2ELi2EEviiiiiiPKT_S3_S3_PS1_ii
    .private_segment_fixed_size: 0
    .sgpr_count:     36
    .sgpr_spill_count: 0
    .symbol:         _Z16wvSplitK_hf_sml_I14__hip_bfloat16Li32ELi4ELi16ELi8ELi2ELi2EEviiiiiiPKT_S3_S3_PS1_ii.kd
    .uniform_work_group_size: 1
    .uses_dynamic_stack: false
    .vgpr_count:     96
    .vgpr_spill_count: 0
    .wavefront_size: 64
  - .agpr_count:     0
    .args:
      - .offset:         0
        .size:           4
        .value_kind:     by_value
      - .offset:         4
        .size:           4
        .value_kind:     by_value
      - .offset:         8
        .size:           4
        .value_kind:     by_value
      - .offset:         12
        .size:           4
        .value_kind:     by_value
      - .offset:         16
        .size:           4
        .value_kind:     by_value
      - .offset:         20
        .size:           4
        .value_kind:     by_value
      - .address_space:  global
        .offset:         24
        .size:           8
        .value_kind:     global_buffer
      - .actual_access:  read_only
        .address_space:  global
        .offset:         32
        .size:           8
        .value_kind:     global_buffer
      - .actual_access:  read_only
        .address_space:  global
        .offset:         40
        .size:           8
        .value_kind:     global_buffer
      - .address_space:  global
        .offset:         48
        .size:           8
        .value_kind:     global_buffer
      - .offset:         56
        .size:           4
        .value_kind:     by_value
      - .offset:         60
        .size:           4
        .value_kind:     by_value
    .group_segment_fixed_size: 65536
    .kernarg_segment_align: 8
    .kernarg_segment_size: 64
    .language:       OpenCL C
    .language_version:
      - 2
      - 0
    .max_flat_workgroup_size: 512
    .name:           _Z12wvSplitK_hf_I14__hip_bfloat16Li32ELi4ELi16ELi8ELi2ELi2EEviiiiiiPKT_S3_S3_PS1_ii
    .private_segment_fixed_size: 0
    .sgpr_count:     51
    .sgpr_spill_count: 0
    .symbol:         _Z12wvSplitK_hf_I14__hip_bfloat16Li32ELi4ELi16ELi8ELi2ELi2EEviiiiiiPKT_S3_S3_PS1_ii.kd
    .uniform_work_group_size: 1
    .uses_dynamic_stack: false
    .vgpr_count:     108
    .vgpr_spill_count: 0
    .wavefront_size: 64
  - .agpr_count:     0
    .args:
      - .offset:         0
        .size:           4
        .value_kind:     by_value
      - .offset:         4
        .size:           4
        .value_kind:     by_value
      - .offset:         8
        .size:           4
        .value_kind:     by_value
      - .offset:         12
        .size:           4
        .value_kind:     by_value
      - .offset:         16
        .size:           4
        .value_kind:     by_value
      - .offset:         20
        .size:           4
        .value_kind:     by_value
      - .address_space:  global
        .offset:         24
        .size:           8
        .value_kind:     global_buffer
      - .actual_access:  read_only
        .address_space:  global
        .offset:         32
        .size:           8
        .value_kind:     global_buffer
      - .actual_access:  read_only
        .address_space:  global
        .offset:         40
        .size:           8
        .value_kind:     global_buffer
      - .address_space:  global
        .offset:         48
        .size:           8
        .value_kind:     global_buffer
      - .offset:         56
        .size:           4
        .value_kind:     by_value
      - .offset:         60
        .size:           4
        .value_kind:     by_value
    .group_segment_fixed_size: 65536
    .kernarg_segment_align: 8
    .kernarg_segment_size: 64
    .language:       OpenCL C
    .language_version:
      - 2
      - 0
    .max_flat_workgroup_size: 512
    .name:           _Z16wvSplitK_hf_big_I14__hip_bfloat16Li32ELi4ELi16ELi8ELi2ELi2EEviiiiiiPKT_S3_S3_PS1_ii
    .private_segment_fixed_size: 0
    .sgpr_count:     60
    .sgpr_spill_count: 0
    .symbol:         _Z16wvSplitK_hf_big_I14__hip_bfloat16Li32ELi4ELi16ELi8ELi2ELi2EEviiiiiiPKT_S3_S3_PS1_ii.kd
    .uniform_work_group_size: 1
    .uses_dynamic_stack: false
    .vgpr_count:     102
    .vgpr_spill_count: 0
    .wavefront_size: 64
  - .agpr_count:     0
    .args:
      - .offset:         0
        .size:           4
        .value_kind:     by_value
      - .offset:         4
        .size:           4
        .value_kind:     by_value
      - .offset:         8
        .size:           4
        .value_kind:     by_value
      - .offset:         12
        .size:           4
        .value_kind:     by_value
      - .offset:         16
        .size:           4
        .value_kind:     by_value
      - .offset:         20
        .size:           4
        .value_kind:     by_value
      - .address_space:  global
        .offset:         24
        .size:           8
        .value_kind:     global_buffer
      - .actual_access:  read_only
        .address_space:  global
        .offset:         32
        .size:           8
        .value_kind:     global_buffer
      - .actual_access:  read_only
        .address_space:  global
        .offset:         40
        .size:           8
        .value_kind:     global_buffer
      - .address_space:  global
        .offset:         48
        .size:           8
        .value_kind:     global_buffer
      - .offset:         56
        .size:           4
        .value_kind:     by_value
      - .offset:         60
        .size:           4
        .value_kind:     by_value
    .group_segment_fixed_size: 65536
    .kernarg_segment_align: 8
    .kernarg_segment_size: 64
    .language:       OpenCL C
    .language_version:
      - 2
      - 0
    .max_flat_workgroup_size: 1024
    .name:           _Z16wvSplitK_hf_sml_I14__hip_bfloat16Li64ELi1ELi16ELi8ELi4ELi2EEviiiiiiPKT_S3_S3_PS1_ii
    .private_segment_fixed_size: 0
    .sgpr_count:     41
    .sgpr_spill_count: 0
    .symbol:         _Z16wvSplitK_hf_sml_I14__hip_bfloat16Li64ELi1ELi16ELi8ELi4ELi2EEviiiiiiPKT_S3_S3_PS1_ii.kd
    .uniform_work_group_size: 1
    .uses_dynamic_stack: false
    .vgpr_count:     68
    .vgpr_spill_count: 0
    .wavefront_size: 64
  - .agpr_count:     0
    .args:
      - .offset:         0
        .size:           4
        .value_kind:     by_value
      - .offset:         4
        .size:           4
        .value_kind:     by_value
      - .offset:         8
        .size:           4
        .value_kind:     by_value
      - .offset:         12
        .size:           4
        .value_kind:     by_value
      - .offset:         16
        .size:           4
        .value_kind:     by_value
      - .offset:         20
        .size:           4
        .value_kind:     by_value
      - .address_space:  global
        .offset:         24
        .size:           8
        .value_kind:     global_buffer
      - .actual_access:  read_only
        .address_space:  global
        .offset:         32
        .size:           8
        .value_kind:     global_buffer
      - .actual_access:  read_only
        .address_space:  global
        .offset:         40
        .size:           8
        .value_kind:     global_buffer
      - .address_space:  global
        .offset:         48
        .size:           8
        .value_kind:     global_buffer
      - .offset:         56
        .size:           4
        .value_kind:     by_value
      - .offset:         60
        .size:           4
        .value_kind:     by_value
    .group_segment_fixed_size: 65536
    .kernarg_segment_align: 8
    .kernarg_segment_size: 64
    .language:       OpenCL C
    .language_version:
      - 2
      - 0
    .max_flat_workgroup_size: 1024
    .name:           _Z12wvSplitK_hf_I14__hip_bfloat16Li64ELi1ELi16ELi8ELi4ELi2EEviiiiiiPKT_S3_S3_PS1_ii
    .private_segment_fixed_size: 0
    .sgpr_count:     50
    .sgpr_spill_count: 0
    .symbol:         _Z12wvSplitK_hf_I14__hip_bfloat16Li64ELi1ELi16ELi8ELi4ELi2EEviiiiiiPKT_S3_S3_PS1_ii.kd
    .uniform_work_group_size: 1
    .uses_dynamic_stack: false
    .vgpr_count:     75
    .vgpr_spill_count: 0
    .wavefront_size: 64
  - .agpr_count:     0
    .args:
      - .offset:         0
        .size:           4
        .value_kind:     by_value
      - .offset:         4
        .size:           4
        .value_kind:     by_value
      - .offset:         8
        .size:           4
        .value_kind:     by_value
      - .offset:         12
        .size:           4
        .value_kind:     by_value
      - .offset:         16
        .size:           4
        .value_kind:     by_value
      - .offset:         20
        .size:           4
        .value_kind:     by_value
      - .address_space:  global
        .offset:         24
        .size:           8
        .value_kind:     global_buffer
      - .actual_access:  read_only
        .address_space:  global
        .offset:         32
        .size:           8
        .value_kind:     global_buffer
      - .actual_access:  read_only
        .address_space:  global
        .offset:         40
        .size:           8
        .value_kind:     global_buffer
      - .address_space:  global
        .offset:         48
        .size:           8
        .value_kind:     global_buffer
      - .offset:         56
        .size:           4
        .value_kind:     by_value
      - .offset:         60
        .size:           4
        .value_kind:     by_value
    .group_segment_fixed_size: 65536
    .kernarg_segment_align: 8
    .kernarg_segment_size: 64
    .language:       OpenCL C
    .language_version:
      - 2
      - 0
    .max_flat_workgroup_size: 1024
    .name:           _Z16wvSplitK_hf_big_I14__hip_bfloat16Li64ELi1ELi16ELi8ELi4ELi2EEviiiiiiPKT_S3_S3_PS1_ii
    .private_segment_fixed_size: 0
    .sgpr_count:     56
    .sgpr_spill_count: 0
    .symbol:         _Z16wvSplitK_hf_big_I14__hip_bfloat16Li64ELi1ELi16ELi8ELi4ELi2EEviiiiiiPKT_S3_S3_PS1_ii.kd
    .uniform_work_group_size: 1
    .uses_dynamic_stack: false
    .vgpr_count:     71
    .vgpr_spill_count: 0
    .wavefront_size: 64
  - .agpr_count:     0
    .args:
      - .offset:         0
        .size:           4
        .value_kind:     by_value
      - .offset:         4
        .size:           4
        .value_kind:     by_value
      - .offset:         8
        .size:           4
        .value_kind:     by_value
      - .offset:         12
        .size:           4
        .value_kind:     by_value
      - .offset:         16
        .size:           4
        .value_kind:     by_value
      - .offset:         20
        .size:           4
        .value_kind:     by_value
      - .address_space:  global
        .offset:         24
        .size:           8
        .value_kind:     global_buffer
      - .actual_access:  read_only
        .address_space:  global
        .offset:         32
        .size:           8
        .value_kind:     global_buffer
      - .actual_access:  read_only
        .address_space:  global
        .offset:         40
        .size:           8
        .value_kind:     global_buffer
      - .address_space:  global
        .offset:         48
        .size:           8
        .value_kind:     global_buffer
      - .offset:         56
        .size:           4
        .value_kind:     by_value
      - .offset:         60
        .size:           4
        .value_kind:     by_value
    .group_segment_fixed_size: 65536
    .kernarg_segment_align: 8
    .kernarg_segment_size: 64
    .language:       OpenCL C
    .language_version:
      - 2
      - 0
    .max_flat_workgroup_size: 1024
    .name:           _Z16wvSplitK_hf_sml_I14__hip_bfloat16Li64ELi2ELi16ELi8ELi2ELi2EEviiiiiiPKT_S3_S3_PS1_ii
    .private_segment_fixed_size: 0
    .sgpr_count:     36
    .sgpr_spill_count: 0
    .symbol:         _Z16wvSplitK_hf_sml_I14__hip_bfloat16Li64ELi2ELi16ELi8ELi2ELi2EEviiiiiiPKT_S3_S3_PS1_ii.kd
    .uniform_work_group_size: 1
    .uses_dynamic_stack: false
    .vgpr_count:     60
    .vgpr_spill_count: 0
    .wavefront_size: 64
  - .agpr_count:     0
    .args:
      - .offset:         0
        .size:           4
        .value_kind:     by_value
      - .offset:         4
        .size:           4
        .value_kind:     by_value
      - .offset:         8
        .size:           4
        .value_kind:     by_value
      - .offset:         12
        .size:           4
        .value_kind:     by_value
      - .offset:         16
        .size:           4
        .value_kind:     by_value
      - .offset:         20
        .size:           4
        .value_kind:     by_value
      - .address_space:  global
        .offset:         24
        .size:           8
        .value_kind:     global_buffer
      - .actual_access:  read_only
        .address_space:  global
        .offset:         32
        .size:           8
        .value_kind:     global_buffer
      - .actual_access:  read_only
        .address_space:  global
        .offset:         40
        .size:           8
        .value_kind:     global_buffer
      - .address_space:  global
        .offset:         48
        .size:           8
        .value_kind:     global_buffer
      - .offset:         56
        .size:           4
        .value_kind:     by_value
      - .offset:         60
        .size:           4
        .value_kind:     by_value
    .group_segment_fixed_size: 65536
    .kernarg_segment_align: 8
    .kernarg_segment_size: 64
    .language:       OpenCL C
    .language_version:
      - 2
      - 0
    .max_flat_workgroup_size: 1024
    .name:           _Z12wvSplitK_hf_I14__hip_bfloat16Li64ELi2ELi16ELi8ELi2ELi2EEviiiiiiPKT_S3_S3_PS1_ii
    .private_segment_fixed_size: 0
    .sgpr_count:     47
    .sgpr_spill_count: 0
    .symbol:         _Z12wvSplitK_hf_I14__hip_bfloat16Li64ELi2ELi16ELi8ELi2ELi2EEviiiiiiPKT_S3_S3_PS1_ii.kd
    .uniform_work_group_size: 1
    .uses_dynamic_stack: false
    .vgpr_count:     66
    .vgpr_spill_count: 0
    .wavefront_size: 64
  - .agpr_count:     0
    .args:
      - .offset:         0
        .size:           4
        .value_kind:     by_value
      - .offset:         4
        .size:           4
        .value_kind:     by_value
      - .offset:         8
        .size:           4
        .value_kind:     by_value
      - .offset:         12
        .size:           4
        .value_kind:     by_value
      - .offset:         16
        .size:           4
        .value_kind:     by_value
      - .offset:         20
        .size:           4
        .value_kind:     by_value
      - .address_space:  global
        .offset:         24
        .size:           8
        .value_kind:     global_buffer
      - .actual_access:  read_only
        .address_space:  global
        .offset:         32
        .size:           8
        .value_kind:     global_buffer
      - .actual_access:  read_only
        .address_space:  global
        .offset:         40
        .size:           8
        .value_kind:     global_buffer
      - .address_space:  global
        .offset:         48
        .size:           8
        .value_kind:     global_buffer
      - .offset:         56
        .size:           4
        .value_kind:     by_value
      - .offset:         60
        .size:           4
        .value_kind:     by_value
    .group_segment_fixed_size: 65536
    .kernarg_segment_align: 8
    .kernarg_segment_size: 64
    .language:       OpenCL C
    .language_version:
      - 2
      - 0
    .max_flat_workgroup_size: 1024
    .name:           _Z16wvSplitK_hf_big_I14__hip_bfloat16Li64ELi2ELi16ELi8ELi2ELi2EEviiiiiiPKT_S3_S3_PS1_ii
    .private_segment_fixed_size: 0
    .sgpr_count:     58
    .sgpr_spill_count: 0
    .symbol:         _Z16wvSplitK_hf_big_I14__hip_bfloat16Li64ELi2ELi16ELi8ELi2ELi2EEviiiiiiPKT_S3_S3_PS1_ii.kd
    .uniform_work_group_size: 1
    .uses_dynamic_stack: false
    .vgpr_count:     64
    .vgpr_spill_count: 0
    .wavefront_size: 64
  - .agpr_count:     0
    .args:
      - .offset:         0
        .size:           4
        .value_kind:     by_value
      - .offset:         4
        .size:           4
        .value_kind:     by_value
      - .offset:         8
        .size:           4
        .value_kind:     by_value
      - .offset:         12
        .size:           4
        .value_kind:     by_value
      - .offset:         16
        .size:           4
        .value_kind:     by_value
      - .offset:         20
        .size:           4
        .value_kind:     by_value
      - .address_space:  global
        .offset:         24
        .size:           8
        .value_kind:     global_buffer
      - .actual_access:  read_only
        .address_space:  global
        .offset:         32
        .size:           8
        .value_kind:     global_buffer
      - .actual_access:  read_only
        .address_space:  global
        .offset:         40
        .size:           8
        .value_kind:     global_buffer
      - .address_space:  global
        .offset:         48
        .size:           8
        .value_kind:     global_buffer
      - .offset:         56
        .size:           4
        .value_kind:     by_value
      - .offset:         60
        .size:           4
        .value_kind:     by_value
    .group_segment_fixed_size: 65536
    .kernarg_segment_align: 8
    .kernarg_segment_size: 64
    .language:       OpenCL C
    .language_version:
      - 2
      - 0
    .max_flat_workgroup_size: 1024
    .name:           _Z16wvSplitK_hf_sml_I14__hip_bfloat16Li64ELi3ELi16ELi8ELi2ELi2EEviiiiiiPKT_S3_S3_PS1_ii
    .private_segment_fixed_size: 0
    .sgpr_count:     36
    .sgpr_spill_count: 0
    .symbol:         _Z16wvSplitK_hf_sml_I14__hip_bfloat16Li64ELi3ELi16ELi8ELi2ELi2EEviiiiiiPKT_S3_S3_PS1_ii.kd
    .uniform_work_group_size: 1
    .uses_dynamic_stack: false
    .vgpr_count:     79
    .vgpr_spill_count: 0
    .wavefront_size: 64
  - .agpr_count:     0
    .args:
      - .offset:         0
        .size:           4
        .value_kind:     by_value
      - .offset:         4
        .size:           4
        .value_kind:     by_value
      - .offset:         8
        .size:           4
        .value_kind:     by_value
      - .offset:         12
        .size:           4
        .value_kind:     by_value
      - .offset:         16
        .size:           4
        .value_kind:     by_value
      - .offset:         20
        .size:           4
        .value_kind:     by_value
      - .address_space:  global
        .offset:         24
        .size:           8
        .value_kind:     global_buffer
      - .actual_access:  read_only
        .address_space:  global
        .offset:         32
        .size:           8
        .value_kind:     global_buffer
      - .actual_access:  read_only
        .address_space:  global
        .offset:         40
        .size:           8
        .value_kind:     global_buffer
      - .address_space:  global
        .offset:         48
        .size:           8
        .value_kind:     global_buffer
      - .offset:         56
        .size:           4
        .value_kind:     by_value
      - .offset:         60
        .size:           4
        .value_kind:     by_value
    .group_segment_fixed_size: 65536
    .kernarg_segment_align: 8
    .kernarg_segment_size: 64
    .language:       OpenCL C
    .language_version:
      - 2
      - 0
    .max_flat_workgroup_size: 1024
    .name:           _Z12wvSplitK_hf_I14__hip_bfloat16Li64ELi3ELi16ELi8ELi2ELi2EEviiiiiiPKT_S3_S3_PS1_ii
    .private_segment_fixed_size: 0
    .sgpr_count:     49
    .sgpr_spill_count: 0
    .symbol:         _Z12wvSplitK_hf_I14__hip_bfloat16Li64ELi3ELi16ELi8ELi2ELi2EEviiiiiiPKT_S3_S3_PS1_ii.kd
    .uniform_work_group_size: 1
    .uses_dynamic_stack: false
    .vgpr_count:     87
    .vgpr_spill_count: 0
    .wavefront_size: 64
  - .agpr_count:     0
    .args:
      - .offset:         0
        .size:           4
        .value_kind:     by_value
      - .offset:         4
        .size:           4
        .value_kind:     by_value
      - .offset:         8
        .size:           4
        .value_kind:     by_value
      - .offset:         12
        .size:           4
        .value_kind:     by_value
      - .offset:         16
        .size:           4
        .value_kind:     by_value
      - .offset:         20
        .size:           4
        .value_kind:     by_value
      - .address_space:  global
        .offset:         24
        .size:           8
        .value_kind:     global_buffer
      - .actual_access:  read_only
        .address_space:  global
        .offset:         32
        .size:           8
        .value_kind:     global_buffer
      - .actual_access:  read_only
        .address_space:  global
        .offset:         40
        .size:           8
        .value_kind:     global_buffer
      - .address_space:  global
        .offset:         48
        .size:           8
        .value_kind:     global_buffer
      - .offset:         56
        .size:           4
        .value_kind:     by_value
      - .offset:         60
        .size:           4
        .value_kind:     by_value
    .group_segment_fixed_size: 65536
    .kernarg_segment_align: 8
    .kernarg_segment_size: 64
    .language:       OpenCL C
    .language_version:
      - 2
      - 0
    .max_flat_workgroup_size: 1024
    .name:           _Z16wvSplitK_hf_big_I14__hip_bfloat16Li64ELi3ELi16ELi8ELi2ELi2EEviiiiiiPKT_S3_S3_PS1_ii
    .private_segment_fixed_size: 0
    .sgpr_count:     58
    .sgpr_spill_count: 0
    .symbol:         _Z16wvSplitK_hf_big_I14__hip_bfloat16Li64ELi3ELi16ELi8ELi2ELi2EEviiiiiiPKT_S3_S3_PS1_ii.kd
    .uniform_work_group_size: 1
    .uses_dynamic_stack: false
    .vgpr_count:     83
    .vgpr_spill_count: 0
    .wavefront_size: 64
  - .agpr_count:     0
    .args:
      - .offset:         0
        .size:           4
        .value_kind:     by_value
      - .offset:         4
        .size:           4
        .value_kind:     by_value
      - .offset:         8
        .size:           4
        .value_kind:     by_value
      - .offset:         12
        .size:           4
        .value_kind:     by_value
      - .offset:         16
        .size:           4
        .value_kind:     by_value
      - .offset:         20
        .size:           4
        .value_kind:     by_value
      - .address_space:  global
        .offset:         24
        .size:           8
        .value_kind:     global_buffer
      - .actual_access:  read_only
        .address_space:  global
        .offset:         32
        .size:           8
        .value_kind:     global_buffer
      - .actual_access:  read_only
        .address_space:  global
        .offset:         40
        .size:           8
        .value_kind:     global_buffer
      - .address_space:  global
        .offset:         48
        .size:           8
        .value_kind:     global_buffer
      - .offset:         56
        .size:           4
        .value_kind:     by_value
      - .offset:         60
        .size:           4
        .value_kind:     by_value
    .group_segment_fixed_size: 65536
    .kernarg_segment_align: 8
    .kernarg_segment_size: 64
    .language:       OpenCL C
    .language_version:
      - 2
      - 0
    .max_flat_workgroup_size: 1024
    .name:           _Z16wvSplitK_hf_sml_I14__hip_bfloat16Li64ELi4ELi16ELi8ELi1ELi2EEviiiiiiPKT_S3_S3_PS1_ii
    .private_segment_fixed_size: 0
    .sgpr_count:     35
    .sgpr_spill_count: 0
    .symbol:         _Z16wvSplitK_hf_sml_I14__hip_bfloat16Li64ELi4ELi16ELi8ELi1ELi2EEviiiiiiPKT_S3_S3_PS1_ii.kd
    .uniform_work_group_size: 1
    .uses_dynamic_stack: false
    .vgpr_count:     71
    .vgpr_spill_count: 0
    .wavefront_size: 64
  - .agpr_count:     0
    .args:
      - .offset:         0
        .size:           4
        .value_kind:     by_value
      - .offset:         4
        .size:           4
        .value_kind:     by_value
      - .offset:         8
        .size:           4
        .value_kind:     by_value
      - .offset:         12
        .size:           4
        .value_kind:     by_value
      - .offset:         16
        .size:           4
        .value_kind:     by_value
      - .offset:         20
        .size:           4
        .value_kind:     by_value
      - .address_space:  global
        .offset:         24
        .size:           8
        .value_kind:     global_buffer
      - .actual_access:  read_only
        .address_space:  global
        .offset:         32
        .size:           8
        .value_kind:     global_buffer
      - .actual_access:  read_only
        .address_space:  global
        .offset:         40
        .size:           8
        .value_kind:     global_buffer
      - .address_space:  global
        .offset:         48
        .size:           8
        .value_kind:     global_buffer
      - .offset:         56
        .size:           4
        .value_kind:     by_value
      - .offset:         60
        .size:           4
        .value_kind:     by_value
    .group_segment_fixed_size: 65536
    .kernarg_segment_align: 8
    .kernarg_segment_size: 64
    .language:       OpenCL C
    .language_version:
      - 2
      - 0
    .max_flat_workgroup_size: 1024
    .name:           _Z12wvSplitK_hf_I14__hip_bfloat16Li64ELi4ELi16ELi8ELi1ELi2EEviiiiiiPKT_S3_S3_PS1_ii
    .private_segment_fixed_size: 0
    .sgpr_count:     49
    .sgpr_spill_count: 0
    .symbol:         _Z12wvSplitK_hf_I14__hip_bfloat16Li64ELi4ELi16ELi8ELi1ELi2EEviiiiiiPKT_S3_S3_PS1_ii.kd
    .uniform_work_group_size: 1
    .uses_dynamic_stack: false
    .vgpr_count:     84
    .vgpr_spill_count: 0
    .wavefront_size: 64
  - .agpr_count:     0
    .args:
      - .offset:         0
        .size:           4
        .value_kind:     by_value
      - .offset:         4
        .size:           4
        .value_kind:     by_value
      - .offset:         8
        .size:           4
        .value_kind:     by_value
      - .offset:         12
        .size:           4
        .value_kind:     by_value
      - .offset:         16
        .size:           4
        .value_kind:     by_value
      - .offset:         20
        .size:           4
        .value_kind:     by_value
      - .address_space:  global
        .offset:         24
        .size:           8
        .value_kind:     global_buffer
      - .actual_access:  read_only
        .address_space:  global
        .offset:         32
        .size:           8
        .value_kind:     global_buffer
      - .actual_access:  read_only
        .address_space:  global
        .offset:         40
        .size:           8
        .value_kind:     global_buffer
      - .address_space:  global
        .offset:         48
        .size:           8
        .value_kind:     global_buffer
      - .offset:         56
        .size:           4
        .value_kind:     by_value
      - .offset:         60
        .size:           4
        .value_kind:     by_value
    .group_segment_fixed_size: 65536
    .kernarg_segment_align: 8
    .kernarg_segment_size: 64
    .language:       OpenCL C
    .language_version:
      - 2
      - 0
    .max_flat_workgroup_size: 1024
    .name:           _Z16wvSplitK_hf_big_I14__hip_bfloat16Li64ELi4ELi16ELi8ELi1ELi2EEviiiiiiPKT_S3_S3_PS1_ii
    .private_segment_fixed_size: 0
    .sgpr_count:     60
    .sgpr_spill_count: 0
    .symbol:         _Z16wvSplitK_hf_big_I14__hip_bfloat16Li64ELi4ELi16ELi8ELi1ELi2EEviiiiiiPKT_S3_S3_PS1_ii.kd
    .uniform_work_group_size: 1
    .uses_dynamic_stack: false
    .vgpr_count:     77
    .vgpr_spill_count: 0
    .wavefront_size: 64
  - .agpr_count:     0
    .args:
      - .offset:         0
        .size:           4
        .value_kind:     by_value
      - .offset:         4
        .size:           4
        .value_kind:     by_value
      - .offset:         8
        .size:           4
        .value_kind:     by_value
      - .offset:         12
        .size:           4
        .value_kind:     by_value
      - .offset:         16
        .size:           4
        .value_kind:     by_value
      - .offset:         20
        .size:           4
        .value_kind:     by_value
      - .address_space:  global
        .offset:         24
        .size:           8
        .value_kind:     global_buffer
      - .actual_access:  read_only
        .address_space:  global
        .offset:         32
        .size:           8
        .value_kind:     global_buffer
      - .actual_access:  read_only
        .address_space:  global
        .offset:         40
        .size:           8
        .value_kind:     global_buffer
      - .address_space:  global
        .offset:         48
        .size:           8
        .value_kind:     global_buffer
      - .offset:         56
        .size:           4
        .value_kind:     by_value
      - .offset:         60
        .size:           4
        .value_kind:     by_value
    .group_segment_fixed_size: 65536
    .kernarg_segment_align: 8
    .kernarg_segment_size: 64
    .language:       OpenCL C
    .language_version:
      - 2
      - 0
    .max_flat_workgroup_size: 1024
    .name:           _Z16wvSplitK_hf_sml_I14__hip_bfloat16Li64ELi4ELi16ELi8ELi2ELi2EEviiiiiiPKT_S3_S3_PS1_ii
    .private_segment_fixed_size: 0
    .sgpr_count:     36
    .sgpr_spill_count: 0
    .symbol:         _Z16wvSplitK_hf_sml_I14__hip_bfloat16Li64ELi4ELi16ELi8ELi2ELi2EEviiiiiiPKT_S3_S3_PS1_ii.kd
    .uniform_work_group_size: 1
    .uses_dynamic_stack: false
    .vgpr_count:     96
    .vgpr_spill_count: 0
    .wavefront_size: 64
  - .agpr_count:     0
    .args:
      - .offset:         0
        .size:           4
        .value_kind:     by_value
      - .offset:         4
        .size:           4
        .value_kind:     by_value
      - .offset:         8
        .size:           4
        .value_kind:     by_value
      - .offset:         12
        .size:           4
        .value_kind:     by_value
      - .offset:         16
        .size:           4
        .value_kind:     by_value
      - .offset:         20
        .size:           4
        .value_kind:     by_value
      - .address_space:  global
        .offset:         24
        .size:           8
        .value_kind:     global_buffer
      - .actual_access:  read_only
        .address_space:  global
        .offset:         32
        .size:           8
        .value_kind:     global_buffer
      - .actual_access:  read_only
        .address_space:  global
        .offset:         40
        .size:           8
        .value_kind:     global_buffer
      - .address_space:  global
        .offset:         48
        .size:           8
        .value_kind:     global_buffer
      - .offset:         56
        .size:           4
        .value_kind:     by_value
      - .offset:         60
        .size:           4
        .value_kind:     by_value
    .group_segment_fixed_size: 65536
    .kernarg_segment_align: 8
    .kernarg_segment_size: 64
    .language:       OpenCL C
    .language_version:
      - 2
      - 0
    .max_flat_workgroup_size: 1024
    .name:           _Z12wvSplitK_hf_I14__hip_bfloat16Li64ELi4ELi16ELi8ELi2ELi2EEviiiiiiPKT_S3_S3_PS1_ii
    .private_segment_fixed_size: 0
    .sgpr_count:     51
    .sgpr_spill_count: 0
    .symbol:         _Z12wvSplitK_hf_I14__hip_bfloat16Li64ELi4ELi16ELi8ELi2ELi2EEviiiiiiPKT_S3_S3_PS1_ii.kd
    .uniform_work_group_size: 1
    .uses_dynamic_stack: false
    .vgpr_count:     108
    .vgpr_spill_count: 0
    .wavefront_size: 64
  - .agpr_count:     0
    .args:
      - .offset:         0
        .size:           4
        .value_kind:     by_value
      - .offset:         4
        .size:           4
        .value_kind:     by_value
      - .offset:         8
        .size:           4
        .value_kind:     by_value
      - .offset:         12
        .size:           4
        .value_kind:     by_value
      - .offset:         16
        .size:           4
        .value_kind:     by_value
      - .offset:         20
        .size:           4
        .value_kind:     by_value
      - .address_space:  global
        .offset:         24
        .size:           8
        .value_kind:     global_buffer
      - .actual_access:  read_only
        .address_space:  global
        .offset:         32
        .size:           8
        .value_kind:     global_buffer
      - .actual_access:  read_only
        .address_space:  global
        .offset:         40
        .size:           8
        .value_kind:     global_buffer
      - .address_space:  global
        .offset:         48
        .size:           8
        .value_kind:     global_buffer
      - .offset:         56
        .size:           4
        .value_kind:     by_value
      - .offset:         60
        .size:           4
        .value_kind:     by_value
    .group_segment_fixed_size: 65536
    .kernarg_segment_align: 8
    .kernarg_segment_size: 64
    .language:       OpenCL C
    .language_version:
      - 2
      - 0
    .max_flat_workgroup_size: 1024
    .name:           _Z16wvSplitK_hf_big_I14__hip_bfloat16Li64ELi4ELi16ELi8ELi2ELi2EEviiiiiiPKT_S3_S3_PS1_ii
    .private_segment_fixed_size: 0
    .sgpr_count:     60
    .sgpr_spill_count: 0
    .symbol:         _Z16wvSplitK_hf_big_I14__hip_bfloat16Li64ELi4ELi16ELi8ELi2ELi2EEviiiiiiPKT_S3_S3_PS1_ii.kd
    .uniform_work_group_size: 1
    .uses_dynamic_stack: false
    .vgpr_count:     102
    .vgpr_spill_count: 0
    .wavefront_size: 64
  - .agpr_count:     0
    .args:
      - .offset:         0
        .size:           4
        .value_kind:     by_value
      - .offset:         4
        .size:           4
        .value_kind:     by_value
      - .offset:         8
        .size:           4
        .value_kind:     by_value
      - .offset:         12
        .size:           4
        .value_kind:     by_value
      - .offset:         16
        .size:           4
        .value_kind:     by_value
      - .offset:         20
        .size:           4
        .value_kind:     by_value
      - .address_space:  global
        .offset:         24
        .size:           8
        .value_kind:     global_buffer
      - .actual_access:  read_only
        .address_space:  global
        .offset:         32
        .size:           8
        .value_kind:     global_buffer
      - .actual_access:  read_only
        .address_space:  global
        .offset:         40
        .size:           8
        .value_kind:     global_buffer
      - .address_space:  global
        .offset:         48
        .size:           8
        .value_kind:     global_buffer
      - .offset:         56
        .size:           4
        .value_kind:     by_value
      - .offset:         60
        .size:           4
        .value_kind:     by_value
    .group_segment_fixed_size: 65536
    .kernarg_segment_align: 8
    .kernarg_segment_size: 64
    .language:       OpenCL C
    .language_version:
      - 2
      - 0
    .max_flat_workgroup_size: 512
    .name:           _Z16wvSplitK_hf_sml_I14__hip_bfloat16Li32ELi1ELi16ELi8ELi4ELi3EEviiiiiiPKT_S3_S3_PS1_ii
    .private_segment_fixed_size: 0
    .sgpr_count:     43
    .sgpr_spill_count: 0
    .symbol:         _Z16wvSplitK_hf_sml_I14__hip_bfloat16Li32ELi1ELi16ELi8ELi4ELi3EEviiiiiiPKT_S3_S3_PS1_ii.kd
    .uniform_work_group_size: 1
    .uses_dynamic_stack: false
    .vgpr_count:     89
    .vgpr_spill_count: 0
    .wavefront_size: 64
  - .agpr_count:     0
    .args:
      - .offset:         0
        .size:           4
        .value_kind:     by_value
      - .offset:         4
        .size:           4
        .value_kind:     by_value
      - .offset:         8
        .size:           4
        .value_kind:     by_value
      - .offset:         12
        .size:           4
        .value_kind:     by_value
      - .offset:         16
        .size:           4
        .value_kind:     by_value
      - .offset:         20
        .size:           4
        .value_kind:     by_value
      - .address_space:  global
        .offset:         24
        .size:           8
        .value_kind:     global_buffer
      - .actual_access:  read_only
        .address_space:  global
        .offset:         32
        .size:           8
        .value_kind:     global_buffer
      - .actual_access:  read_only
        .address_space:  global
        .offset:         40
        .size:           8
        .value_kind:     global_buffer
      - .address_space:  global
        .offset:         48
        .size:           8
        .value_kind:     global_buffer
      - .offset:         56
        .size:           4
        .value_kind:     by_value
      - .offset:         60
        .size:           4
        .value_kind:     by_value
    .group_segment_fixed_size: 65536
    .kernarg_segment_align: 8
    .kernarg_segment_size: 64
    .language:       OpenCL C
    .language_version:
      - 2
      - 0
    .max_flat_workgroup_size: 512
    .name:           _Z12wvSplitK_hf_I14__hip_bfloat16Li32ELi1ELi16ELi8ELi4ELi3EEviiiiiiPKT_S3_S3_PS1_ii
    .private_segment_fixed_size: 0
    .sgpr_count:     52
    .sgpr_spill_count: 0
    .symbol:         _Z12wvSplitK_hf_I14__hip_bfloat16Li32ELi1ELi16ELi8ELi4ELi3EEviiiiiiPKT_S3_S3_PS1_ii.kd
    .uniform_work_group_size: 1
    .uses_dynamic_stack: false
    .vgpr_count:     96
    .vgpr_spill_count: 0
    .wavefront_size: 64
  - .agpr_count:     0
    .args:
      - .offset:         0
        .size:           4
        .value_kind:     by_value
      - .offset:         4
        .size:           4
        .value_kind:     by_value
      - .offset:         8
        .size:           4
        .value_kind:     by_value
      - .offset:         12
        .size:           4
        .value_kind:     by_value
      - .offset:         16
        .size:           4
        .value_kind:     by_value
      - .offset:         20
        .size:           4
        .value_kind:     by_value
      - .address_space:  global
        .offset:         24
        .size:           8
        .value_kind:     global_buffer
      - .actual_access:  read_only
        .address_space:  global
        .offset:         32
        .size:           8
        .value_kind:     global_buffer
      - .actual_access:  read_only
        .address_space:  global
        .offset:         40
        .size:           8
        .value_kind:     global_buffer
      - .address_space:  global
        .offset:         48
        .size:           8
        .value_kind:     global_buffer
      - .offset:         56
        .size:           4
        .value_kind:     by_value
      - .offset:         60
        .size:           4
        .value_kind:     by_value
    .group_segment_fixed_size: 65536
    .kernarg_segment_align: 8
    .kernarg_segment_size: 64
    .language:       OpenCL C
    .language_version:
      - 2
      - 0
    .max_flat_workgroup_size: 512
    .name:           _Z16wvSplitK_hf_big_I14__hip_bfloat16Li32ELi1ELi16ELi8ELi4ELi3EEviiiiiiPKT_S3_S3_PS1_ii
    .private_segment_fixed_size: 0
    .sgpr_count:     58
    .sgpr_spill_count: 0
    .symbol:         _Z16wvSplitK_hf_big_I14__hip_bfloat16Li32ELi1ELi16ELi8ELi4ELi3EEviiiiiiPKT_S3_S3_PS1_ii.kd
    .uniform_work_group_size: 1
    .uses_dynamic_stack: false
    .vgpr_count:     93
    .vgpr_spill_count: 0
    .wavefront_size: 64
  - .agpr_count:     0
    .args:
      - .offset:         0
        .size:           4
        .value_kind:     by_value
      - .offset:         4
        .size:           4
        .value_kind:     by_value
      - .offset:         8
        .size:           4
        .value_kind:     by_value
      - .offset:         12
        .size:           4
        .value_kind:     by_value
      - .offset:         16
        .size:           4
        .value_kind:     by_value
      - .offset:         20
        .size:           4
        .value_kind:     by_value
      - .address_space:  global
        .offset:         24
        .size:           8
        .value_kind:     global_buffer
      - .actual_access:  read_only
        .address_space:  global
        .offset:         32
        .size:           8
        .value_kind:     global_buffer
      - .actual_access:  read_only
        .address_space:  global
        .offset:         40
        .size:           8
        .value_kind:     global_buffer
      - .address_space:  global
        .offset:         48
        .size:           8
        .value_kind:     global_buffer
      - .offset:         56
        .size:           4
        .value_kind:     by_value
      - .offset:         60
        .size:           4
        .value_kind:     by_value
    .group_segment_fixed_size: 65536
    .kernarg_segment_align: 8
    .kernarg_segment_size: 64
    .language:       OpenCL C
    .language_version:
      - 2
      - 0
    .max_flat_workgroup_size: 512
    .name:           _Z16wvSplitK_hf_sml_I14__hip_bfloat16Li32ELi2ELi16ELi8ELi2ELi3EEviiiiiiPKT_S3_S3_PS1_ii
    .private_segment_fixed_size: 0
    .sgpr_count:     38
    .sgpr_spill_count: 0
    .symbol:         _Z16wvSplitK_hf_sml_I14__hip_bfloat16Li32ELi2ELi16ELi8ELi2ELi3EEviiiiiiPKT_S3_S3_PS1_ii.kd
    .uniform_work_group_size: 1
    .uses_dynamic_stack: false
    .vgpr_count:     77
    .vgpr_spill_count: 0
    .wavefront_size: 64
  - .agpr_count:     0
    .args:
      - .offset:         0
        .size:           4
        .value_kind:     by_value
      - .offset:         4
        .size:           4
        .value_kind:     by_value
      - .offset:         8
        .size:           4
        .value_kind:     by_value
      - .offset:         12
        .size:           4
        .value_kind:     by_value
      - .offset:         16
        .size:           4
        .value_kind:     by_value
      - .offset:         20
        .size:           4
        .value_kind:     by_value
      - .address_space:  global
        .offset:         24
        .size:           8
        .value_kind:     global_buffer
      - .actual_access:  read_only
        .address_space:  global
        .offset:         32
        .size:           8
        .value_kind:     global_buffer
      - .actual_access:  read_only
        .address_space:  global
        .offset:         40
        .size:           8
        .value_kind:     global_buffer
      - .address_space:  global
        .offset:         48
        .size:           8
        .value_kind:     global_buffer
      - .offset:         56
        .size:           4
        .value_kind:     by_value
      - .offset:         60
        .size:           4
        .value_kind:     by_value
    .group_segment_fixed_size: 65536
    .kernarg_segment_align: 8
    .kernarg_segment_size: 64
    .language:       OpenCL C
    .language_version:
      - 2
      - 0
    .max_flat_workgroup_size: 512
    .name:           _Z12wvSplitK_hf_I14__hip_bfloat16Li32ELi2ELi16ELi8ELi2ELi3EEviiiiiiPKT_S3_S3_PS1_ii
    .private_segment_fixed_size: 0
    .sgpr_count:     49
    .sgpr_spill_count: 0
    .symbol:         _Z12wvSplitK_hf_I14__hip_bfloat16Li32ELi2ELi16ELi8ELi2ELi3EEviiiiiiPKT_S3_S3_PS1_ii.kd
    .uniform_work_group_size: 1
    .uses_dynamic_stack: false
    .vgpr_count:     85
    .vgpr_spill_count: 0
    .wavefront_size: 64
  - .agpr_count:     0
    .args:
      - .offset:         0
        .size:           4
        .value_kind:     by_value
      - .offset:         4
        .size:           4
        .value_kind:     by_value
      - .offset:         8
        .size:           4
        .value_kind:     by_value
      - .offset:         12
        .size:           4
        .value_kind:     by_value
      - .offset:         16
        .size:           4
        .value_kind:     by_value
      - .offset:         20
        .size:           4
        .value_kind:     by_value
      - .address_space:  global
        .offset:         24
        .size:           8
        .value_kind:     global_buffer
      - .actual_access:  read_only
        .address_space:  global
        .offset:         32
        .size:           8
        .value_kind:     global_buffer
      - .actual_access:  read_only
        .address_space:  global
        .offset:         40
        .size:           8
        .value_kind:     global_buffer
      - .address_space:  global
        .offset:         48
        .size:           8
        .value_kind:     global_buffer
      - .offset:         56
        .size:           4
        .value_kind:     by_value
      - .offset:         60
        .size:           4
        .value_kind:     by_value
    .group_segment_fixed_size: 65536
    .kernarg_segment_align: 8
    .kernarg_segment_size: 64
    .language:       OpenCL C
    .language_version:
      - 2
      - 0
    .max_flat_workgroup_size: 512
    .name:           _Z16wvSplitK_hf_big_I14__hip_bfloat16Li32ELi2ELi16ELi8ELi2ELi3EEviiiiiiPKT_S3_S3_PS1_ii
    .private_segment_fixed_size: 0
    .sgpr_count:     60
    .sgpr_spill_count: 0
    .symbol:         _Z16wvSplitK_hf_big_I14__hip_bfloat16Li32ELi2ELi16ELi8ELi2ELi3EEviiiiiiPKT_S3_S3_PS1_ii.kd
    .uniform_work_group_size: 1
    .uses_dynamic_stack: false
    .vgpr_count:     82
    .vgpr_spill_count: 0
    .wavefront_size: 64
  - .agpr_count:     0
    .args:
      - .offset:         0
        .size:           4
        .value_kind:     by_value
      - .offset:         4
        .size:           4
        .value_kind:     by_value
      - .offset:         8
        .size:           4
        .value_kind:     by_value
      - .offset:         12
        .size:           4
        .value_kind:     by_value
      - .offset:         16
        .size:           4
        .value_kind:     by_value
      - .offset:         20
        .size:           4
        .value_kind:     by_value
      - .address_space:  global
        .offset:         24
        .size:           8
        .value_kind:     global_buffer
      - .actual_access:  read_only
        .address_space:  global
        .offset:         32
        .size:           8
        .value_kind:     global_buffer
      - .actual_access:  read_only
        .address_space:  global
        .offset:         40
        .size:           8
        .value_kind:     global_buffer
      - .address_space:  global
        .offset:         48
        .size:           8
        .value_kind:     global_buffer
      - .offset:         56
        .size:           4
        .value_kind:     by_value
      - .offset:         60
        .size:           4
        .value_kind:     by_value
    .group_segment_fixed_size: 65536
    .kernarg_segment_align: 8
    .kernarg_segment_size: 64
    .language:       OpenCL C
    .language_version:
      - 2
      - 0
    .max_flat_workgroup_size: 512
    .name:           _Z16wvSplitK_hf_sml_I14__hip_bfloat16Li32ELi3ELi16ELi8ELi2ELi3EEviiiiiiPKT_S3_S3_PS1_ii
    .private_segment_fixed_size: 0
    .sgpr_count:     38
    .sgpr_spill_count: 0
    .symbol:         _Z16wvSplitK_hf_sml_I14__hip_bfloat16Li32ELi3ELi16ELi8ELi2ELi3EEviiiiiiPKT_S3_S3_PS1_ii.kd
    .uniform_work_group_size: 1
    .uses_dynamic_stack: false
    .vgpr_count:     100
    .vgpr_spill_count: 0
    .wavefront_size: 64
  - .agpr_count:     0
    .args:
      - .offset:         0
        .size:           4
        .value_kind:     by_value
      - .offset:         4
        .size:           4
        .value_kind:     by_value
      - .offset:         8
        .size:           4
        .value_kind:     by_value
      - .offset:         12
        .size:           4
        .value_kind:     by_value
      - .offset:         16
        .size:           4
        .value_kind:     by_value
      - .offset:         20
        .size:           4
        .value_kind:     by_value
      - .address_space:  global
        .offset:         24
        .size:           8
        .value_kind:     global_buffer
      - .actual_access:  read_only
        .address_space:  global
        .offset:         32
        .size:           8
        .value_kind:     global_buffer
      - .actual_access:  read_only
        .address_space:  global
        .offset:         40
        .size:           8
        .value_kind:     global_buffer
      - .address_space:  global
        .offset:         48
        .size:           8
        .value_kind:     global_buffer
      - .offset:         56
        .size:           4
        .value_kind:     by_value
      - .offset:         60
        .size:           4
        .value_kind:     by_value
    .group_segment_fixed_size: 65536
    .kernarg_segment_align: 8
    .kernarg_segment_size: 64
    .language:       OpenCL C
    .language_version:
      - 2
      - 0
    .max_flat_workgroup_size: 512
    .name:           _Z12wvSplitK_hf_I14__hip_bfloat16Li32ELi3ELi16ELi8ELi2ELi3EEviiiiiiPKT_S3_S3_PS1_ii
    .private_segment_fixed_size: 0
    .sgpr_count:     51
    .sgpr_spill_count: 0
    .symbol:         _Z12wvSplitK_hf_I14__hip_bfloat16Li32ELi3ELi16ELi8ELi2ELi3EEviiiiiiPKT_S3_S3_PS1_ii.kd
    .uniform_work_group_size: 1
    .uses_dynamic_stack: false
    .vgpr_count:     110
    .vgpr_spill_count: 0
    .wavefront_size: 64
  - .agpr_count:     0
    .args:
      - .offset:         0
        .size:           4
        .value_kind:     by_value
      - .offset:         4
        .size:           4
        .value_kind:     by_value
      - .offset:         8
        .size:           4
        .value_kind:     by_value
      - .offset:         12
        .size:           4
        .value_kind:     by_value
      - .offset:         16
        .size:           4
        .value_kind:     by_value
      - .offset:         20
        .size:           4
        .value_kind:     by_value
      - .address_space:  global
        .offset:         24
        .size:           8
        .value_kind:     global_buffer
      - .actual_access:  read_only
        .address_space:  global
        .offset:         32
        .size:           8
        .value_kind:     global_buffer
      - .actual_access:  read_only
        .address_space:  global
        .offset:         40
        .size:           8
        .value_kind:     global_buffer
      - .address_space:  global
        .offset:         48
        .size:           8
        .value_kind:     global_buffer
      - .offset:         56
        .size:           4
        .value_kind:     by_value
      - .offset:         60
        .size:           4
        .value_kind:     by_value
    .group_segment_fixed_size: 65536
    .kernarg_segment_align: 8
    .kernarg_segment_size: 64
    .language:       OpenCL C
    .language_version:
      - 2
      - 0
    .max_flat_workgroup_size: 512
    .name:           _Z16wvSplitK_hf_big_I14__hip_bfloat16Li32ELi3ELi16ELi8ELi2ELi3EEviiiiiiPKT_S3_S3_PS1_ii
    .private_segment_fixed_size: 0
    .sgpr_count:     60
    .sgpr_spill_count: 0
    .symbol:         _Z16wvSplitK_hf_big_I14__hip_bfloat16Li32ELi3ELi16ELi8ELi2ELi3EEviiiiiiPKT_S3_S3_PS1_ii.kd
    .uniform_work_group_size: 1
    .uses_dynamic_stack: false
    .vgpr_count:     105
    .vgpr_spill_count: 0
    .wavefront_size: 64
  - .agpr_count:     0
    .args:
      - .offset:         0
        .size:           4
        .value_kind:     by_value
      - .offset:         4
        .size:           4
        .value_kind:     by_value
      - .offset:         8
        .size:           4
        .value_kind:     by_value
      - .offset:         12
        .size:           4
        .value_kind:     by_value
      - .offset:         16
        .size:           4
        .value_kind:     by_value
      - .offset:         20
        .size:           4
        .value_kind:     by_value
      - .address_space:  global
        .offset:         24
        .size:           8
        .value_kind:     global_buffer
      - .actual_access:  read_only
        .address_space:  global
        .offset:         32
        .size:           8
        .value_kind:     global_buffer
      - .actual_access:  read_only
        .address_space:  global
        .offset:         40
        .size:           8
        .value_kind:     global_buffer
      - .address_space:  global
        .offset:         48
        .size:           8
        .value_kind:     global_buffer
      - .offset:         56
        .size:           4
        .value_kind:     by_value
      - .offset:         60
        .size:           4
        .value_kind:     by_value
    .group_segment_fixed_size: 65536
    .kernarg_segment_align: 8
    .kernarg_segment_size: 64
    .language:       OpenCL C
    .language_version:
      - 2
      - 0
    .max_flat_workgroup_size: 512
    .name:           _Z16wvSplitK_hf_sml_I14__hip_bfloat16Li32ELi4ELi16ELi8ELi1ELi3EEviiiiiiPKT_S3_S3_PS1_ii
    .private_segment_fixed_size: 0
    .sgpr_count:     37
    .sgpr_spill_count: 0
    .symbol:         _Z16wvSplitK_hf_sml_I14__hip_bfloat16Li32ELi4ELi16ELi8ELi1ELi3EEviiiiiiPKT_S3_S3_PS1_ii.kd
    .uniform_work_group_size: 1
    .uses_dynamic_stack: false
    .vgpr_count:     91
    .vgpr_spill_count: 0
    .wavefront_size: 64
  - .agpr_count:     0
    .args:
      - .offset:         0
        .size:           4
        .value_kind:     by_value
      - .offset:         4
        .size:           4
        .value_kind:     by_value
      - .offset:         8
        .size:           4
        .value_kind:     by_value
      - .offset:         12
        .size:           4
        .value_kind:     by_value
      - .offset:         16
        .size:           4
        .value_kind:     by_value
      - .offset:         20
        .size:           4
        .value_kind:     by_value
      - .address_space:  global
        .offset:         24
        .size:           8
        .value_kind:     global_buffer
      - .actual_access:  read_only
        .address_space:  global
        .offset:         32
        .size:           8
        .value_kind:     global_buffer
      - .actual_access:  read_only
        .address_space:  global
        .offset:         40
        .size:           8
        .value_kind:     global_buffer
      - .address_space:  global
        .offset:         48
        .size:           8
        .value_kind:     global_buffer
      - .offset:         56
        .size:           4
        .value_kind:     by_value
      - .offset:         60
        .size:           4
        .value_kind:     by_value
    .group_segment_fixed_size: 65536
    .kernarg_segment_align: 8
    .kernarg_segment_size: 64
    .language:       OpenCL C
    .language_version:
      - 2
      - 0
    .max_flat_workgroup_size: 512
    .name:           _Z12wvSplitK_hf_I14__hip_bfloat16Li32ELi4ELi16ELi8ELi1ELi3EEviiiiiiPKT_S3_S3_PS1_ii
    .private_segment_fixed_size: 0
    .sgpr_count:     51
    .sgpr_spill_count: 0
    .symbol:         _Z12wvSplitK_hf_I14__hip_bfloat16Li32ELi4ELi16ELi8ELi1ELi3EEviiiiiiPKT_S3_S3_PS1_ii.kd
    .uniform_work_group_size: 1
    .uses_dynamic_stack: false
    .vgpr_count:     105
    .vgpr_spill_count: 0
    .wavefront_size: 64
  - .agpr_count:     0
    .args:
      - .offset:         0
        .size:           4
        .value_kind:     by_value
      - .offset:         4
        .size:           4
        .value_kind:     by_value
      - .offset:         8
        .size:           4
        .value_kind:     by_value
      - .offset:         12
        .size:           4
        .value_kind:     by_value
      - .offset:         16
        .size:           4
        .value_kind:     by_value
      - .offset:         20
        .size:           4
        .value_kind:     by_value
      - .address_space:  global
        .offset:         24
        .size:           8
        .value_kind:     global_buffer
      - .actual_access:  read_only
        .address_space:  global
        .offset:         32
        .size:           8
        .value_kind:     global_buffer
      - .actual_access:  read_only
        .address_space:  global
        .offset:         40
        .size:           8
        .value_kind:     global_buffer
      - .address_space:  global
        .offset:         48
        .size:           8
        .value_kind:     global_buffer
      - .offset:         56
        .size:           4
        .value_kind:     by_value
      - .offset:         60
        .size:           4
        .value_kind:     by_value
    .group_segment_fixed_size: 65536
    .kernarg_segment_align: 8
    .kernarg_segment_size: 64
    .language:       OpenCL C
    .language_version:
      - 2
      - 0
    .max_flat_workgroup_size: 512
    .name:           _Z16wvSplitK_hf_big_I14__hip_bfloat16Li32ELi4ELi16ELi8ELi1ELi3EEviiiiiiPKT_S3_S3_PS1_ii
    .private_segment_fixed_size: 0
    .sgpr_count:     62
    .sgpr_spill_count: 0
    .symbol:         _Z16wvSplitK_hf_big_I14__hip_bfloat16Li32ELi4ELi16ELi8ELi1ELi3EEviiiiiiPKT_S3_S3_PS1_ii.kd
    .uniform_work_group_size: 1
    .uses_dynamic_stack: false
    .vgpr_count:     98
    .vgpr_spill_count: 0
    .wavefront_size: 64
  - .agpr_count:     0
    .args:
      - .offset:         0
        .size:           4
        .value_kind:     by_value
      - .offset:         4
        .size:           4
        .value_kind:     by_value
      - .offset:         8
        .size:           4
        .value_kind:     by_value
      - .offset:         12
        .size:           4
        .value_kind:     by_value
      - .offset:         16
        .size:           4
        .value_kind:     by_value
      - .offset:         20
        .size:           4
        .value_kind:     by_value
      - .address_space:  global
        .offset:         24
        .size:           8
        .value_kind:     global_buffer
      - .actual_access:  read_only
        .address_space:  global
        .offset:         32
        .size:           8
        .value_kind:     global_buffer
      - .actual_access:  read_only
        .address_space:  global
        .offset:         40
        .size:           8
        .value_kind:     global_buffer
      - .address_space:  global
        .offset:         48
        .size:           8
        .value_kind:     global_buffer
      - .offset:         56
        .size:           4
        .value_kind:     by_value
      - .offset:         60
        .size:           4
        .value_kind:     by_value
    .group_segment_fixed_size: 65536
    .kernarg_segment_align: 8
    .kernarg_segment_size: 64
    .language:       OpenCL C
    .language_version:
      - 2
      - 0
    .max_flat_workgroup_size: 512
    .name:           _Z16wvSplitK_hf_sml_I14__hip_bfloat16Li32ELi4ELi16ELi8ELi2ELi3EEviiiiiiPKT_S3_S3_PS1_ii
    .private_segment_fixed_size: 0
    .sgpr_count:     38
    .sgpr_spill_count: 0
    .symbol:         _Z16wvSplitK_hf_sml_I14__hip_bfloat16Li32ELi4ELi16ELi8ELi2ELi3EEviiiiiiPKT_S3_S3_PS1_ii.kd
    .uniform_work_group_size: 1
    .uses_dynamic_stack: false
    .vgpr_count:     121
    .vgpr_spill_count: 0
    .wavefront_size: 64
  - .agpr_count:     0
    .args:
      - .offset:         0
        .size:           4
        .value_kind:     by_value
      - .offset:         4
        .size:           4
        .value_kind:     by_value
      - .offset:         8
        .size:           4
        .value_kind:     by_value
      - .offset:         12
        .size:           4
        .value_kind:     by_value
      - .offset:         16
        .size:           4
        .value_kind:     by_value
      - .offset:         20
        .size:           4
        .value_kind:     by_value
      - .address_space:  global
        .offset:         24
        .size:           8
        .value_kind:     global_buffer
      - .actual_access:  read_only
        .address_space:  global
        .offset:         32
        .size:           8
        .value_kind:     global_buffer
      - .actual_access:  read_only
        .address_space:  global
        .offset:         40
        .size:           8
        .value_kind:     global_buffer
      - .address_space:  global
        .offset:         48
        .size:           8
        .value_kind:     global_buffer
      - .offset:         56
        .size:           4
        .value_kind:     by_value
      - .offset:         60
        .size:           4
        .value_kind:     by_value
    .group_segment_fixed_size: 65536
    .kernarg_segment_align: 8
    .kernarg_segment_size: 64
    .language:       OpenCL C
    .language_version:
      - 2
      - 0
    .max_flat_workgroup_size: 512
    .name:           _Z12wvSplitK_hf_I14__hip_bfloat16Li32ELi4ELi16ELi8ELi2ELi3EEviiiiiiPKT_S3_S3_PS1_ii
    .private_segment_fixed_size: 0
    .sgpr_count:     53
    .sgpr_spill_count: 0
    .symbol:         _Z12wvSplitK_hf_I14__hip_bfloat16Li32ELi4ELi16ELi8ELi2ELi3EEviiiiiiPKT_S3_S3_PS1_ii.kd
    .uniform_work_group_size: 1
    .uses_dynamic_stack: false
    .vgpr_count:     135
    .vgpr_spill_count: 0
    .wavefront_size: 64
  - .agpr_count:     0
    .args:
      - .offset:         0
        .size:           4
        .value_kind:     by_value
      - .offset:         4
        .size:           4
        .value_kind:     by_value
      - .offset:         8
        .size:           4
        .value_kind:     by_value
      - .offset:         12
        .size:           4
        .value_kind:     by_value
      - .offset:         16
        .size:           4
        .value_kind:     by_value
      - .offset:         20
        .size:           4
        .value_kind:     by_value
      - .address_space:  global
        .offset:         24
        .size:           8
        .value_kind:     global_buffer
      - .actual_access:  read_only
        .address_space:  global
        .offset:         32
        .size:           8
        .value_kind:     global_buffer
      - .actual_access:  read_only
        .address_space:  global
        .offset:         40
        .size:           8
        .value_kind:     global_buffer
      - .address_space:  global
        .offset:         48
        .size:           8
        .value_kind:     global_buffer
      - .offset:         56
        .size:           4
        .value_kind:     by_value
      - .offset:         60
        .size:           4
        .value_kind:     by_value
    .group_segment_fixed_size: 65536
    .kernarg_segment_align: 8
    .kernarg_segment_size: 64
    .language:       OpenCL C
    .language_version:
      - 2
      - 0
    .max_flat_workgroup_size: 512
    .name:           _Z16wvSplitK_hf_big_I14__hip_bfloat16Li32ELi4ELi16ELi8ELi2ELi3EEviiiiiiPKT_S3_S3_PS1_ii
    .private_segment_fixed_size: 0
    .sgpr_count:     62
    .sgpr_spill_count: 0
    .symbol:         _Z16wvSplitK_hf_big_I14__hip_bfloat16Li32ELi4ELi16ELi8ELi2ELi3EEviiiiiiPKT_S3_S3_PS1_ii.kd
    .uniform_work_group_size: 1
    .uses_dynamic_stack: false
    .vgpr_count:     128
    .vgpr_spill_count: 0
    .wavefront_size: 64
  - .agpr_count:     0
    .args:
      - .offset:         0
        .size:           4
        .value_kind:     by_value
      - .offset:         4
        .size:           4
        .value_kind:     by_value
      - .offset:         8
        .size:           4
        .value_kind:     by_value
      - .offset:         12
        .size:           4
        .value_kind:     by_value
      - .offset:         16
        .size:           4
        .value_kind:     by_value
      - .offset:         20
        .size:           4
        .value_kind:     by_value
      - .address_space:  global
        .offset:         24
        .size:           8
        .value_kind:     global_buffer
      - .actual_access:  read_only
        .address_space:  global
        .offset:         32
        .size:           8
        .value_kind:     global_buffer
      - .actual_access:  read_only
        .address_space:  global
        .offset:         40
        .size:           8
        .value_kind:     global_buffer
      - .address_space:  global
        .offset:         48
        .size:           8
        .value_kind:     global_buffer
      - .offset:         56
        .size:           4
        .value_kind:     by_value
      - .offset:         60
        .size:           4
        .value_kind:     by_value
    .group_segment_fixed_size: 65536
    .kernarg_segment_align: 8
    .kernarg_segment_size: 64
    .language:       OpenCL C
    .language_version:
      - 2
      - 0
    .max_flat_workgroup_size: 1024
    .name:           _Z16wvSplitK_hf_sml_I14__hip_bfloat16Li64ELi1ELi16ELi8ELi4ELi3EEviiiiiiPKT_S3_S3_PS1_ii
    .private_segment_fixed_size: 0
    .sgpr_count:     43
    .sgpr_spill_count: 0
    .symbol:         _Z16wvSplitK_hf_sml_I14__hip_bfloat16Li64ELi1ELi16ELi8ELi4ELi3EEviiiiiiPKT_S3_S3_PS1_ii.kd
    .uniform_work_group_size: 1
    .uses_dynamic_stack: false
    .vgpr_count:     89
    .vgpr_spill_count: 0
    .wavefront_size: 64
  - .agpr_count:     0
    .args:
      - .offset:         0
        .size:           4
        .value_kind:     by_value
      - .offset:         4
        .size:           4
        .value_kind:     by_value
      - .offset:         8
        .size:           4
        .value_kind:     by_value
      - .offset:         12
        .size:           4
        .value_kind:     by_value
      - .offset:         16
        .size:           4
        .value_kind:     by_value
      - .offset:         20
        .size:           4
        .value_kind:     by_value
      - .address_space:  global
        .offset:         24
        .size:           8
        .value_kind:     global_buffer
      - .actual_access:  read_only
        .address_space:  global
        .offset:         32
        .size:           8
        .value_kind:     global_buffer
      - .actual_access:  read_only
        .address_space:  global
        .offset:         40
        .size:           8
        .value_kind:     global_buffer
      - .address_space:  global
        .offset:         48
        .size:           8
        .value_kind:     global_buffer
      - .offset:         56
        .size:           4
        .value_kind:     by_value
      - .offset:         60
        .size:           4
        .value_kind:     by_value
    .group_segment_fixed_size: 65536
    .kernarg_segment_align: 8
    .kernarg_segment_size: 64
    .language:       OpenCL C
    .language_version:
      - 2
      - 0
    .max_flat_workgroup_size: 1024
    .name:           _Z12wvSplitK_hf_I14__hip_bfloat16Li64ELi1ELi16ELi8ELi4ELi3EEviiiiiiPKT_S3_S3_PS1_ii
    .private_segment_fixed_size: 0
    .sgpr_count:     52
    .sgpr_spill_count: 0
    .symbol:         _Z12wvSplitK_hf_I14__hip_bfloat16Li64ELi1ELi16ELi8ELi4ELi3EEviiiiiiPKT_S3_S3_PS1_ii.kd
    .uniform_work_group_size: 1
    .uses_dynamic_stack: false
    .vgpr_count:     96
    .vgpr_spill_count: 0
    .wavefront_size: 64
  - .agpr_count:     0
    .args:
      - .offset:         0
        .size:           4
        .value_kind:     by_value
      - .offset:         4
        .size:           4
        .value_kind:     by_value
      - .offset:         8
        .size:           4
        .value_kind:     by_value
      - .offset:         12
        .size:           4
        .value_kind:     by_value
      - .offset:         16
        .size:           4
        .value_kind:     by_value
      - .offset:         20
        .size:           4
        .value_kind:     by_value
      - .address_space:  global
        .offset:         24
        .size:           8
        .value_kind:     global_buffer
      - .actual_access:  read_only
        .address_space:  global
        .offset:         32
        .size:           8
        .value_kind:     global_buffer
      - .actual_access:  read_only
        .address_space:  global
        .offset:         40
        .size:           8
        .value_kind:     global_buffer
      - .address_space:  global
        .offset:         48
        .size:           8
        .value_kind:     global_buffer
      - .offset:         56
        .size:           4
        .value_kind:     by_value
      - .offset:         60
        .size:           4
        .value_kind:     by_value
    .group_segment_fixed_size: 65536
    .kernarg_segment_align: 8
    .kernarg_segment_size: 64
    .language:       OpenCL C
    .language_version:
      - 2
      - 0
    .max_flat_workgroup_size: 1024
    .name:           _Z16wvSplitK_hf_big_I14__hip_bfloat16Li64ELi1ELi16ELi8ELi4ELi3EEviiiiiiPKT_S3_S3_PS1_ii
    .private_segment_fixed_size: 0
    .sgpr_count:     58
    .sgpr_spill_count: 0
    .symbol:         _Z16wvSplitK_hf_big_I14__hip_bfloat16Li64ELi1ELi16ELi8ELi4ELi3EEviiiiiiPKT_S3_S3_PS1_ii.kd
    .uniform_work_group_size: 1
    .uses_dynamic_stack: false
    .vgpr_count:     93
    .vgpr_spill_count: 0
    .wavefront_size: 64
  - .agpr_count:     0
    .args:
      - .offset:         0
        .size:           4
        .value_kind:     by_value
      - .offset:         4
        .size:           4
        .value_kind:     by_value
      - .offset:         8
        .size:           4
        .value_kind:     by_value
      - .offset:         12
        .size:           4
        .value_kind:     by_value
      - .offset:         16
        .size:           4
        .value_kind:     by_value
      - .offset:         20
        .size:           4
        .value_kind:     by_value
      - .address_space:  global
        .offset:         24
        .size:           8
        .value_kind:     global_buffer
      - .actual_access:  read_only
        .address_space:  global
        .offset:         32
        .size:           8
        .value_kind:     global_buffer
      - .actual_access:  read_only
        .address_space:  global
        .offset:         40
        .size:           8
        .value_kind:     global_buffer
      - .address_space:  global
        .offset:         48
        .size:           8
        .value_kind:     global_buffer
      - .offset:         56
        .size:           4
        .value_kind:     by_value
      - .offset:         60
        .size:           4
        .value_kind:     by_value
    .group_segment_fixed_size: 65536
    .kernarg_segment_align: 8
    .kernarg_segment_size: 64
    .language:       OpenCL C
    .language_version:
      - 2
      - 0
    .max_flat_workgroup_size: 1024
    .name:           _Z16wvSplitK_hf_sml_I14__hip_bfloat16Li64ELi2ELi16ELi8ELi2ELi3EEviiiiiiPKT_S3_S3_PS1_ii
    .private_segment_fixed_size: 0
    .sgpr_count:     38
    .sgpr_spill_count: 0
    .symbol:         _Z16wvSplitK_hf_sml_I14__hip_bfloat16Li64ELi2ELi16ELi8ELi2ELi3EEviiiiiiPKT_S3_S3_PS1_ii.kd
    .uniform_work_group_size: 1
    .uses_dynamic_stack: false
    .vgpr_count:     77
    .vgpr_spill_count: 0
    .wavefront_size: 64
  - .agpr_count:     0
    .args:
      - .offset:         0
        .size:           4
        .value_kind:     by_value
      - .offset:         4
        .size:           4
        .value_kind:     by_value
      - .offset:         8
        .size:           4
        .value_kind:     by_value
      - .offset:         12
        .size:           4
        .value_kind:     by_value
      - .offset:         16
        .size:           4
        .value_kind:     by_value
      - .offset:         20
        .size:           4
        .value_kind:     by_value
      - .address_space:  global
        .offset:         24
        .size:           8
        .value_kind:     global_buffer
      - .actual_access:  read_only
        .address_space:  global
        .offset:         32
        .size:           8
        .value_kind:     global_buffer
      - .actual_access:  read_only
        .address_space:  global
        .offset:         40
        .size:           8
        .value_kind:     global_buffer
      - .address_space:  global
        .offset:         48
        .size:           8
        .value_kind:     global_buffer
      - .offset:         56
        .size:           4
        .value_kind:     by_value
      - .offset:         60
        .size:           4
        .value_kind:     by_value
    .group_segment_fixed_size: 65536
    .kernarg_segment_align: 8
    .kernarg_segment_size: 64
    .language:       OpenCL C
    .language_version:
      - 2
      - 0
    .max_flat_workgroup_size: 1024
    .name:           _Z12wvSplitK_hf_I14__hip_bfloat16Li64ELi2ELi16ELi8ELi2ELi3EEviiiiiiPKT_S3_S3_PS1_ii
    .private_segment_fixed_size: 0
    .sgpr_count:     49
    .sgpr_spill_count: 0
    .symbol:         _Z12wvSplitK_hf_I14__hip_bfloat16Li64ELi2ELi16ELi8ELi2ELi3EEviiiiiiPKT_S3_S3_PS1_ii.kd
    .uniform_work_group_size: 1
    .uses_dynamic_stack: false
    .vgpr_count:     85
    .vgpr_spill_count: 0
    .wavefront_size: 64
  - .agpr_count:     0
    .args:
      - .offset:         0
        .size:           4
        .value_kind:     by_value
      - .offset:         4
        .size:           4
        .value_kind:     by_value
      - .offset:         8
        .size:           4
        .value_kind:     by_value
      - .offset:         12
        .size:           4
        .value_kind:     by_value
      - .offset:         16
        .size:           4
        .value_kind:     by_value
      - .offset:         20
        .size:           4
        .value_kind:     by_value
      - .address_space:  global
        .offset:         24
        .size:           8
        .value_kind:     global_buffer
      - .actual_access:  read_only
        .address_space:  global
        .offset:         32
        .size:           8
        .value_kind:     global_buffer
      - .actual_access:  read_only
        .address_space:  global
        .offset:         40
        .size:           8
        .value_kind:     global_buffer
      - .address_space:  global
        .offset:         48
        .size:           8
        .value_kind:     global_buffer
      - .offset:         56
        .size:           4
        .value_kind:     by_value
      - .offset:         60
        .size:           4
        .value_kind:     by_value
    .group_segment_fixed_size: 65536
    .kernarg_segment_align: 8
    .kernarg_segment_size: 64
    .language:       OpenCL C
    .language_version:
      - 2
      - 0
    .max_flat_workgroup_size: 1024
    .name:           _Z16wvSplitK_hf_big_I14__hip_bfloat16Li64ELi2ELi16ELi8ELi2ELi3EEviiiiiiPKT_S3_S3_PS1_ii
    .private_segment_fixed_size: 0
    .sgpr_count:     60
    .sgpr_spill_count: 0
    .symbol:         _Z16wvSplitK_hf_big_I14__hip_bfloat16Li64ELi2ELi16ELi8ELi2ELi3EEviiiiiiPKT_S3_S3_PS1_ii.kd
    .uniform_work_group_size: 1
    .uses_dynamic_stack: false
    .vgpr_count:     82
    .vgpr_spill_count: 0
    .wavefront_size: 64
  - .agpr_count:     0
    .args:
      - .offset:         0
        .size:           4
        .value_kind:     by_value
      - .offset:         4
        .size:           4
        .value_kind:     by_value
      - .offset:         8
        .size:           4
        .value_kind:     by_value
      - .offset:         12
        .size:           4
        .value_kind:     by_value
      - .offset:         16
        .size:           4
        .value_kind:     by_value
      - .offset:         20
        .size:           4
        .value_kind:     by_value
      - .address_space:  global
        .offset:         24
        .size:           8
        .value_kind:     global_buffer
      - .actual_access:  read_only
        .address_space:  global
        .offset:         32
        .size:           8
        .value_kind:     global_buffer
      - .actual_access:  read_only
        .address_space:  global
        .offset:         40
        .size:           8
        .value_kind:     global_buffer
      - .address_space:  global
        .offset:         48
        .size:           8
        .value_kind:     global_buffer
      - .offset:         56
        .size:           4
        .value_kind:     by_value
      - .offset:         60
        .size:           4
        .value_kind:     by_value
    .group_segment_fixed_size: 65536
    .kernarg_segment_align: 8
    .kernarg_segment_size: 64
    .language:       OpenCL C
    .language_version:
      - 2
      - 0
    .max_flat_workgroup_size: 1024
    .name:           _Z16wvSplitK_hf_sml_I14__hip_bfloat16Li64ELi3ELi16ELi8ELi2ELi3EEviiiiiiPKT_S3_S3_PS1_ii
    .private_segment_fixed_size: 0
    .sgpr_count:     38
    .sgpr_spill_count: 0
    .symbol:         _Z16wvSplitK_hf_sml_I14__hip_bfloat16Li64ELi3ELi16ELi8ELi2ELi3EEviiiiiiPKT_S3_S3_PS1_ii.kd
    .uniform_work_group_size: 1
    .uses_dynamic_stack: false
    .vgpr_count:     100
    .vgpr_spill_count: 0
    .wavefront_size: 64
  - .agpr_count:     0
    .args:
      - .offset:         0
        .size:           4
        .value_kind:     by_value
      - .offset:         4
        .size:           4
        .value_kind:     by_value
      - .offset:         8
        .size:           4
        .value_kind:     by_value
      - .offset:         12
        .size:           4
        .value_kind:     by_value
      - .offset:         16
        .size:           4
        .value_kind:     by_value
      - .offset:         20
        .size:           4
        .value_kind:     by_value
      - .address_space:  global
        .offset:         24
        .size:           8
        .value_kind:     global_buffer
      - .actual_access:  read_only
        .address_space:  global
        .offset:         32
        .size:           8
        .value_kind:     global_buffer
      - .actual_access:  read_only
        .address_space:  global
        .offset:         40
        .size:           8
        .value_kind:     global_buffer
      - .address_space:  global
        .offset:         48
        .size:           8
        .value_kind:     global_buffer
      - .offset:         56
        .size:           4
        .value_kind:     by_value
      - .offset:         60
        .size:           4
        .value_kind:     by_value
    .group_segment_fixed_size: 65536
    .kernarg_segment_align: 8
    .kernarg_segment_size: 64
    .language:       OpenCL C
    .language_version:
      - 2
      - 0
    .max_flat_workgroup_size: 1024
    .name:           _Z12wvSplitK_hf_I14__hip_bfloat16Li64ELi3ELi16ELi8ELi2ELi3EEviiiiiiPKT_S3_S3_PS1_ii
    .private_segment_fixed_size: 0
    .sgpr_count:     51
    .sgpr_spill_count: 0
    .symbol:         _Z12wvSplitK_hf_I14__hip_bfloat16Li64ELi3ELi16ELi8ELi2ELi3EEviiiiiiPKT_S3_S3_PS1_ii.kd
    .uniform_work_group_size: 1
    .uses_dynamic_stack: false
    .vgpr_count:     110
    .vgpr_spill_count: 0
    .wavefront_size: 64
  - .agpr_count:     0
    .args:
      - .offset:         0
        .size:           4
        .value_kind:     by_value
      - .offset:         4
        .size:           4
        .value_kind:     by_value
      - .offset:         8
        .size:           4
        .value_kind:     by_value
      - .offset:         12
        .size:           4
        .value_kind:     by_value
      - .offset:         16
        .size:           4
        .value_kind:     by_value
      - .offset:         20
        .size:           4
        .value_kind:     by_value
      - .address_space:  global
        .offset:         24
        .size:           8
        .value_kind:     global_buffer
      - .actual_access:  read_only
        .address_space:  global
        .offset:         32
        .size:           8
        .value_kind:     global_buffer
      - .actual_access:  read_only
        .address_space:  global
        .offset:         40
        .size:           8
        .value_kind:     global_buffer
      - .address_space:  global
        .offset:         48
        .size:           8
        .value_kind:     global_buffer
      - .offset:         56
        .size:           4
        .value_kind:     by_value
      - .offset:         60
        .size:           4
        .value_kind:     by_value
    .group_segment_fixed_size: 65536
    .kernarg_segment_align: 8
    .kernarg_segment_size: 64
    .language:       OpenCL C
    .language_version:
      - 2
      - 0
    .max_flat_workgroup_size: 1024
    .name:           _Z16wvSplitK_hf_big_I14__hip_bfloat16Li64ELi3ELi16ELi8ELi2ELi3EEviiiiiiPKT_S3_S3_PS1_ii
    .private_segment_fixed_size: 0
    .sgpr_count:     60
    .sgpr_spill_count: 0
    .symbol:         _Z16wvSplitK_hf_big_I14__hip_bfloat16Li64ELi3ELi16ELi8ELi2ELi3EEviiiiiiPKT_S3_S3_PS1_ii.kd
    .uniform_work_group_size: 1
    .uses_dynamic_stack: false
    .vgpr_count:     105
    .vgpr_spill_count: 0
    .wavefront_size: 64
  - .agpr_count:     0
    .args:
      - .offset:         0
        .size:           4
        .value_kind:     by_value
      - .offset:         4
        .size:           4
        .value_kind:     by_value
      - .offset:         8
        .size:           4
        .value_kind:     by_value
      - .offset:         12
        .size:           4
        .value_kind:     by_value
      - .offset:         16
        .size:           4
        .value_kind:     by_value
      - .offset:         20
        .size:           4
        .value_kind:     by_value
      - .address_space:  global
        .offset:         24
        .size:           8
        .value_kind:     global_buffer
      - .actual_access:  read_only
        .address_space:  global
        .offset:         32
        .size:           8
        .value_kind:     global_buffer
      - .actual_access:  read_only
        .address_space:  global
        .offset:         40
        .size:           8
        .value_kind:     global_buffer
      - .address_space:  global
        .offset:         48
        .size:           8
        .value_kind:     global_buffer
      - .offset:         56
        .size:           4
        .value_kind:     by_value
      - .offset:         60
        .size:           4
        .value_kind:     by_value
    .group_segment_fixed_size: 65536
    .kernarg_segment_align: 8
    .kernarg_segment_size: 64
    .language:       OpenCL C
    .language_version:
      - 2
      - 0
    .max_flat_workgroup_size: 1024
    .name:           _Z16wvSplitK_hf_sml_I14__hip_bfloat16Li64ELi4ELi16ELi8ELi1ELi3EEviiiiiiPKT_S3_S3_PS1_ii
    .private_segment_fixed_size: 0
    .sgpr_count:     37
    .sgpr_spill_count: 0
    .symbol:         _Z16wvSplitK_hf_sml_I14__hip_bfloat16Li64ELi4ELi16ELi8ELi1ELi3EEviiiiiiPKT_S3_S3_PS1_ii.kd
    .uniform_work_group_size: 1
    .uses_dynamic_stack: false
    .vgpr_count:     91
    .vgpr_spill_count: 0
    .wavefront_size: 64
  - .agpr_count:     0
    .args:
      - .offset:         0
        .size:           4
        .value_kind:     by_value
      - .offset:         4
        .size:           4
        .value_kind:     by_value
      - .offset:         8
        .size:           4
        .value_kind:     by_value
      - .offset:         12
        .size:           4
        .value_kind:     by_value
      - .offset:         16
        .size:           4
        .value_kind:     by_value
      - .offset:         20
        .size:           4
        .value_kind:     by_value
      - .address_space:  global
        .offset:         24
        .size:           8
        .value_kind:     global_buffer
      - .actual_access:  read_only
        .address_space:  global
        .offset:         32
        .size:           8
        .value_kind:     global_buffer
      - .actual_access:  read_only
        .address_space:  global
        .offset:         40
        .size:           8
        .value_kind:     global_buffer
      - .address_space:  global
        .offset:         48
        .size:           8
        .value_kind:     global_buffer
      - .offset:         56
        .size:           4
        .value_kind:     by_value
      - .offset:         60
        .size:           4
        .value_kind:     by_value
    .group_segment_fixed_size: 65536
    .kernarg_segment_align: 8
    .kernarg_segment_size: 64
    .language:       OpenCL C
    .language_version:
      - 2
      - 0
    .max_flat_workgroup_size: 1024
    .name:           _Z12wvSplitK_hf_I14__hip_bfloat16Li64ELi4ELi16ELi8ELi1ELi3EEviiiiiiPKT_S3_S3_PS1_ii
    .private_segment_fixed_size: 0
    .sgpr_count:     51
    .sgpr_spill_count: 0
    .symbol:         _Z12wvSplitK_hf_I14__hip_bfloat16Li64ELi4ELi16ELi8ELi1ELi3EEviiiiiiPKT_S3_S3_PS1_ii.kd
    .uniform_work_group_size: 1
    .uses_dynamic_stack: false
    .vgpr_count:     105
    .vgpr_spill_count: 0
    .wavefront_size: 64
  - .agpr_count:     0
    .args:
      - .offset:         0
        .size:           4
        .value_kind:     by_value
      - .offset:         4
        .size:           4
        .value_kind:     by_value
      - .offset:         8
        .size:           4
        .value_kind:     by_value
      - .offset:         12
        .size:           4
        .value_kind:     by_value
      - .offset:         16
        .size:           4
        .value_kind:     by_value
      - .offset:         20
        .size:           4
        .value_kind:     by_value
      - .address_space:  global
        .offset:         24
        .size:           8
        .value_kind:     global_buffer
      - .actual_access:  read_only
        .address_space:  global
        .offset:         32
        .size:           8
        .value_kind:     global_buffer
      - .actual_access:  read_only
        .address_space:  global
        .offset:         40
        .size:           8
        .value_kind:     global_buffer
      - .address_space:  global
        .offset:         48
        .size:           8
        .value_kind:     global_buffer
      - .offset:         56
        .size:           4
        .value_kind:     by_value
      - .offset:         60
        .size:           4
        .value_kind:     by_value
    .group_segment_fixed_size: 65536
    .kernarg_segment_align: 8
    .kernarg_segment_size: 64
    .language:       OpenCL C
    .language_version:
      - 2
      - 0
    .max_flat_workgroup_size: 1024
    .name:           _Z16wvSplitK_hf_big_I14__hip_bfloat16Li64ELi4ELi16ELi8ELi1ELi3EEviiiiiiPKT_S3_S3_PS1_ii
    .private_segment_fixed_size: 0
    .sgpr_count:     62
    .sgpr_spill_count: 0
    .symbol:         _Z16wvSplitK_hf_big_I14__hip_bfloat16Li64ELi4ELi16ELi8ELi1ELi3EEviiiiiiPKT_S3_S3_PS1_ii.kd
    .uniform_work_group_size: 1
    .uses_dynamic_stack: false
    .vgpr_count:     98
    .vgpr_spill_count: 0
    .wavefront_size: 64
  - .agpr_count:     0
    .args:
      - .offset:         0
        .size:           4
        .value_kind:     by_value
      - .offset:         4
        .size:           4
        .value_kind:     by_value
      - .offset:         8
        .size:           4
        .value_kind:     by_value
      - .offset:         12
        .size:           4
        .value_kind:     by_value
      - .offset:         16
        .size:           4
        .value_kind:     by_value
      - .offset:         20
        .size:           4
        .value_kind:     by_value
      - .address_space:  global
        .offset:         24
        .size:           8
        .value_kind:     global_buffer
      - .actual_access:  read_only
        .address_space:  global
        .offset:         32
        .size:           8
        .value_kind:     global_buffer
      - .actual_access:  read_only
        .address_space:  global
        .offset:         40
        .size:           8
        .value_kind:     global_buffer
      - .address_space:  global
        .offset:         48
        .size:           8
        .value_kind:     global_buffer
      - .offset:         56
        .size:           4
        .value_kind:     by_value
      - .offset:         60
        .size:           4
        .value_kind:     by_value
    .group_segment_fixed_size: 65536
    .kernarg_segment_align: 8
    .kernarg_segment_size: 64
    .language:       OpenCL C
    .language_version:
      - 2
      - 0
    .max_flat_workgroup_size: 1024
    .name:           _Z16wvSplitK_hf_sml_I14__hip_bfloat16Li64ELi4ELi16ELi8ELi2ELi3EEviiiiiiPKT_S3_S3_PS1_ii
    .private_segment_fixed_size: 0
    .sgpr_count:     38
    .sgpr_spill_count: 0
    .symbol:         _Z16wvSplitK_hf_sml_I14__hip_bfloat16Li64ELi4ELi16ELi8ELi2ELi3EEviiiiiiPKT_S3_S3_PS1_ii.kd
    .uniform_work_group_size: 1
    .uses_dynamic_stack: false
    .vgpr_count:     121
    .vgpr_spill_count: 0
    .wavefront_size: 64
  - .agpr_count:     0
    .args:
      - .offset:         0
        .size:           4
        .value_kind:     by_value
      - .offset:         4
        .size:           4
        .value_kind:     by_value
      - .offset:         8
        .size:           4
        .value_kind:     by_value
      - .offset:         12
        .size:           4
        .value_kind:     by_value
      - .offset:         16
        .size:           4
        .value_kind:     by_value
      - .offset:         20
        .size:           4
        .value_kind:     by_value
      - .address_space:  global
        .offset:         24
        .size:           8
        .value_kind:     global_buffer
      - .actual_access:  read_only
        .address_space:  global
        .offset:         32
        .size:           8
        .value_kind:     global_buffer
      - .actual_access:  read_only
        .address_space:  global
        .offset:         40
        .size:           8
        .value_kind:     global_buffer
      - .address_space:  global
        .offset:         48
        .size:           8
        .value_kind:     global_buffer
      - .offset:         56
        .size:           4
        .value_kind:     by_value
      - .offset:         60
        .size:           4
        .value_kind:     by_value
    .group_segment_fixed_size: 65536
    .kernarg_segment_align: 8
    .kernarg_segment_size: 64
    .language:       OpenCL C
    .language_version:
      - 2
      - 0
    .max_flat_workgroup_size: 1024
    .name:           _Z12wvSplitK_hf_I14__hip_bfloat16Li64ELi4ELi16ELi8ELi2ELi3EEviiiiiiPKT_S3_S3_PS1_ii
    .private_segment_fixed_size: 8
    .sgpr_count:     53
    .sgpr_spill_count: 0
    .symbol:         _Z12wvSplitK_hf_I14__hip_bfloat16Li64ELi4ELi16ELi8ELi2ELi3EEviiiiiiPKT_S3_S3_PS1_ii.kd
    .uniform_work_group_size: 1
    .uses_dynamic_stack: false
    .vgpr_count:     128
    .vgpr_spill_count: 1
    .wavefront_size: 64
  - .agpr_count:     0
    .args:
      - .offset:         0
        .size:           4
        .value_kind:     by_value
      - .offset:         4
        .size:           4
        .value_kind:     by_value
      - .offset:         8
        .size:           4
        .value_kind:     by_value
      - .offset:         12
        .size:           4
        .value_kind:     by_value
      - .offset:         16
        .size:           4
        .value_kind:     by_value
      - .offset:         20
        .size:           4
        .value_kind:     by_value
      - .address_space:  global
        .offset:         24
        .size:           8
        .value_kind:     global_buffer
      - .actual_access:  read_only
        .address_space:  global
        .offset:         32
        .size:           8
        .value_kind:     global_buffer
      - .actual_access:  read_only
        .address_space:  global
        .offset:         40
        .size:           8
        .value_kind:     global_buffer
      - .address_space:  global
        .offset:         48
        .size:           8
        .value_kind:     global_buffer
      - .offset:         56
        .size:           4
        .value_kind:     by_value
      - .offset:         60
        .size:           4
        .value_kind:     by_value
    .group_segment_fixed_size: 65536
    .kernarg_segment_align: 8
    .kernarg_segment_size: 64
    .language:       OpenCL C
    .language_version:
      - 2
      - 0
    .max_flat_workgroup_size: 1024
    .name:           _Z16wvSplitK_hf_big_I14__hip_bfloat16Li64ELi4ELi16ELi8ELi2ELi3EEviiiiiiPKT_S3_S3_PS1_ii
    .private_segment_fixed_size: 0
    .sgpr_count:     62
    .sgpr_spill_count: 0
    .symbol:         _Z16wvSplitK_hf_big_I14__hip_bfloat16Li64ELi4ELi16ELi8ELi2ELi3EEviiiiiiPKT_S3_S3_PS1_ii.kd
    .uniform_work_group_size: 1
    .uses_dynamic_stack: false
    .vgpr_count:     128
    .vgpr_spill_count: 0
    .wavefront_size: 64
  - .agpr_count:     0
    .args:
      - .offset:         0
        .size:           4
        .value_kind:     by_value
      - .offset:         4
        .size:           4
        .value_kind:     by_value
      - .offset:         8
        .size:           4
        .value_kind:     by_value
      - .offset:         12
        .size:           4
        .value_kind:     by_value
      - .offset:         16
        .size:           4
        .value_kind:     by_value
      - .offset:         20
        .size:           4
        .value_kind:     by_value
      - .address_space:  global
        .offset:         24
        .size:           8
        .value_kind:     global_buffer
      - .actual_access:  read_only
        .address_space:  global
        .offset:         32
        .size:           8
        .value_kind:     global_buffer
      - .actual_access:  read_only
        .address_space:  global
        .offset:         40
        .size:           8
        .value_kind:     global_buffer
      - .address_space:  global
        .offset:         48
        .size:           8
        .value_kind:     global_buffer
      - .offset:         56
        .size:           4
        .value_kind:     by_value
      - .offset:         60
        .size:           4
        .value_kind:     by_value
    .group_segment_fixed_size: 65536
    .kernarg_segment_align: 8
    .kernarg_segment_size: 64
    .language:       OpenCL C
    .language_version:
      - 2
      - 0
    .max_flat_workgroup_size: 512
    .name:           _Z16wvSplitK_hf_sml_I14__hip_bfloat16Li32ELi1ELi16ELi8ELi4ELi4EEviiiiiiPKT_S3_S3_PS1_ii
    .private_segment_fixed_size: 0
    .sgpr_count:     45
    .sgpr_spill_count: 0
    .symbol:         _Z16wvSplitK_hf_sml_I14__hip_bfloat16Li32ELi1ELi16ELi8ELi4ELi4EEviiiiiiPKT_S3_S3_PS1_ii.kd
    .uniform_work_group_size: 1
    .uses_dynamic_stack: false
    .vgpr_count:     110
    .vgpr_spill_count: 0
    .wavefront_size: 64
  - .agpr_count:     0
    .args:
      - .offset:         0
        .size:           4
        .value_kind:     by_value
      - .offset:         4
        .size:           4
        .value_kind:     by_value
      - .offset:         8
        .size:           4
        .value_kind:     by_value
      - .offset:         12
        .size:           4
        .value_kind:     by_value
      - .offset:         16
        .size:           4
        .value_kind:     by_value
      - .offset:         20
        .size:           4
        .value_kind:     by_value
      - .address_space:  global
        .offset:         24
        .size:           8
        .value_kind:     global_buffer
      - .actual_access:  read_only
        .address_space:  global
        .offset:         32
        .size:           8
        .value_kind:     global_buffer
      - .actual_access:  read_only
        .address_space:  global
        .offset:         40
        .size:           8
        .value_kind:     global_buffer
      - .address_space:  global
        .offset:         48
        .size:           8
        .value_kind:     global_buffer
      - .offset:         56
        .size:           4
        .value_kind:     by_value
      - .offset:         60
        .size:           4
        .value_kind:     by_value
    .group_segment_fixed_size: 65536
    .kernarg_segment_align: 8
    .kernarg_segment_size: 64
    .language:       OpenCL C
    .language_version:
      - 2
      - 0
    .max_flat_workgroup_size: 512
    .name:           _Z12wvSplitK_hf_I14__hip_bfloat16Li32ELi1ELi16ELi8ELi4ELi4EEviiiiiiPKT_S3_S3_PS1_ii
    .private_segment_fixed_size: 0
    .sgpr_count:     54
    .sgpr_spill_count: 0
    .symbol:         _Z12wvSplitK_hf_I14__hip_bfloat16Li32ELi1ELi16ELi8ELi4ELi4EEviiiiiiPKT_S3_S3_PS1_ii.kd
    .uniform_work_group_size: 1
    .uses_dynamic_stack: false
    .vgpr_count:     119
    .vgpr_spill_count: 0
    .wavefront_size: 64
  - .agpr_count:     0
    .args:
      - .offset:         0
        .size:           4
        .value_kind:     by_value
      - .offset:         4
        .size:           4
        .value_kind:     by_value
      - .offset:         8
        .size:           4
        .value_kind:     by_value
      - .offset:         12
        .size:           4
        .value_kind:     by_value
      - .offset:         16
        .size:           4
        .value_kind:     by_value
      - .offset:         20
        .size:           4
        .value_kind:     by_value
      - .address_space:  global
        .offset:         24
        .size:           8
        .value_kind:     global_buffer
      - .actual_access:  read_only
        .address_space:  global
        .offset:         32
        .size:           8
        .value_kind:     global_buffer
      - .actual_access:  read_only
        .address_space:  global
        .offset:         40
        .size:           8
        .value_kind:     global_buffer
      - .address_space:  global
        .offset:         48
        .size:           8
        .value_kind:     global_buffer
      - .offset:         56
        .size:           4
        .value_kind:     by_value
      - .offset:         60
        .size:           4
        .value_kind:     by_value
    .group_segment_fixed_size: 65536
    .kernarg_segment_align: 8
    .kernarg_segment_size: 64
    .language:       OpenCL C
    .language_version:
      - 2
      - 0
    .max_flat_workgroup_size: 512
    .name:           _Z16wvSplitK_hf_big_I14__hip_bfloat16Li32ELi1ELi16ELi8ELi4ELi4EEviiiiiiPKT_S3_S3_PS1_ii
    .private_segment_fixed_size: 0
    .sgpr_count:     60
    .sgpr_spill_count: 0
    .symbol:         _Z16wvSplitK_hf_big_I14__hip_bfloat16Li32ELi1ELi16ELi8ELi4ELi4EEviiiiiiPKT_S3_S3_PS1_ii.kd
    .uniform_work_group_size: 1
    .uses_dynamic_stack: false
    .vgpr_count:     115
    .vgpr_spill_count: 0
    .wavefront_size: 64
  - .agpr_count:     0
    .args:
      - .offset:         0
        .size:           4
        .value_kind:     by_value
      - .offset:         4
        .size:           4
        .value_kind:     by_value
      - .offset:         8
        .size:           4
        .value_kind:     by_value
      - .offset:         12
        .size:           4
        .value_kind:     by_value
      - .offset:         16
        .size:           4
        .value_kind:     by_value
      - .offset:         20
        .size:           4
        .value_kind:     by_value
      - .address_space:  global
        .offset:         24
        .size:           8
        .value_kind:     global_buffer
      - .actual_access:  read_only
        .address_space:  global
        .offset:         32
        .size:           8
        .value_kind:     global_buffer
      - .actual_access:  read_only
        .address_space:  global
        .offset:         40
        .size:           8
        .value_kind:     global_buffer
      - .address_space:  global
        .offset:         48
        .size:           8
        .value_kind:     global_buffer
      - .offset:         56
        .size:           4
        .value_kind:     by_value
      - .offset:         60
        .size:           4
        .value_kind:     by_value
    .group_segment_fixed_size: 65536
    .kernarg_segment_align: 8
    .kernarg_segment_size: 64
    .language:       OpenCL C
    .language_version:
      - 2
      - 0
    .max_flat_workgroup_size: 512
    .name:           _Z16wvSplitK_hf_sml_I14__hip_bfloat16Li32ELi2ELi16ELi8ELi2ELi4EEviiiiiiPKT_S3_S3_PS1_ii
    .private_segment_fixed_size: 0
    .sgpr_count:     41
    .sgpr_spill_count: 0
    .symbol:         _Z16wvSplitK_hf_sml_I14__hip_bfloat16Li32ELi2ELi16ELi8ELi2ELi4EEviiiiiiPKT_S3_S3_PS1_ii.kd
    .uniform_work_group_size: 1
    .uses_dynamic_stack: false
    .vgpr_count:     94
    .vgpr_spill_count: 0
    .wavefront_size: 64
  - .agpr_count:     0
    .args:
      - .offset:         0
        .size:           4
        .value_kind:     by_value
      - .offset:         4
        .size:           4
        .value_kind:     by_value
      - .offset:         8
        .size:           4
        .value_kind:     by_value
      - .offset:         12
        .size:           4
        .value_kind:     by_value
      - .offset:         16
        .size:           4
        .value_kind:     by_value
      - .offset:         20
        .size:           4
        .value_kind:     by_value
      - .address_space:  global
        .offset:         24
        .size:           8
        .value_kind:     global_buffer
      - .actual_access:  read_only
        .address_space:  global
        .offset:         32
        .size:           8
        .value_kind:     global_buffer
      - .actual_access:  read_only
        .address_space:  global
        .offset:         40
        .size:           8
        .value_kind:     global_buffer
      - .address_space:  global
        .offset:         48
        .size:           8
        .value_kind:     global_buffer
      - .offset:         56
        .size:           4
        .value_kind:     by_value
      - .offset:         60
        .size:           4
        .value_kind:     by_value
    .group_segment_fixed_size: 65536
    .kernarg_segment_align: 8
    .kernarg_segment_size: 64
    .language:       OpenCL C
    .language_version:
      - 2
      - 0
    .max_flat_workgroup_size: 512
    .name:           _Z12wvSplitK_hf_I14__hip_bfloat16Li32ELi2ELi16ELi8ELi2ELi4EEviiiiiiPKT_S3_S3_PS1_ii
    .private_segment_fixed_size: 0
    .sgpr_count:     51
    .sgpr_spill_count: 0
    .symbol:         _Z12wvSplitK_hf_I14__hip_bfloat16Li32ELi2ELi16ELi8ELi2ELi4EEviiiiiiPKT_S3_S3_PS1_ii.kd
    .uniform_work_group_size: 1
    .uses_dynamic_stack: false
    .vgpr_count:     104
    .vgpr_spill_count: 0
    .wavefront_size: 64
  - .agpr_count:     0
    .args:
      - .offset:         0
        .size:           4
        .value_kind:     by_value
      - .offset:         4
        .size:           4
        .value_kind:     by_value
      - .offset:         8
        .size:           4
        .value_kind:     by_value
      - .offset:         12
        .size:           4
        .value_kind:     by_value
      - .offset:         16
        .size:           4
        .value_kind:     by_value
      - .offset:         20
        .size:           4
        .value_kind:     by_value
      - .address_space:  global
        .offset:         24
        .size:           8
        .value_kind:     global_buffer
      - .actual_access:  read_only
        .address_space:  global
        .offset:         32
        .size:           8
        .value_kind:     global_buffer
      - .actual_access:  read_only
        .address_space:  global
        .offset:         40
        .size:           8
        .value_kind:     global_buffer
      - .address_space:  global
        .offset:         48
        .size:           8
        .value_kind:     global_buffer
      - .offset:         56
        .size:           4
        .value_kind:     by_value
      - .offset:         60
        .size:           4
        .value_kind:     by_value
    .group_segment_fixed_size: 65536
    .kernarg_segment_align: 8
    .kernarg_segment_size: 64
    .language:       OpenCL C
    .language_version:
      - 2
      - 0
    .max_flat_workgroup_size: 512
    .name:           _Z16wvSplitK_hf_big_I14__hip_bfloat16Li32ELi2ELi16ELi8ELi2ELi4EEviiiiiiPKT_S3_S3_PS1_ii
    .private_segment_fixed_size: 0
    .sgpr_count:     62
    .sgpr_spill_count: 0
    .symbol:         _Z16wvSplitK_hf_big_I14__hip_bfloat16Li32ELi2ELi16ELi8ELi2ELi4EEviiiiiiPKT_S3_S3_PS1_ii.kd
    .uniform_work_group_size: 1
    .uses_dynamic_stack: false
    .vgpr_count:     100
    .vgpr_spill_count: 0
    .wavefront_size: 64
  - .agpr_count:     0
    .args:
      - .offset:         0
        .size:           4
        .value_kind:     by_value
      - .offset:         4
        .size:           4
        .value_kind:     by_value
      - .offset:         8
        .size:           4
        .value_kind:     by_value
      - .offset:         12
        .size:           4
        .value_kind:     by_value
      - .offset:         16
        .size:           4
        .value_kind:     by_value
      - .offset:         20
        .size:           4
        .value_kind:     by_value
      - .address_space:  global
        .offset:         24
        .size:           8
        .value_kind:     global_buffer
      - .actual_access:  read_only
        .address_space:  global
        .offset:         32
        .size:           8
        .value_kind:     global_buffer
      - .actual_access:  read_only
        .address_space:  global
        .offset:         40
        .size:           8
        .value_kind:     global_buffer
      - .address_space:  global
        .offset:         48
        .size:           8
        .value_kind:     global_buffer
      - .offset:         56
        .size:           4
        .value_kind:     by_value
      - .offset:         60
        .size:           4
        .value_kind:     by_value
    .group_segment_fixed_size: 65536
    .kernarg_segment_align: 8
    .kernarg_segment_size: 64
    .language:       OpenCL C
    .language_version:
      - 2
      - 0
    .max_flat_workgroup_size: 512
    .name:           _Z16wvSplitK_hf_sml_I14__hip_bfloat16Li32ELi3ELi16ELi8ELi2ELi4EEviiiiiiPKT_S3_S3_PS1_ii
    .private_segment_fixed_size: 0
    .sgpr_count:     41
    .sgpr_spill_count: 0
    .symbol:         _Z16wvSplitK_hf_sml_I14__hip_bfloat16Li32ELi3ELi16ELi8ELi2ELi4EEviiiiiiPKT_S3_S3_PS1_ii.kd
    .uniform_work_group_size: 1
    .uses_dynamic_stack: false
    .vgpr_count:     121
    .vgpr_spill_count: 0
    .wavefront_size: 64
  - .agpr_count:     0
    .args:
      - .offset:         0
        .size:           4
        .value_kind:     by_value
      - .offset:         4
        .size:           4
        .value_kind:     by_value
      - .offset:         8
        .size:           4
        .value_kind:     by_value
      - .offset:         12
        .size:           4
        .value_kind:     by_value
      - .offset:         16
        .size:           4
        .value_kind:     by_value
      - .offset:         20
        .size:           4
        .value_kind:     by_value
      - .address_space:  global
        .offset:         24
        .size:           8
        .value_kind:     global_buffer
      - .actual_access:  read_only
        .address_space:  global
        .offset:         32
        .size:           8
        .value_kind:     global_buffer
      - .actual_access:  read_only
        .address_space:  global
        .offset:         40
        .size:           8
        .value_kind:     global_buffer
      - .address_space:  global
        .offset:         48
        .size:           8
        .value_kind:     global_buffer
      - .offset:         56
        .size:           4
        .value_kind:     by_value
      - .offset:         60
        .size:           4
        .value_kind:     by_value
    .group_segment_fixed_size: 65536
    .kernarg_segment_align: 8
    .kernarg_segment_size: 64
    .language:       OpenCL C
    .language_version:
      - 2
      - 0
    .max_flat_workgroup_size: 512
    .name:           _Z12wvSplitK_hf_I14__hip_bfloat16Li32ELi3ELi16ELi8ELi2ELi4EEviiiiiiPKT_S3_S3_PS1_ii
    .private_segment_fixed_size: 0
    .sgpr_count:     53
    .sgpr_spill_count: 0
    .symbol:         _Z12wvSplitK_hf_I14__hip_bfloat16Li32ELi3ELi16ELi8ELi2ELi4EEviiiiiiPKT_S3_S3_PS1_ii.kd
    .uniform_work_group_size: 1
    .uses_dynamic_stack: false
    .vgpr_count:     133
    .vgpr_spill_count: 0
    .wavefront_size: 64
  - .agpr_count:     0
    .args:
      - .offset:         0
        .size:           4
        .value_kind:     by_value
      - .offset:         4
        .size:           4
        .value_kind:     by_value
      - .offset:         8
        .size:           4
        .value_kind:     by_value
      - .offset:         12
        .size:           4
        .value_kind:     by_value
      - .offset:         16
        .size:           4
        .value_kind:     by_value
      - .offset:         20
        .size:           4
        .value_kind:     by_value
      - .address_space:  global
        .offset:         24
        .size:           8
        .value_kind:     global_buffer
      - .actual_access:  read_only
        .address_space:  global
        .offset:         32
        .size:           8
        .value_kind:     global_buffer
      - .actual_access:  read_only
        .address_space:  global
        .offset:         40
        .size:           8
        .value_kind:     global_buffer
      - .address_space:  global
        .offset:         48
        .size:           8
        .value_kind:     global_buffer
      - .offset:         56
        .size:           4
        .value_kind:     by_value
      - .offset:         60
        .size:           4
        .value_kind:     by_value
    .group_segment_fixed_size: 65536
    .kernarg_segment_align: 8
    .kernarg_segment_size: 64
    .language:       OpenCL C
    .language_version:
      - 2
      - 0
    .max_flat_workgroup_size: 512
    .name:           _Z16wvSplitK_hf_big_I14__hip_bfloat16Li32ELi3ELi16ELi8ELi2ELi4EEviiiiiiPKT_S3_S3_PS1_ii
    .private_segment_fixed_size: 0
    .sgpr_count:     62
    .sgpr_spill_count: 0
    .symbol:         _Z16wvSplitK_hf_big_I14__hip_bfloat16Li32ELi3ELi16ELi8ELi2ELi4EEviiiiiiPKT_S3_S3_PS1_ii.kd
    .uniform_work_group_size: 1
    .uses_dynamic_stack: false
    .vgpr_count:     127
    .vgpr_spill_count: 0
    .wavefront_size: 64
  - .agpr_count:     0
    .args:
      - .offset:         0
        .size:           4
        .value_kind:     by_value
      - .offset:         4
        .size:           4
        .value_kind:     by_value
      - .offset:         8
        .size:           4
        .value_kind:     by_value
      - .offset:         12
        .size:           4
        .value_kind:     by_value
      - .offset:         16
        .size:           4
        .value_kind:     by_value
      - .offset:         20
        .size:           4
        .value_kind:     by_value
      - .address_space:  global
        .offset:         24
        .size:           8
        .value_kind:     global_buffer
      - .actual_access:  read_only
        .address_space:  global
        .offset:         32
        .size:           8
        .value_kind:     global_buffer
      - .actual_access:  read_only
        .address_space:  global
        .offset:         40
        .size:           8
        .value_kind:     global_buffer
      - .address_space:  global
        .offset:         48
        .size:           8
        .value_kind:     global_buffer
      - .offset:         56
        .size:           4
        .value_kind:     by_value
      - .offset:         60
        .size:           4
        .value_kind:     by_value
    .group_segment_fixed_size: 65536
    .kernarg_segment_align: 8
    .kernarg_segment_size: 64
    .language:       OpenCL C
    .language_version:
      - 2
      - 0
    .max_flat_workgroup_size: 512
    .name:           _Z16wvSplitK_hf_sml_I14__hip_bfloat16Li32ELi4ELi16ELi8ELi1ELi4EEviiiiiiPKT_S3_S3_PS1_ii
    .private_segment_fixed_size: 0
    .sgpr_count:     40
    .sgpr_spill_count: 0
    .symbol:         _Z16wvSplitK_hf_sml_I14__hip_bfloat16Li32ELi4ELi16ELi8ELi1ELi4EEviiiiiiPKT_S3_S3_PS1_ii.kd
    .uniform_work_group_size: 1
    .uses_dynamic_stack: false
    .vgpr_count:     111
    .vgpr_spill_count: 0
    .wavefront_size: 64
  - .agpr_count:     0
    .args:
      - .offset:         0
        .size:           4
        .value_kind:     by_value
      - .offset:         4
        .size:           4
        .value_kind:     by_value
      - .offset:         8
        .size:           4
        .value_kind:     by_value
      - .offset:         12
        .size:           4
        .value_kind:     by_value
      - .offset:         16
        .size:           4
        .value_kind:     by_value
      - .offset:         20
        .size:           4
        .value_kind:     by_value
      - .address_space:  global
        .offset:         24
        .size:           8
        .value_kind:     global_buffer
      - .actual_access:  read_only
        .address_space:  global
        .offset:         32
        .size:           8
        .value_kind:     global_buffer
      - .actual_access:  read_only
        .address_space:  global
        .offset:         40
        .size:           8
        .value_kind:     global_buffer
      - .address_space:  global
        .offset:         48
        .size:           8
        .value_kind:     global_buffer
      - .offset:         56
        .size:           4
        .value_kind:     by_value
      - .offset:         60
        .size:           4
        .value_kind:     by_value
    .group_segment_fixed_size: 65536
    .kernarg_segment_align: 8
    .kernarg_segment_size: 64
    .language:       OpenCL C
    .language_version:
      - 2
      - 0
    .max_flat_workgroup_size: 512
    .name:           _Z12wvSplitK_hf_I14__hip_bfloat16Li32ELi4ELi16ELi8ELi1ELi4EEviiiiiiPKT_S3_S3_PS1_ii
    .private_segment_fixed_size: 0
    .sgpr_count:     53
    .sgpr_spill_count: 0
    .symbol:         _Z12wvSplitK_hf_I14__hip_bfloat16Li32ELi4ELi16ELi8ELi1ELi4EEviiiiiiPKT_S3_S3_PS1_ii.kd
    .uniform_work_group_size: 1
    .uses_dynamic_stack: false
    .vgpr_count:     126
    .vgpr_spill_count: 0
    .wavefront_size: 64
  - .agpr_count:     0
    .args:
      - .offset:         0
        .size:           4
        .value_kind:     by_value
      - .offset:         4
        .size:           4
        .value_kind:     by_value
      - .offset:         8
        .size:           4
        .value_kind:     by_value
      - .offset:         12
        .size:           4
        .value_kind:     by_value
      - .offset:         16
        .size:           4
        .value_kind:     by_value
      - .offset:         20
        .size:           4
        .value_kind:     by_value
      - .address_space:  global
        .offset:         24
        .size:           8
        .value_kind:     global_buffer
      - .actual_access:  read_only
        .address_space:  global
        .offset:         32
        .size:           8
        .value_kind:     global_buffer
      - .actual_access:  read_only
        .address_space:  global
        .offset:         40
        .size:           8
        .value_kind:     global_buffer
      - .address_space:  global
        .offset:         48
        .size:           8
        .value_kind:     global_buffer
      - .offset:         56
        .size:           4
        .value_kind:     by_value
      - .offset:         60
        .size:           4
        .value_kind:     by_value
    .group_segment_fixed_size: 65536
    .kernarg_segment_align: 8
    .kernarg_segment_size: 64
    .language:       OpenCL C
    .language_version:
      - 2
      - 0
    .max_flat_workgroup_size: 512
    .name:           _Z16wvSplitK_hf_big_I14__hip_bfloat16Li32ELi4ELi16ELi8ELi1ELi4EEviiiiiiPKT_S3_S3_PS1_ii
    .private_segment_fixed_size: 0
    .sgpr_count:     64
    .sgpr_spill_count: 0
    .symbol:         _Z16wvSplitK_hf_big_I14__hip_bfloat16Li32ELi4ELi16ELi8ELi1ELi4EEviiiiiiPKT_S3_S3_PS1_ii.kd
    .uniform_work_group_size: 1
    .uses_dynamic_stack: false
    .vgpr_count:     119
    .vgpr_spill_count: 0
    .wavefront_size: 64
  - .agpr_count:     0
    .args:
      - .offset:         0
        .size:           4
        .value_kind:     by_value
      - .offset:         4
        .size:           4
        .value_kind:     by_value
      - .offset:         8
        .size:           4
        .value_kind:     by_value
      - .offset:         12
        .size:           4
        .value_kind:     by_value
      - .offset:         16
        .size:           4
        .value_kind:     by_value
      - .offset:         20
        .size:           4
        .value_kind:     by_value
      - .address_space:  global
        .offset:         24
        .size:           8
        .value_kind:     global_buffer
      - .actual_access:  read_only
        .address_space:  global
        .offset:         32
        .size:           8
        .value_kind:     global_buffer
      - .actual_access:  read_only
        .address_space:  global
        .offset:         40
        .size:           8
        .value_kind:     global_buffer
      - .address_space:  global
        .offset:         48
        .size:           8
        .value_kind:     global_buffer
      - .offset:         56
        .size:           4
        .value_kind:     by_value
      - .offset:         60
        .size:           4
        .value_kind:     by_value
    .group_segment_fixed_size: 65536
    .kernarg_segment_align: 8
    .kernarg_segment_size: 64
    .language:       OpenCL C
    .language_version:
      - 2
      - 0
    .max_flat_workgroup_size: 512
    .name:           _Z16wvSplitK_hf_sml_I14__hip_bfloat16Li32ELi4ELi16ELi8ELi2ELi4EEviiiiiiPKT_S3_S3_PS1_ii
    .private_segment_fixed_size: 0
    .sgpr_count:     41
    .sgpr_spill_count: 0
    .symbol:         _Z16wvSplitK_hf_sml_I14__hip_bfloat16Li32ELi4ELi16ELi8ELi2ELi4EEviiiiiiPKT_S3_S3_PS1_ii.kd
    .uniform_work_group_size: 1
    .uses_dynamic_stack: false
    .vgpr_count:     146
    .vgpr_spill_count: 0
    .wavefront_size: 64
  - .agpr_count:     0
    .args:
      - .offset:         0
        .size:           4
        .value_kind:     by_value
      - .offset:         4
        .size:           4
        .value_kind:     by_value
      - .offset:         8
        .size:           4
        .value_kind:     by_value
      - .offset:         12
        .size:           4
        .value_kind:     by_value
      - .offset:         16
        .size:           4
        .value_kind:     by_value
      - .offset:         20
        .size:           4
        .value_kind:     by_value
      - .address_space:  global
        .offset:         24
        .size:           8
        .value_kind:     global_buffer
      - .actual_access:  read_only
        .address_space:  global
        .offset:         32
        .size:           8
        .value_kind:     global_buffer
      - .actual_access:  read_only
        .address_space:  global
        .offset:         40
        .size:           8
        .value_kind:     global_buffer
      - .address_space:  global
        .offset:         48
        .size:           8
        .value_kind:     global_buffer
      - .offset:         56
        .size:           4
        .value_kind:     by_value
      - .offset:         60
        .size:           4
        .value_kind:     by_value
    .group_segment_fixed_size: 65536
    .kernarg_segment_align: 8
    .kernarg_segment_size: 64
    .language:       OpenCL C
    .language_version:
      - 2
      - 0
    .max_flat_workgroup_size: 512
    .name:           _Z12wvSplitK_hf_I14__hip_bfloat16Li32ELi4ELi16ELi8ELi2ELi4EEviiiiiiPKT_S3_S3_PS1_ii
    .private_segment_fixed_size: 0
    .sgpr_count:     55
    .sgpr_spill_count: 0
    .symbol:         _Z12wvSplitK_hf_I14__hip_bfloat16Li32ELi4ELi16ELi8ELi2ELi4EEviiiiiiPKT_S3_S3_PS1_ii.kd
    .uniform_work_group_size: 1
    .uses_dynamic_stack: false
    .vgpr_count:     162
    .vgpr_spill_count: 0
    .wavefront_size: 64
  - .agpr_count:     0
    .args:
      - .offset:         0
        .size:           4
        .value_kind:     by_value
      - .offset:         4
        .size:           4
        .value_kind:     by_value
      - .offset:         8
        .size:           4
        .value_kind:     by_value
      - .offset:         12
        .size:           4
        .value_kind:     by_value
      - .offset:         16
        .size:           4
        .value_kind:     by_value
      - .offset:         20
        .size:           4
        .value_kind:     by_value
      - .address_space:  global
        .offset:         24
        .size:           8
        .value_kind:     global_buffer
      - .actual_access:  read_only
        .address_space:  global
        .offset:         32
        .size:           8
        .value_kind:     global_buffer
      - .actual_access:  read_only
        .address_space:  global
        .offset:         40
        .size:           8
        .value_kind:     global_buffer
      - .address_space:  global
        .offset:         48
        .size:           8
        .value_kind:     global_buffer
      - .offset:         56
        .size:           4
        .value_kind:     by_value
      - .offset:         60
        .size:           4
        .value_kind:     by_value
    .group_segment_fixed_size: 65536
    .kernarg_segment_align: 8
    .kernarg_segment_size: 64
    .language:       OpenCL C
    .language_version:
      - 2
      - 0
    .max_flat_workgroup_size: 512
    .name:           _Z16wvSplitK_hf_big_I14__hip_bfloat16Li32ELi4ELi16ELi8ELi2ELi4EEviiiiiiPKT_S3_S3_PS1_ii
    .private_segment_fixed_size: 0
    .sgpr_count:     64
    .sgpr_spill_count: 0
    .symbol:         _Z16wvSplitK_hf_big_I14__hip_bfloat16Li32ELi4ELi16ELi8ELi2ELi4EEviiiiiiPKT_S3_S3_PS1_ii.kd
    .uniform_work_group_size: 1
    .uses_dynamic_stack: false
    .vgpr_count:     154
    .vgpr_spill_count: 0
    .wavefront_size: 64
  - .agpr_count:     0
    .args:
      - .offset:         0
        .size:           4
        .value_kind:     by_value
      - .offset:         4
        .size:           4
        .value_kind:     by_value
      - .offset:         8
        .size:           4
        .value_kind:     by_value
      - .offset:         12
        .size:           4
        .value_kind:     by_value
      - .offset:         16
        .size:           4
        .value_kind:     by_value
      - .offset:         20
        .size:           4
        .value_kind:     by_value
      - .address_space:  global
        .offset:         24
        .size:           8
        .value_kind:     global_buffer
      - .actual_access:  read_only
        .address_space:  global
        .offset:         32
        .size:           8
        .value_kind:     global_buffer
      - .actual_access:  read_only
        .address_space:  global
        .offset:         40
        .size:           8
        .value_kind:     global_buffer
      - .address_space:  global
        .offset:         48
        .size:           8
        .value_kind:     global_buffer
      - .offset:         56
        .size:           4
        .value_kind:     by_value
      - .offset:         60
        .size:           4
        .value_kind:     by_value
    .group_segment_fixed_size: 65536
    .kernarg_segment_align: 8
    .kernarg_segment_size: 64
    .language:       OpenCL C
    .language_version:
      - 2
      - 0
    .max_flat_workgroup_size: 1024
    .name:           _Z16wvSplitK_hf_sml_I14__hip_bfloat16Li64ELi1ELi16ELi8ELi4ELi4EEviiiiiiPKT_S3_S3_PS1_ii
    .private_segment_fixed_size: 0
    .sgpr_count:     45
    .sgpr_spill_count: 0
    .symbol:         _Z16wvSplitK_hf_sml_I14__hip_bfloat16Li64ELi1ELi16ELi8ELi4ELi4EEviiiiiiPKT_S3_S3_PS1_ii.kd
    .uniform_work_group_size: 1
    .uses_dynamic_stack: false
    .vgpr_count:     110
    .vgpr_spill_count: 0
    .wavefront_size: 64
  - .agpr_count:     0
    .args:
      - .offset:         0
        .size:           4
        .value_kind:     by_value
      - .offset:         4
        .size:           4
        .value_kind:     by_value
      - .offset:         8
        .size:           4
        .value_kind:     by_value
      - .offset:         12
        .size:           4
        .value_kind:     by_value
      - .offset:         16
        .size:           4
        .value_kind:     by_value
      - .offset:         20
        .size:           4
        .value_kind:     by_value
      - .address_space:  global
        .offset:         24
        .size:           8
        .value_kind:     global_buffer
      - .actual_access:  read_only
        .address_space:  global
        .offset:         32
        .size:           8
        .value_kind:     global_buffer
      - .actual_access:  read_only
        .address_space:  global
        .offset:         40
        .size:           8
        .value_kind:     global_buffer
      - .address_space:  global
        .offset:         48
        .size:           8
        .value_kind:     global_buffer
      - .offset:         56
        .size:           4
        .value_kind:     by_value
      - .offset:         60
        .size:           4
        .value_kind:     by_value
    .group_segment_fixed_size: 65536
    .kernarg_segment_align: 8
    .kernarg_segment_size: 64
    .language:       OpenCL C
    .language_version:
      - 2
      - 0
    .max_flat_workgroup_size: 1024
    .name:           _Z12wvSplitK_hf_I14__hip_bfloat16Li64ELi1ELi16ELi8ELi4ELi4EEviiiiiiPKT_S3_S3_PS1_ii
    .private_segment_fixed_size: 0
    .sgpr_count:     54
    .sgpr_spill_count: 0
    .symbol:         _Z12wvSplitK_hf_I14__hip_bfloat16Li64ELi1ELi16ELi8ELi4ELi4EEviiiiiiPKT_S3_S3_PS1_ii.kd
    .uniform_work_group_size: 1
    .uses_dynamic_stack: false
    .vgpr_count:     119
    .vgpr_spill_count: 0
    .wavefront_size: 64
  - .agpr_count:     0
    .args:
      - .offset:         0
        .size:           4
        .value_kind:     by_value
      - .offset:         4
        .size:           4
        .value_kind:     by_value
      - .offset:         8
        .size:           4
        .value_kind:     by_value
      - .offset:         12
        .size:           4
        .value_kind:     by_value
      - .offset:         16
        .size:           4
        .value_kind:     by_value
      - .offset:         20
        .size:           4
        .value_kind:     by_value
      - .address_space:  global
        .offset:         24
        .size:           8
        .value_kind:     global_buffer
      - .actual_access:  read_only
        .address_space:  global
        .offset:         32
        .size:           8
        .value_kind:     global_buffer
      - .actual_access:  read_only
        .address_space:  global
        .offset:         40
        .size:           8
        .value_kind:     global_buffer
      - .address_space:  global
        .offset:         48
        .size:           8
        .value_kind:     global_buffer
      - .offset:         56
        .size:           4
        .value_kind:     by_value
      - .offset:         60
        .size:           4
        .value_kind:     by_value
    .group_segment_fixed_size: 65536
    .kernarg_segment_align: 8
    .kernarg_segment_size: 64
    .language:       OpenCL C
    .language_version:
      - 2
      - 0
    .max_flat_workgroup_size: 1024
    .name:           _Z16wvSplitK_hf_big_I14__hip_bfloat16Li64ELi1ELi16ELi8ELi4ELi4EEviiiiiiPKT_S3_S3_PS1_ii
    .private_segment_fixed_size: 0
    .sgpr_count:     60
    .sgpr_spill_count: 0
    .symbol:         _Z16wvSplitK_hf_big_I14__hip_bfloat16Li64ELi1ELi16ELi8ELi4ELi4EEviiiiiiPKT_S3_S3_PS1_ii.kd
    .uniform_work_group_size: 1
    .uses_dynamic_stack: false
    .vgpr_count:     115
    .vgpr_spill_count: 0
    .wavefront_size: 64
  - .agpr_count:     0
    .args:
      - .offset:         0
        .size:           4
        .value_kind:     by_value
      - .offset:         4
        .size:           4
        .value_kind:     by_value
      - .offset:         8
        .size:           4
        .value_kind:     by_value
      - .offset:         12
        .size:           4
        .value_kind:     by_value
      - .offset:         16
        .size:           4
        .value_kind:     by_value
      - .offset:         20
        .size:           4
        .value_kind:     by_value
      - .address_space:  global
        .offset:         24
        .size:           8
        .value_kind:     global_buffer
      - .actual_access:  read_only
        .address_space:  global
        .offset:         32
        .size:           8
        .value_kind:     global_buffer
      - .actual_access:  read_only
        .address_space:  global
        .offset:         40
        .size:           8
        .value_kind:     global_buffer
      - .address_space:  global
        .offset:         48
        .size:           8
        .value_kind:     global_buffer
      - .offset:         56
        .size:           4
        .value_kind:     by_value
      - .offset:         60
        .size:           4
        .value_kind:     by_value
    .group_segment_fixed_size: 65536
    .kernarg_segment_align: 8
    .kernarg_segment_size: 64
    .language:       OpenCL C
    .language_version:
      - 2
      - 0
    .max_flat_workgroup_size: 1024
    .name:           _Z16wvSplitK_hf_sml_I14__hip_bfloat16Li64ELi2ELi16ELi8ELi2ELi4EEviiiiiiPKT_S3_S3_PS1_ii
    .private_segment_fixed_size: 0
    .sgpr_count:     41
    .sgpr_spill_count: 0
    .symbol:         _Z16wvSplitK_hf_sml_I14__hip_bfloat16Li64ELi2ELi16ELi8ELi2ELi4EEviiiiiiPKT_S3_S3_PS1_ii.kd
    .uniform_work_group_size: 1
    .uses_dynamic_stack: false
    .vgpr_count:     94
    .vgpr_spill_count: 0
    .wavefront_size: 64
  - .agpr_count:     0
    .args:
      - .offset:         0
        .size:           4
        .value_kind:     by_value
      - .offset:         4
        .size:           4
        .value_kind:     by_value
      - .offset:         8
        .size:           4
        .value_kind:     by_value
      - .offset:         12
        .size:           4
        .value_kind:     by_value
      - .offset:         16
        .size:           4
        .value_kind:     by_value
      - .offset:         20
        .size:           4
        .value_kind:     by_value
      - .address_space:  global
        .offset:         24
        .size:           8
        .value_kind:     global_buffer
      - .actual_access:  read_only
        .address_space:  global
        .offset:         32
        .size:           8
        .value_kind:     global_buffer
      - .actual_access:  read_only
        .address_space:  global
        .offset:         40
        .size:           8
        .value_kind:     global_buffer
      - .address_space:  global
        .offset:         48
        .size:           8
        .value_kind:     global_buffer
      - .offset:         56
        .size:           4
        .value_kind:     by_value
      - .offset:         60
        .size:           4
        .value_kind:     by_value
    .group_segment_fixed_size: 65536
    .kernarg_segment_align: 8
    .kernarg_segment_size: 64
    .language:       OpenCL C
    .language_version:
      - 2
      - 0
    .max_flat_workgroup_size: 1024
    .name:           _Z12wvSplitK_hf_I14__hip_bfloat16Li64ELi2ELi16ELi8ELi2ELi4EEviiiiiiPKT_S3_S3_PS1_ii
    .private_segment_fixed_size: 0
    .sgpr_count:     51
    .sgpr_spill_count: 0
    .symbol:         _Z12wvSplitK_hf_I14__hip_bfloat16Li64ELi2ELi16ELi8ELi2ELi4EEviiiiiiPKT_S3_S3_PS1_ii.kd
    .uniform_work_group_size: 1
    .uses_dynamic_stack: false
    .vgpr_count:     104
    .vgpr_spill_count: 0
    .wavefront_size: 64
  - .agpr_count:     0
    .args:
      - .offset:         0
        .size:           4
        .value_kind:     by_value
      - .offset:         4
        .size:           4
        .value_kind:     by_value
      - .offset:         8
        .size:           4
        .value_kind:     by_value
      - .offset:         12
        .size:           4
        .value_kind:     by_value
      - .offset:         16
        .size:           4
        .value_kind:     by_value
      - .offset:         20
        .size:           4
        .value_kind:     by_value
      - .address_space:  global
        .offset:         24
        .size:           8
        .value_kind:     global_buffer
      - .actual_access:  read_only
        .address_space:  global
        .offset:         32
        .size:           8
        .value_kind:     global_buffer
      - .actual_access:  read_only
        .address_space:  global
        .offset:         40
        .size:           8
        .value_kind:     global_buffer
      - .address_space:  global
        .offset:         48
        .size:           8
        .value_kind:     global_buffer
      - .offset:         56
        .size:           4
        .value_kind:     by_value
      - .offset:         60
        .size:           4
        .value_kind:     by_value
    .group_segment_fixed_size: 65536
    .kernarg_segment_align: 8
    .kernarg_segment_size: 64
    .language:       OpenCL C
    .language_version:
      - 2
      - 0
    .max_flat_workgroup_size: 1024
    .name:           _Z16wvSplitK_hf_big_I14__hip_bfloat16Li64ELi2ELi16ELi8ELi2ELi4EEviiiiiiPKT_S3_S3_PS1_ii
    .private_segment_fixed_size: 0
    .sgpr_count:     62
    .sgpr_spill_count: 0
    .symbol:         _Z16wvSplitK_hf_big_I14__hip_bfloat16Li64ELi2ELi16ELi8ELi2ELi4EEviiiiiiPKT_S3_S3_PS1_ii.kd
    .uniform_work_group_size: 1
    .uses_dynamic_stack: false
    .vgpr_count:     100
    .vgpr_spill_count: 0
    .wavefront_size: 64
  - .agpr_count:     0
    .args:
      - .offset:         0
        .size:           4
        .value_kind:     by_value
      - .offset:         4
        .size:           4
        .value_kind:     by_value
      - .offset:         8
        .size:           4
        .value_kind:     by_value
      - .offset:         12
        .size:           4
        .value_kind:     by_value
      - .offset:         16
        .size:           4
        .value_kind:     by_value
      - .offset:         20
        .size:           4
        .value_kind:     by_value
      - .address_space:  global
        .offset:         24
        .size:           8
        .value_kind:     global_buffer
      - .actual_access:  read_only
        .address_space:  global
        .offset:         32
        .size:           8
        .value_kind:     global_buffer
      - .actual_access:  read_only
        .address_space:  global
        .offset:         40
        .size:           8
        .value_kind:     global_buffer
      - .address_space:  global
        .offset:         48
        .size:           8
        .value_kind:     global_buffer
      - .offset:         56
        .size:           4
        .value_kind:     by_value
      - .offset:         60
        .size:           4
        .value_kind:     by_value
    .group_segment_fixed_size: 65536
    .kernarg_segment_align: 8
    .kernarg_segment_size: 64
    .language:       OpenCL C
    .language_version:
      - 2
      - 0
    .max_flat_workgroup_size: 1024
    .name:           _Z16wvSplitK_hf_sml_I14__hip_bfloat16Li64ELi3ELi16ELi8ELi2ELi4EEviiiiiiPKT_S3_S3_PS1_ii
    .private_segment_fixed_size: 0
    .sgpr_count:     41
    .sgpr_spill_count: 0
    .symbol:         _Z16wvSplitK_hf_sml_I14__hip_bfloat16Li64ELi3ELi16ELi8ELi2ELi4EEviiiiiiPKT_S3_S3_PS1_ii.kd
    .uniform_work_group_size: 1
    .uses_dynamic_stack: false
    .vgpr_count:     121
    .vgpr_spill_count: 0
    .wavefront_size: 64
  - .agpr_count:     0
    .args:
      - .offset:         0
        .size:           4
        .value_kind:     by_value
      - .offset:         4
        .size:           4
        .value_kind:     by_value
      - .offset:         8
        .size:           4
        .value_kind:     by_value
      - .offset:         12
        .size:           4
        .value_kind:     by_value
      - .offset:         16
        .size:           4
        .value_kind:     by_value
      - .offset:         20
        .size:           4
        .value_kind:     by_value
      - .address_space:  global
        .offset:         24
        .size:           8
        .value_kind:     global_buffer
      - .actual_access:  read_only
        .address_space:  global
        .offset:         32
        .size:           8
        .value_kind:     global_buffer
      - .actual_access:  read_only
        .address_space:  global
        .offset:         40
        .size:           8
        .value_kind:     global_buffer
      - .address_space:  global
        .offset:         48
        .size:           8
        .value_kind:     global_buffer
      - .offset:         56
        .size:           4
        .value_kind:     by_value
      - .offset:         60
        .size:           4
        .value_kind:     by_value
    .group_segment_fixed_size: 65536
    .kernarg_segment_align: 8
    .kernarg_segment_size: 64
    .language:       OpenCL C
    .language_version:
      - 2
      - 0
    .max_flat_workgroup_size: 1024
    .name:           _Z12wvSplitK_hf_I14__hip_bfloat16Li64ELi3ELi16ELi8ELi2ELi4EEviiiiiiPKT_S3_S3_PS1_ii
    .private_segment_fixed_size: 8
    .sgpr_count:     53
    .sgpr_spill_count: 0
    .symbol:         _Z12wvSplitK_hf_I14__hip_bfloat16Li64ELi3ELi16ELi8ELi2ELi4EEviiiiiiPKT_S3_S3_PS1_ii.kd
    .uniform_work_group_size: 1
    .uses_dynamic_stack: false
    .vgpr_count:     128
    .vgpr_spill_count: 1
    .wavefront_size: 64
  - .agpr_count:     0
    .args:
      - .offset:         0
        .size:           4
        .value_kind:     by_value
      - .offset:         4
        .size:           4
        .value_kind:     by_value
      - .offset:         8
        .size:           4
        .value_kind:     by_value
      - .offset:         12
        .size:           4
        .value_kind:     by_value
      - .offset:         16
        .size:           4
        .value_kind:     by_value
      - .offset:         20
        .size:           4
        .value_kind:     by_value
      - .address_space:  global
        .offset:         24
        .size:           8
        .value_kind:     global_buffer
      - .actual_access:  read_only
        .address_space:  global
        .offset:         32
        .size:           8
        .value_kind:     global_buffer
      - .actual_access:  read_only
        .address_space:  global
        .offset:         40
        .size:           8
        .value_kind:     global_buffer
      - .address_space:  global
        .offset:         48
        .size:           8
        .value_kind:     global_buffer
      - .offset:         56
        .size:           4
        .value_kind:     by_value
      - .offset:         60
        .size:           4
        .value_kind:     by_value
    .group_segment_fixed_size: 65536
    .kernarg_segment_align: 8
    .kernarg_segment_size: 64
    .language:       OpenCL C
    .language_version:
      - 2
      - 0
    .max_flat_workgroup_size: 1024
    .name:           _Z16wvSplitK_hf_big_I14__hip_bfloat16Li64ELi3ELi16ELi8ELi2ELi4EEviiiiiiPKT_S3_S3_PS1_ii
    .private_segment_fixed_size: 0
    .sgpr_count:     62
    .sgpr_spill_count: 0
    .symbol:         _Z16wvSplitK_hf_big_I14__hip_bfloat16Li64ELi3ELi16ELi8ELi2ELi4EEviiiiiiPKT_S3_S3_PS1_ii.kd
    .uniform_work_group_size: 1
    .uses_dynamic_stack: false
    .vgpr_count:     127
    .vgpr_spill_count: 0
    .wavefront_size: 64
  - .agpr_count:     0
    .args:
      - .offset:         0
        .size:           4
        .value_kind:     by_value
      - .offset:         4
        .size:           4
        .value_kind:     by_value
      - .offset:         8
        .size:           4
        .value_kind:     by_value
      - .offset:         12
        .size:           4
        .value_kind:     by_value
      - .offset:         16
        .size:           4
        .value_kind:     by_value
      - .offset:         20
        .size:           4
        .value_kind:     by_value
      - .address_space:  global
        .offset:         24
        .size:           8
        .value_kind:     global_buffer
      - .actual_access:  read_only
        .address_space:  global
        .offset:         32
        .size:           8
        .value_kind:     global_buffer
      - .actual_access:  read_only
        .address_space:  global
        .offset:         40
        .size:           8
        .value_kind:     global_buffer
      - .address_space:  global
        .offset:         48
        .size:           8
        .value_kind:     global_buffer
      - .offset:         56
        .size:           4
        .value_kind:     by_value
      - .offset:         60
        .size:           4
        .value_kind:     by_value
    .group_segment_fixed_size: 65536
    .kernarg_segment_align: 8
    .kernarg_segment_size: 64
    .language:       OpenCL C
    .language_version:
      - 2
      - 0
    .max_flat_workgroup_size: 1024
    .name:           _Z16wvSplitK_hf_sml_I14__hip_bfloat16Li64ELi4ELi16ELi8ELi1ELi4EEviiiiiiPKT_S3_S3_PS1_ii
    .private_segment_fixed_size: 0
    .sgpr_count:     40
    .sgpr_spill_count: 0
    .symbol:         _Z16wvSplitK_hf_sml_I14__hip_bfloat16Li64ELi4ELi16ELi8ELi1ELi4EEviiiiiiPKT_S3_S3_PS1_ii.kd
    .uniform_work_group_size: 1
    .uses_dynamic_stack: false
    .vgpr_count:     111
    .vgpr_spill_count: 0
    .wavefront_size: 64
  - .agpr_count:     0
    .args:
      - .offset:         0
        .size:           4
        .value_kind:     by_value
      - .offset:         4
        .size:           4
        .value_kind:     by_value
      - .offset:         8
        .size:           4
        .value_kind:     by_value
      - .offset:         12
        .size:           4
        .value_kind:     by_value
      - .offset:         16
        .size:           4
        .value_kind:     by_value
      - .offset:         20
        .size:           4
        .value_kind:     by_value
      - .address_space:  global
        .offset:         24
        .size:           8
        .value_kind:     global_buffer
      - .actual_access:  read_only
        .address_space:  global
        .offset:         32
        .size:           8
        .value_kind:     global_buffer
      - .actual_access:  read_only
        .address_space:  global
        .offset:         40
        .size:           8
        .value_kind:     global_buffer
      - .address_space:  global
        .offset:         48
        .size:           8
        .value_kind:     global_buffer
      - .offset:         56
        .size:           4
        .value_kind:     by_value
      - .offset:         60
        .size:           4
        .value_kind:     by_value
    .group_segment_fixed_size: 65536
    .kernarg_segment_align: 8
    .kernarg_segment_size: 64
    .language:       OpenCL C
    .language_version:
      - 2
      - 0
    .max_flat_workgroup_size: 1024
    .name:           _Z12wvSplitK_hf_I14__hip_bfloat16Li64ELi4ELi16ELi8ELi1ELi4EEviiiiiiPKT_S3_S3_PS1_ii
    .private_segment_fixed_size: 0
    .sgpr_count:     53
    .sgpr_spill_count: 0
    .symbol:         _Z12wvSplitK_hf_I14__hip_bfloat16Li64ELi4ELi16ELi8ELi1ELi4EEviiiiiiPKT_S3_S3_PS1_ii.kd
    .uniform_work_group_size: 1
    .uses_dynamic_stack: false
    .vgpr_count:     126
    .vgpr_spill_count: 0
    .wavefront_size: 64
  - .agpr_count:     0
    .args:
      - .offset:         0
        .size:           4
        .value_kind:     by_value
      - .offset:         4
        .size:           4
        .value_kind:     by_value
      - .offset:         8
        .size:           4
        .value_kind:     by_value
      - .offset:         12
        .size:           4
        .value_kind:     by_value
      - .offset:         16
        .size:           4
        .value_kind:     by_value
      - .offset:         20
        .size:           4
        .value_kind:     by_value
      - .address_space:  global
        .offset:         24
        .size:           8
        .value_kind:     global_buffer
      - .actual_access:  read_only
        .address_space:  global
        .offset:         32
        .size:           8
        .value_kind:     global_buffer
      - .actual_access:  read_only
        .address_space:  global
        .offset:         40
        .size:           8
        .value_kind:     global_buffer
      - .address_space:  global
        .offset:         48
        .size:           8
        .value_kind:     global_buffer
      - .offset:         56
        .size:           4
        .value_kind:     by_value
      - .offset:         60
        .size:           4
        .value_kind:     by_value
    .group_segment_fixed_size: 65536
    .kernarg_segment_align: 8
    .kernarg_segment_size: 64
    .language:       OpenCL C
    .language_version:
      - 2
      - 0
    .max_flat_workgroup_size: 1024
    .name:           _Z16wvSplitK_hf_big_I14__hip_bfloat16Li64ELi4ELi16ELi8ELi1ELi4EEviiiiiiPKT_S3_S3_PS1_ii
    .private_segment_fixed_size: 0
    .sgpr_count:     64
    .sgpr_spill_count: 0
    .symbol:         _Z16wvSplitK_hf_big_I14__hip_bfloat16Li64ELi4ELi16ELi8ELi1ELi4EEviiiiiiPKT_S3_S3_PS1_ii.kd
    .uniform_work_group_size: 1
    .uses_dynamic_stack: false
    .vgpr_count:     119
    .vgpr_spill_count: 0
    .wavefront_size: 64
  - .agpr_count:     0
    .args:
      - .offset:         0
        .size:           4
        .value_kind:     by_value
      - .offset:         4
        .size:           4
        .value_kind:     by_value
      - .offset:         8
        .size:           4
        .value_kind:     by_value
      - .offset:         12
        .size:           4
        .value_kind:     by_value
      - .offset:         16
        .size:           4
        .value_kind:     by_value
      - .offset:         20
        .size:           4
        .value_kind:     by_value
      - .address_space:  global
        .offset:         24
        .size:           8
        .value_kind:     global_buffer
      - .actual_access:  read_only
        .address_space:  global
        .offset:         32
        .size:           8
        .value_kind:     global_buffer
      - .actual_access:  read_only
        .address_space:  global
        .offset:         40
        .size:           8
        .value_kind:     global_buffer
      - .address_space:  global
        .offset:         48
        .size:           8
        .value_kind:     global_buffer
      - .offset:         56
        .size:           4
        .value_kind:     by_value
      - .offset:         60
        .size:           4
        .value_kind:     by_value
    .group_segment_fixed_size: 65536
    .kernarg_segment_align: 8
    .kernarg_segment_size: 64
    .language:       OpenCL C
    .language_version:
      - 2
      - 0
    .max_flat_workgroup_size: 1024
    .name:           _Z16wvSplitK_hf_sml_I14__hip_bfloat16Li64ELi4ELi16ELi8ELi2ELi4EEviiiiiiPKT_S3_S3_PS1_ii
    .private_segment_fixed_size: 88
    .sgpr_count:     41
    .sgpr_spill_count: 0
    .symbol:         _Z16wvSplitK_hf_sml_I14__hip_bfloat16Li64ELi4ELi16ELi8ELi2ELi4EEviiiiiiPKT_S3_S3_PS1_ii.kd
    .uniform_work_group_size: 1
    .uses_dynamic_stack: false
    .vgpr_count:     128
    .vgpr_spill_count: 29
    .wavefront_size: 64
  - .agpr_count:     0
    .args:
      - .offset:         0
        .size:           4
        .value_kind:     by_value
      - .offset:         4
        .size:           4
        .value_kind:     by_value
      - .offset:         8
        .size:           4
        .value_kind:     by_value
      - .offset:         12
        .size:           4
        .value_kind:     by_value
      - .offset:         16
        .size:           4
        .value_kind:     by_value
      - .offset:         20
        .size:           4
        .value_kind:     by_value
      - .address_space:  global
        .offset:         24
        .size:           8
        .value_kind:     global_buffer
      - .actual_access:  read_only
        .address_space:  global
        .offset:         32
        .size:           8
        .value_kind:     global_buffer
      - .actual_access:  read_only
        .address_space:  global
        .offset:         40
        .size:           8
        .value_kind:     global_buffer
      - .address_space:  global
        .offset:         48
        .size:           8
        .value_kind:     global_buffer
      - .offset:         56
        .size:           4
        .value_kind:     by_value
      - .offset:         60
        .size:           4
        .value_kind:     by_value
    .group_segment_fixed_size: 65536
    .kernarg_segment_align: 8
    .kernarg_segment_size: 64
    .language:       OpenCL C
    .language_version:
      - 2
      - 0
    .max_flat_workgroup_size: 1024
    .name:           _Z12wvSplitK_hf_I14__hip_bfloat16Li64ELi4ELi16ELi8ELi2ELi4EEviiiiiiPKT_S3_S3_PS1_ii
    .private_segment_fixed_size: 156
    .sgpr_count:     55
    .sgpr_spill_count: 0
    .symbol:         _Z12wvSplitK_hf_I14__hip_bfloat16Li64ELi4ELi16ELi8ELi2ELi4EEviiiiiiPKT_S3_S3_PS1_ii.kd
    .uniform_work_group_size: 1
    .uses_dynamic_stack: false
    .vgpr_count:     128
    .vgpr_spill_count: 54
    .wavefront_size: 64
  - .agpr_count:     0
    .args:
      - .offset:         0
        .size:           4
        .value_kind:     by_value
      - .offset:         4
        .size:           4
        .value_kind:     by_value
      - .offset:         8
        .size:           4
        .value_kind:     by_value
      - .offset:         12
        .size:           4
        .value_kind:     by_value
      - .offset:         16
        .size:           4
        .value_kind:     by_value
      - .offset:         20
        .size:           4
        .value_kind:     by_value
      - .address_space:  global
        .offset:         24
        .size:           8
        .value_kind:     global_buffer
      - .actual_access:  read_only
        .address_space:  global
        .offset:         32
        .size:           8
        .value_kind:     global_buffer
      - .actual_access:  read_only
        .address_space:  global
        .offset:         40
        .size:           8
        .value_kind:     global_buffer
      - .address_space:  global
        .offset:         48
        .size:           8
        .value_kind:     global_buffer
      - .offset:         56
        .size:           4
        .value_kind:     by_value
      - .offset:         60
        .size:           4
        .value_kind:     by_value
    .group_segment_fixed_size: 65536
    .kernarg_segment_align: 8
    .kernarg_segment_size: 64
    .language:       OpenCL C
    .language_version:
      - 2
      - 0
    .max_flat_workgroup_size: 1024
    .name:           _Z16wvSplitK_hf_big_I14__hip_bfloat16Li64ELi4ELi16ELi8ELi2ELi4EEviiiiiiPKT_S3_S3_PS1_ii
    .private_segment_fixed_size: 120
    .sgpr_count:     64
    .sgpr_spill_count: 0
    .symbol:         _Z16wvSplitK_hf_big_I14__hip_bfloat16Li64ELi4ELi16ELi8ELi2ELi4EEviiiiiiPKT_S3_S3_PS1_ii.kd
    .uniform_work_group_size: 1
    .uses_dynamic_stack: false
    .vgpr_count:     128
    .vgpr_spill_count: 37
    .wavefront_size: 64
  - .agpr_count:     0
    .args:
      - .offset:         0
        .size:           4
        .value_kind:     by_value
      - .offset:         4
        .size:           4
        .value_kind:     by_value
      - .offset:         8
        .size:           4
        .value_kind:     by_value
      - .offset:         12
        .size:           4
        .value_kind:     by_value
      - .offset:         16
        .size:           4
        .value_kind:     by_value
      - .offset:         20
        .size:           4
        .value_kind:     by_value
      - .address_space:  global
        .offset:         24
        .size:           8
        .value_kind:     global_buffer
      - .actual_access:  read_only
        .address_space:  global
        .offset:         32
        .size:           8
        .value_kind:     global_buffer
      - .actual_access:  read_only
        .address_space:  global
        .offset:         40
        .size:           8
        .value_kind:     global_buffer
      - .address_space:  global
        .offset:         48
        .size:           8
        .value_kind:     global_buffer
      - .offset:         56
        .size:           4
        .value_kind:     by_value
      - .offset:         60
        .size:           4
        .value_kind:     by_value
    .group_segment_fixed_size: 65536
    .kernarg_segment_align: 8
    .kernarg_segment_size: 64
    .language:       OpenCL C
    .language_version:
      - 2
      - 0
    .max_flat_workgroup_size: 512
    .name:           _Z16wvSplitK_hf_sml_I14__hip_bfloat16Li32ELi1ELi16ELi8ELi4ELi5EEviiiiiiPKT_S3_S3_PS1_ii
    .private_segment_fixed_size: 0
    .sgpr_count:     47
    .sgpr_spill_count: 0
    .symbol:         _Z16wvSplitK_hf_sml_I14__hip_bfloat16Li32ELi1ELi16ELi8ELi4ELi5EEviiiiiiPKT_S3_S3_PS1_ii.kd
    .uniform_work_group_size: 1
    .uses_dynamic_stack: false
    .vgpr_count:     131
    .vgpr_spill_count: 0
    .wavefront_size: 64
  - .agpr_count:     0
    .args:
      - .offset:         0
        .size:           4
        .value_kind:     by_value
      - .offset:         4
        .size:           4
        .value_kind:     by_value
      - .offset:         8
        .size:           4
        .value_kind:     by_value
      - .offset:         12
        .size:           4
        .value_kind:     by_value
      - .offset:         16
        .size:           4
        .value_kind:     by_value
      - .offset:         20
        .size:           4
        .value_kind:     by_value
      - .address_space:  global
        .offset:         24
        .size:           8
        .value_kind:     global_buffer
      - .actual_access:  read_only
        .address_space:  global
        .offset:         32
        .size:           8
        .value_kind:     global_buffer
      - .actual_access:  read_only
        .address_space:  global
        .offset:         40
        .size:           8
        .value_kind:     global_buffer
      - .address_space:  global
        .offset:         48
        .size:           8
        .value_kind:     global_buffer
      - .offset:         56
        .size:           4
        .value_kind:     by_value
      - .offset:         60
        .size:           4
        .value_kind:     by_value
    .group_segment_fixed_size: 65536
    .kernarg_segment_align: 8
    .kernarg_segment_size: 64
    .language:       OpenCL C
    .language_version:
      - 2
      - 0
    .max_flat_workgroup_size: 512
    .name:           _Z12wvSplitK_hf_I14__hip_bfloat16Li32ELi1ELi16ELi8ELi4ELi5EEviiiiiiPKT_S3_S3_PS1_ii
    .private_segment_fixed_size: 0
    .sgpr_count:     56
    .sgpr_spill_count: 0
    .symbol:         _Z12wvSplitK_hf_I14__hip_bfloat16Li32ELi1ELi16ELi8ELi4ELi5EEviiiiiiPKT_S3_S3_PS1_ii.kd
    .uniform_work_group_size: 1
    .uses_dynamic_stack: false
    .vgpr_count:     142
    .vgpr_spill_count: 0
    .wavefront_size: 64
  - .agpr_count:     0
    .args:
      - .offset:         0
        .size:           4
        .value_kind:     by_value
      - .offset:         4
        .size:           4
        .value_kind:     by_value
      - .offset:         8
        .size:           4
        .value_kind:     by_value
      - .offset:         12
        .size:           4
        .value_kind:     by_value
      - .offset:         16
        .size:           4
        .value_kind:     by_value
      - .offset:         20
        .size:           4
        .value_kind:     by_value
      - .address_space:  global
        .offset:         24
        .size:           8
        .value_kind:     global_buffer
      - .actual_access:  read_only
        .address_space:  global
        .offset:         32
        .size:           8
        .value_kind:     global_buffer
      - .actual_access:  read_only
        .address_space:  global
        .offset:         40
        .size:           8
        .value_kind:     global_buffer
      - .address_space:  global
        .offset:         48
        .size:           8
        .value_kind:     global_buffer
      - .offset:         56
        .size:           4
        .value_kind:     by_value
      - .offset:         60
        .size:           4
        .value_kind:     by_value
    .group_segment_fixed_size: 65536
    .kernarg_segment_align: 8
    .kernarg_segment_size: 64
    .language:       OpenCL C
    .language_version:
      - 2
      - 0
    .max_flat_workgroup_size: 512
    .name:           _Z16wvSplitK_hf_big_I14__hip_bfloat16Li32ELi1ELi16ELi8ELi4ELi5EEviiiiiiPKT_S3_S3_PS1_ii
    .private_segment_fixed_size: 0
    .sgpr_count:     62
    .sgpr_spill_count: 0
    .symbol:         _Z16wvSplitK_hf_big_I14__hip_bfloat16Li32ELi1ELi16ELi8ELi4ELi5EEviiiiiiPKT_S3_S3_PS1_ii.kd
    .uniform_work_group_size: 1
    .uses_dynamic_stack: false
    .vgpr_count:     137
    .vgpr_spill_count: 0
    .wavefront_size: 64
  - .agpr_count:     0
    .args:
      - .offset:         0
        .size:           4
        .value_kind:     by_value
      - .offset:         4
        .size:           4
        .value_kind:     by_value
      - .offset:         8
        .size:           4
        .value_kind:     by_value
      - .offset:         12
        .size:           4
        .value_kind:     by_value
      - .offset:         16
        .size:           4
        .value_kind:     by_value
      - .offset:         20
        .size:           4
        .value_kind:     by_value
      - .address_space:  global
        .offset:         24
        .size:           8
        .value_kind:     global_buffer
      - .actual_access:  read_only
        .address_space:  global
        .offset:         32
        .size:           8
        .value_kind:     global_buffer
      - .actual_access:  read_only
        .address_space:  global
        .offset:         40
        .size:           8
        .value_kind:     global_buffer
      - .address_space:  global
        .offset:         48
        .size:           8
        .value_kind:     global_buffer
      - .offset:         56
        .size:           4
        .value_kind:     by_value
      - .offset:         60
        .size:           4
        .value_kind:     by_value
    .group_segment_fixed_size: 65536
    .kernarg_segment_align: 8
    .kernarg_segment_size: 64
    .language:       OpenCL C
    .language_version:
      - 2
      - 0
    .max_flat_workgroup_size: 512
    .name:           _Z16wvSplitK_hf_sml_I14__hip_bfloat16Li32ELi2ELi16ELi8ELi2ELi5EEviiiiiiPKT_S3_S3_PS1_ii
    .private_segment_fixed_size: 0
    .sgpr_count:     43
    .sgpr_spill_count: 0
    .symbol:         _Z16wvSplitK_hf_sml_I14__hip_bfloat16Li32ELi2ELi16ELi8ELi2ELi5EEviiiiiiPKT_S3_S3_PS1_ii.kd
    .uniform_work_group_size: 1
    .uses_dynamic_stack: false
    .vgpr_count:     111
    .vgpr_spill_count: 0
    .wavefront_size: 64
  - .agpr_count:     0
    .args:
      - .offset:         0
        .size:           4
        .value_kind:     by_value
      - .offset:         4
        .size:           4
        .value_kind:     by_value
      - .offset:         8
        .size:           4
        .value_kind:     by_value
      - .offset:         12
        .size:           4
        .value_kind:     by_value
      - .offset:         16
        .size:           4
        .value_kind:     by_value
      - .offset:         20
        .size:           4
        .value_kind:     by_value
      - .address_space:  global
        .offset:         24
        .size:           8
        .value_kind:     global_buffer
      - .actual_access:  read_only
        .address_space:  global
        .offset:         32
        .size:           8
        .value_kind:     global_buffer
      - .actual_access:  read_only
        .address_space:  global
        .offset:         40
        .size:           8
        .value_kind:     global_buffer
      - .address_space:  global
        .offset:         48
        .size:           8
        .value_kind:     global_buffer
      - .offset:         56
        .size:           4
        .value_kind:     by_value
      - .offset:         60
        .size:           4
        .value_kind:     by_value
    .group_segment_fixed_size: 65536
    .kernarg_segment_align: 8
    .kernarg_segment_size: 64
    .language:       OpenCL C
    .language_version:
      - 2
      - 0
    .max_flat_workgroup_size: 512
    .name:           _Z12wvSplitK_hf_I14__hip_bfloat16Li32ELi2ELi16ELi8ELi2ELi5EEviiiiiiPKT_S3_S3_PS1_ii
    .private_segment_fixed_size: 0
    .sgpr_count:     53
    .sgpr_spill_count: 0
    .symbol:         _Z12wvSplitK_hf_I14__hip_bfloat16Li32ELi2ELi16ELi8ELi2ELi5EEviiiiiiPKT_S3_S3_PS1_ii.kd
    .uniform_work_group_size: 1
    .uses_dynamic_stack: false
    .vgpr_count:     123
    .vgpr_spill_count: 0
    .wavefront_size: 64
  - .agpr_count:     0
    .args:
      - .offset:         0
        .size:           4
        .value_kind:     by_value
      - .offset:         4
        .size:           4
        .value_kind:     by_value
      - .offset:         8
        .size:           4
        .value_kind:     by_value
      - .offset:         12
        .size:           4
        .value_kind:     by_value
      - .offset:         16
        .size:           4
        .value_kind:     by_value
      - .offset:         20
        .size:           4
        .value_kind:     by_value
      - .address_space:  global
        .offset:         24
        .size:           8
        .value_kind:     global_buffer
      - .actual_access:  read_only
        .address_space:  global
        .offset:         32
        .size:           8
        .value_kind:     global_buffer
      - .actual_access:  read_only
        .address_space:  global
        .offset:         40
        .size:           8
        .value_kind:     global_buffer
      - .address_space:  global
        .offset:         48
        .size:           8
        .value_kind:     global_buffer
      - .offset:         56
        .size:           4
        .value_kind:     by_value
      - .offset:         60
        .size:           4
        .value_kind:     by_value
    .group_segment_fixed_size: 65536
    .kernarg_segment_align: 8
    .kernarg_segment_size: 64
    .language:       OpenCL C
    .language_version:
      - 2
      - 0
    .max_flat_workgroup_size: 512
    .name:           _Z16wvSplitK_hf_big_I14__hip_bfloat16Li32ELi2ELi16ELi8ELi2ELi5EEviiiiiiPKT_S3_S3_PS1_ii
    .private_segment_fixed_size: 0
    .sgpr_count:     64
    .sgpr_spill_count: 0
    .symbol:         _Z16wvSplitK_hf_big_I14__hip_bfloat16Li32ELi2ELi16ELi8ELi2ELi5EEviiiiiiPKT_S3_S3_PS1_ii.kd
    .uniform_work_group_size: 1
    .uses_dynamic_stack: false
    .vgpr_count:     118
    .vgpr_spill_count: 0
    .wavefront_size: 64
  - .agpr_count:     0
    .args:
      - .offset:         0
        .size:           4
        .value_kind:     by_value
      - .offset:         4
        .size:           4
        .value_kind:     by_value
      - .offset:         8
        .size:           4
        .value_kind:     by_value
      - .offset:         12
        .size:           4
        .value_kind:     by_value
      - .offset:         16
        .size:           4
        .value_kind:     by_value
      - .offset:         20
        .size:           4
        .value_kind:     by_value
      - .address_space:  global
        .offset:         24
        .size:           8
        .value_kind:     global_buffer
      - .actual_access:  read_only
        .address_space:  global
        .offset:         32
        .size:           8
        .value_kind:     global_buffer
      - .actual_access:  read_only
        .address_space:  global
        .offset:         40
        .size:           8
        .value_kind:     global_buffer
      - .address_space:  global
        .offset:         48
        .size:           8
        .value_kind:     global_buffer
      - .offset:         56
        .size:           4
        .value_kind:     by_value
      - .offset:         60
        .size:           4
        .value_kind:     by_value
    .group_segment_fixed_size: 65536
    .kernarg_segment_align: 8
    .kernarg_segment_size: 64
    .language:       OpenCL C
    .language_version:
      - 2
      - 0
    .max_flat_workgroup_size: 512
    .name:           _Z16wvSplitK_hf_sml_I14__hip_bfloat16Li32ELi3ELi16ELi8ELi2ELi5EEviiiiiiPKT_S3_S3_PS1_ii
    .private_segment_fixed_size: 0
    .sgpr_count:     43
    .sgpr_spill_count: 0
    .symbol:         _Z16wvSplitK_hf_sml_I14__hip_bfloat16Li32ELi3ELi16ELi8ELi2ELi5EEviiiiiiPKT_S3_S3_PS1_ii.kd
    .uniform_work_group_size: 1
    .uses_dynamic_stack: false
    .vgpr_count:     142
    .vgpr_spill_count: 0
    .wavefront_size: 64
  - .agpr_count:     0
    .args:
      - .offset:         0
        .size:           4
        .value_kind:     by_value
      - .offset:         4
        .size:           4
        .value_kind:     by_value
      - .offset:         8
        .size:           4
        .value_kind:     by_value
      - .offset:         12
        .size:           4
        .value_kind:     by_value
      - .offset:         16
        .size:           4
        .value_kind:     by_value
      - .offset:         20
        .size:           4
        .value_kind:     by_value
      - .address_space:  global
        .offset:         24
        .size:           8
        .value_kind:     global_buffer
      - .actual_access:  read_only
        .address_space:  global
        .offset:         32
        .size:           8
        .value_kind:     global_buffer
      - .actual_access:  read_only
        .address_space:  global
        .offset:         40
        .size:           8
        .value_kind:     global_buffer
      - .address_space:  global
        .offset:         48
        .size:           8
        .value_kind:     global_buffer
      - .offset:         56
        .size:           4
        .value_kind:     by_value
      - .offset:         60
        .size:           4
        .value_kind:     by_value
    .group_segment_fixed_size: 65536
    .kernarg_segment_align: 8
    .kernarg_segment_size: 64
    .language:       OpenCL C
    .language_version:
      - 2
      - 0
    .max_flat_workgroup_size: 512
    .name:           _Z12wvSplitK_hf_I14__hip_bfloat16Li32ELi3ELi16ELi8ELi2ELi5EEviiiiiiPKT_S3_S3_PS1_ii
    .private_segment_fixed_size: 0
    .sgpr_count:     55
    .sgpr_spill_count: 0
    .symbol:         _Z12wvSplitK_hf_I14__hip_bfloat16Li32ELi3ELi16ELi8ELi2ELi5EEviiiiiiPKT_S3_S3_PS1_ii.kd
    .uniform_work_group_size: 1
    .uses_dynamic_stack: false
    .vgpr_count:     156
    .vgpr_spill_count: 0
    .wavefront_size: 64
  - .agpr_count:     0
    .args:
      - .offset:         0
        .size:           4
        .value_kind:     by_value
      - .offset:         4
        .size:           4
        .value_kind:     by_value
      - .offset:         8
        .size:           4
        .value_kind:     by_value
      - .offset:         12
        .size:           4
        .value_kind:     by_value
      - .offset:         16
        .size:           4
        .value_kind:     by_value
      - .offset:         20
        .size:           4
        .value_kind:     by_value
      - .address_space:  global
        .offset:         24
        .size:           8
        .value_kind:     global_buffer
      - .actual_access:  read_only
        .address_space:  global
        .offset:         32
        .size:           8
        .value_kind:     global_buffer
      - .actual_access:  read_only
        .address_space:  global
        .offset:         40
        .size:           8
        .value_kind:     global_buffer
      - .address_space:  global
        .offset:         48
        .size:           8
        .value_kind:     global_buffer
      - .offset:         56
        .size:           4
        .value_kind:     by_value
      - .offset:         60
        .size:           4
        .value_kind:     by_value
    .group_segment_fixed_size: 65536
    .kernarg_segment_align: 8
    .kernarg_segment_size: 64
    .language:       OpenCL C
    .language_version:
      - 2
      - 0
    .max_flat_workgroup_size: 512
    .name:           _Z16wvSplitK_hf_big_I14__hip_bfloat16Li32ELi3ELi16ELi8ELi2ELi5EEviiiiiiPKT_S3_S3_PS1_ii
    .private_segment_fixed_size: 0
    .sgpr_count:     64
    .sgpr_spill_count: 0
    .symbol:         _Z16wvSplitK_hf_big_I14__hip_bfloat16Li32ELi3ELi16ELi8ELi2ELi5EEviiiiiiPKT_S3_S3_PS1_ii.kd
    .uniform_work_group_size: 1
    .uses_dynamic_stack: false
    .vgpr_count:     149
    .vgpr_spill_count: 0
    .wavefront_size: 64
  - .agpr_count:     0
    .args:
      - .offset:         0
        .size:           4
        .value_kind:     by_value
      - .offset:         4
        .size:           4
        .value_kind:     by_value
      - .offset:         8
        .size:           4
        .value_kind:     by_value
      - .offset:         12
        .size:           4
        .value_kind:     by_value
      - .offset:         16
        .size:           4
        .value_kind:     by_value
      - .offset:         20
        .size:           4
        .value_kind:     by_value
      - .address_space:  global
        .offset:         24
        .size:           8
        .value_kind:     global_buffer
      - .actual_access:  read_only
        .address_space:  global
        .offset:         32
        .size:           8
        .value_kind:     global_buffer
      - .actual_access:  read_only
        .address_space:  global
        .offset:         40
        .size:           8
        .value_kind:     global_buffer
      - .address_space:  global
        .offset:         48
        .size:           8
        .value_kind:     global_buffer
      - .offset:         56
        .size:           4
        .value_kind:     by_value
      - .offset:         60
        .size:           4
        .value_kind:     by_value
    .group_segment_fixed_size: 65536
    .kernarg_segment_align: 8
    .kernarg_segment_size: 64
    .language:       OpenCL C
    .language_version:
      - 2
      - 0
    .max_flat_workgroup_size: 512
    .name:           _Z16wvSplitK_hf_sml_I14__hip_bfloat16Li32ELi4ELi16ELi8ELi1ELi5EEviiiiiiPKT_S3_S3_PS1_ii
    .private_segment_fixed_size: 0
    .sgpr_count:     42
    .sgpr_spill_count: 0
    .symbol:         _Z16wvSplitK_hf_sml_I14__hip_bfloat16Li32ELi4ELi16ELi8ELi1ELi5EEviiiiiiPKT_S3_S3_PS1_ii.kd
    .uniform_work_group_size: 1
    .uses_dynamic_stack: false
    .vgpr_count:     131
    .vgpr_spill_count: 0
    .wavefront_size: 64
  - .agpr_count:     0
    .args:
      - .offset:         0
        .size:           4
        .value_kind:     by_value
      - .offset:         4
        .size:           4
        .value_kind:     by_value
      - .offset:         8
        .size:           4
        .value_kind:     by_value
      - .offset:         12
        .size:           4
        .value_kind:     by_value
      - .offset:         16
        .size:           4
        .value_kind:     by_value
      - .offset:         20
        .size:           4
        .value_kind:     by_value
      - .address_space:  global
        .offset:         24
        .size:           8
        .value_kind:     global_buffer
      - .actual_access:  read_only
        .address_space:  global
        .offset:         32
        .size:           8
        .value_kind:     global_buffer
      - .actual_access:  read_only
        .address_space:  global
        .offset:         40
        .size:           8
        .value_kind:     global_buffer
      - .address_space:  global
        .offset:         48
        .size:           8
        .value_kind:     global_buffer
      - .offset:         56
        .size:           4
        .value_kind:     by_value
      - .offset:         60
        .size:           4
        .value_kind:     by_value
    .group_segment_fixed_size: 65536
    .kernarg_segment_align: 8
    .kernarg_segment_size: 64
    .language:       OpenCL C
    .language_version:
      - 2
      - 0
    .max_flat_workgroup_size: 512
    .name:           _Z12wvSplitK_hf_I14__hip_bfloat16Li32ELi4ELi16ELi8ELi1ELi5EEviiiiiiPKT_S3_S3_PS1_ii
    .private_segment_fixed_size: 0
    .sgpr_count:     55
    .sgpr_spill_count: 0
    .symbol:         _Z12wvSplitK_hf_I14__hip_bfloat16Li32ELi4ELi16ELi8ELi1ELi5EEviiiiiiPKT_S3_S3_PS1_ii.kd
    .uniform_work_group_size: 1
    .uses_dynamic_stack: false
    .vgpr_count:     147
    .vgpr_spill_count: 0
    .wavefront_size: 64
  - .agpr_count:     0
    .args:
      - .offset:         0
        .size:           4
        .value_kind:     by_value
      - .offset:         4
        .size:           4
        .value_kind:     by_value
      - .offset:         8
        .size:           4
        .value_kind:     by_value
      - .offset:         12
        .size:           4
        .value_kind:     by_value
      - .offset:         16
        .size:           4
        .value_kind:     by_value
      - .offset:         20
        .size:           4
        .value_kind:     by_value
      - .address_space:  global
        .offset:         24
        .size:           8
        .value_kind:     global_buffer
      - .actual_access:  read_only
        .address_space:  global
        .offset:         32
        .size:           8
        .value_kind:     global_buffer
      - .actual_access:  read_only
        .address_space:  global
        .offset:         40
        .size:           8
        .value_kind:     global_buffer
      - .address_space:  global
        .offset:         48
        .size:           8
        .value_kind:     global_buffer
      - .offset:         56
        .size:           4
        .value_kind:     by_value
      - .offset:         60
        .size:           4
        .value_kind:     by_value
    .group_segment_fixed_size: 65536
    .kernarg_segment_align: 8
    .kernarg_segment_size: 64
    .language:       OpenCL C
    .language_version:
      - 2
      - 0
    .max_flat_workgroup_size: 512
    .name:           _Z16wvSplitK_hf_big_I14__hip_bfloat16Li32ELi4ELi16ELi8ELi1ELi5EEviiiiiiPKT_S3_S3_PS1_ii
    .private_segment_fixed_size: 0
    .sgpr_count:     66
    .sgpr_spill_count: 0
    .symbol:         _Z16wvSplitK_hf_big_I14__hip_bfloat16Li32ELi4ELi16ELi8ELi1ELi5EEviiiiiiPKT_S3_S3_PS1_ii.kd
    .uniform_work_group_size: 1
    .uses_dynamic_stack: false
    .vgpr_count:     140
    .vgpr_spill_count: 0
    .wavefront_size: 64
  - .agpr_count:     0
    .args:
      - .offset:         0
        .size:           4
        .value_kind:     by_value
      - .offset:         4
        .size:           4
        .value_kind:     by_value
      - .offset:         8
        .size:           4
        .value_kind:     by_value
      - .offset:         12
        .size:           4
        .value_kind:     by_value
      - .offset:         16
        .size:           4
        .value_kind:     by_value
      - .offset:         20
        .size:           4
        .value_kind:     by_value
      - .address_space:  global
        .offset:         24
        .size:           8
        .value_kind:     global_buffer
      - .actual_access:  read_only
        .address_space:  global
        .offset:         32
        .size:           8
        .value_kind:     global_buffer
      - .actual_access:  read_only
        .address_space:  global
        .offset:         40
        .size:           8
        .value_kind:     global_buffer
      - .address_space:  global
        .offset:         48
        .size:           8
        .value_kind:     global_buffer
      - .offset:         56
        .size:           4
        .value_kind:     by_value
      - .offset:         60
        .size:           4
        .value_kind:     by_value
    .group_segment_fixed_size: 65536
    .kernarg_segment_align: 8
    .kernarg_segment_size: 64
    .language:       OpenCL C
    .language_version:
      - 2
      - 0
    .max_flat_workgroup_size: 512
    .name:           _Z16wvSplitK_hf_sml_I14__hip_bfloat16Li32ELi4ELi16ELi8ELi2ELi5EEviiiiiiPKT_S3_S3_PS1_ii
    .private_segment_fixed_size: 0
    .sgpr_count:     43
    .sgpr_spill_count: 0
    .symbol:         _Z16wvSplitK_hf_sml_I14__hip_bfloat16Li32ELi4ELi16ELi8ELi2ELi5EEviiiiiiPKT_S3_S3_PS1_ii.kd
    .uniform_work_group_size: 1
    .uses_dynamic_stack: false
    .vgpr_count:     171
    .vgpr_spill_count: 0
    .wavefront_size: 64
  - .agpr_count:     0
    .args:
      - .offset:         0
        .size:           4
        .value_kind:     by_value
      - .offset:         4
        .size:           4
        .value_kind:     by_value
      - .offset:         8
        .size:           4
        .value_kind:     by_value
      - .offset:         12
        .size:           4
        .value_kind:     by_value
      - .offset:         16
        .size:           4
        .value_kind:     by_value
      - .offset:         20
        .size:           4
        .value_kind:     by_value
      - .address_space:  global
        .offset:         24
        .size:           8
        .value_kind:     global_buffer
      - .actual_access:  read_only
        .address_space:  global
        .offset:         32
        .size:           8
        .value_kind:     global_buffer
      - .actual_access:  read_only
        .address_space:  global
        .offset:         40
        .size:           8
        .value_kind:     global_buffer
      - .address_space:  global
        .offset:         48
        .size:           8
        .value_kind:     global_buffer
      - .offset:         56
        .size:           4
        .value_kind:     by_value
      - .offset:         60
        .size:           4
        .value_kind:     by_value
    .group_segment_fixed_size: 65536
    .kernarg_segment_align: 8
    .kernarg_segment_size: 64
    .language:       OpenCL C
    .language_version:
      - 2
      - 0
    .max_flat_workgroup_size: 512
    .name:           _Z12wvSplitK_hf_I14__hip_bfloat16Li32ELi4ELi16ELi8ELi2ELi5EEviiiiiiPKT_S3_S3_PS1_ii
    .private_segment_fixed_size: 0
    .sgpr_count:     57
    .sgpr_spill_count: 0
    .symbol:         _Z12wvSplitK_hf_I14__hip_bfloat16Li32ELi4ELi16ELi8ELi2ELi5EEviiiiiiPKT_S3_S3_PS1_ii.kd
    .uniform_work_group_size: 1
    .uses_dynamic_stack: false
    .vgpr_count:     189
    .vgpr_spill_count: 0
    .wavefront_size: 64
  - .agpr_count:     0
    .args:
      - .offset:         0
        .size:           4
        .value_kind:     by_value
      - .offset:         4
        .size:           4
        .value_kind:     by_value
      - .offset:         8
        .size:           4
        .value_kind:     by_value
      - .offset:         12
        .size:           4
        .value_kind:     by_value
      - .offset:         16
        .size:           4
        .value_kind:     by_value
      - .offset:         20
        .size:           4
        .value_kind:     by_value
      - .address_space:  global
        .offset:         24
        .size:           8
        .value_kind:     global_buffer
      - .actual_access:  read_only
        .address_space:  global
        .offset:         32
        .size:           8
        .value_kind:     global_buffer
      - .actual_access:  read_only
        .address_space:  global
        .offset:         40
        .size:           8
        .value_kind:     global_buffer
      - .address_space:  global
        .offset:         48
        .size:           8
        .value_kind:     global_buffer
      - .offset:         56
        .size:           4
        .value_kind:     by_value
      - .offset:         60
        .size:           4
        .value_kind:     by_value
    .group_segment_fixed_size: 65536
    .kernarg_segment_align: 8
    .kernarg_segment_size: 64
    .language:       OpenCL C
    .language_version:
      - 2
      - 0
    .max_flat_workgroup_size: 512
    .name:           _Z16wvSplitK_hf_big_I14__hip_bfloat16Li32ELi4ELi16ELi8ELi2ELi5EEviiiiiiPKT_S3_S3_PS1_ii
    .private_segment_fixed_size: 0
    .sgpr_count:     66
    .sgpr_spill_count: 0
    .symbol:         _Z16wvSplitK_hf_big_I14__hip_bfloat16Li32ELi4ELi16ELi8ELi2ELi5EEviiiiiiPKT_S3_S3_PS1_ii.kd
    .uniform_work_group_size: 1
    .uses_dynamic_stack: false
    .vgpr_count:     180
    .vgpr_spill_count: 0
    .wavefront_size: 64
  - .agpr_count:     0
    .args:
      - .offset:         0
        .size:           4
        .value_kind:     by_value
      - .offset:         4
        .size:           4
        .value_kind:     by_value
      - .offset:         8
        .size:           4
        .value_kind:     by_value
      - .offset:         12
        .size:           4
        .value_kind:     by_value
      - .offset:         16
        .size:           4
        .value_kind:     by_value
      - .offset:         20
        .size:           4
        .value_kind:     by_value
      - .address_space:  global
        .offset:         24
        .size:           8
        .value_kind:     global_buffer
      - .actual_access:  read_only
        .address_space:  global
        .offset:         32
        .size:           8
        .value_kind:     global_buffer
      - .actual_access:  read_only
        .address_space:  global
        .offset:         40
        .size:           8
        .value_kind:     global_buffer
      - .address_space:  global
        .offset:         48
        .size:           8
        .value_kind:     global_buffer
      - .offset:         56
        .size:           4
        .value_kind:     by_value
      - .offset:         60
        .size:           4
        .value_kind:     by_value
    .group_segment_fixed_size: 65536
    .kernarg_segment_align: 8
    .kernarg_segment_size: 64
    .language:       OpenCL C
    .language_version:
      - 2
      - 0
    .max_flat_workgroup_size: 1024
    .name:           _Z16wvSplitK_hf_sml_I14__hip_bfloat16Li64ELi1ELi16ELi8ELi4ELi5EEviiiiiiPKT_S3_S3_PS1_ii
    .private_segment_fixed_size: 20
    .sgpr_count:     47
    .sgpr_spill_count: 0
    .symbol:         _Z16wvSplitK_hf_sml_I14__hip_bfloat16Li64ELi1ELi16ELi8ELi4ELi5EEviiiiiiPKT_S3_S3_PS1_ii.kd
    .uniform_work_group_size: 1
    .uses_dynamic_stack: false
    .vgpr_count:     128
    .vgpr_spill_count: 4
    .wavefront_size: 64
  - .agpr_count:     0
    .args:
      - .offset:         0
        .size:           4
        .value_kind:     by_value
      - .offset:         4
        .size:           4
        .value_kind:     by_value
      - .offset:         8
        .size:           4
        .value_kind:     by_value
      - .offset:         12
        .size:           4
        .value_kind:     by_value
      - .offset:         16
        .size:           4
        .value_kind:     by_value
      - .offset:         20
        .size:           4
        .value_kind:     by_value
      - .address_space:  global
        .offset:         24
        .size:           8
        .value_kind:     global_buffer
      - .actual_access:  read_only
        .address_space:  global
        .offset:         32
        .size:           8
        .value_kind:     global_buffer
      - .actual_access:  read_only
        .address_space:  global
        .offset:         40
        .size:           8
        .value_kind:     global_buffer
      - .address_space:  global
        .offset:         48
        .size:           8
        .value_kind:     global_buffer
      - .offset:         56
        .size:           4
        .value_kind:     by_value
      - .offset:         60
        .size:           4
        .value_kind:     by_value
    .group_segment_fixed_size: 65536
    .kernarg_segment_align: 8
    .kernarg_segment_size: 64
    .language:       OpenCL C
    .language_version:
      - 2
      - 0
    .max_flat_workgroup_size: 1024
    .name:           _Z12wvSplitK_hf_I14__hip_bfloat16Li64ELi1ELi16ELi8ELi4ELi5EEviiiiiiPKT_S3_S3_PS1_ii
    .private_segment_fixed_size: 76
    .sgpr_count:     56
    .sgpr_spill_count: 0
    .symbol:         _Z12wvSplitK_hf_I14__hip_bfloat16Li64ELi1ELi16ELi8ELi4ELi5EEviiiiiiPKT_S3_S3_PS1_ii.kd
    .uniform_work_group_size: 1
    .uses_dynamic_stack: false
    .vgpr_count:     128
    .vgpr_spill_count: 26
    .wavefront_size: 64
  - .agpr_count:     0
    .args:
      - .offset:         0
        .size:           4
        .value_kind:     by_value
      - .offset:         4
        .size:           4
        .value_kind:     by_value
      - .offset:         8
        .size:           4
        .value_kind:     by_value
      - .offset:         12
        .size:           4
        .value_kind:     by_value
      - .offset:         16
        .size:           4
        .value_kind:     by_value
      - .offset:         20
        .size:           4
        .value_kind:     by_value
      - .address_space:  global
        .offset:         24
        .size:           8
        .value_kind:     global_buffer
      - .actual_access:  read_only
        .address_space:  global
        .offset:         32
        .size:           8
        .value_kind:     global_buffer
      - .actual_access:  read_only
        .address_space:  global
        .offset:         40
        .size:           8
        .value_kind:     global_buffer
      - .address_space:  global
        .offset:         48
        .size:           8
        .value_kind:     global_buffer
      - .offset:         56
        .size:           4
        .value_kind:     by_value
      - .offset:         60
        .size:           4
        .value_kind:     by_value
    .group_segment_fixed_size: 65536
    .kernarg_segment_align: 8
    .kernarg_segment_size: 64
    .language:       OpenCL C
    .language_version:
      - 2
      - 0
    .max_flat_workgroup_size: 1024
    .name:           _Z16wvSplitK_hf_big_I14__hip_bfloat16Li64ELi1ELi16ELi8ELi4ELi5EEviiiiiiPKT_S3_S3_PS1_ii
    .private_segment_fixed_size: 48
    .sgpr_count:     62
    .sgpr_spill_count: 0
    .symbol:         _Z16wvSplitK_hf_big_I14__hip_bfloat16Li64ELi1ELi16ELi8ELi4ELi5EEviiiiiiPKT_S3_S3_PS1_ii.kd
    .uniform_work_group_size: 1
    .uses_dynamic_stack: false
    .vgpr_count:     128
    .vgpr_spill_count: 13
    .wavefront_size: 64
  - .agpr_count:     0
    .args:
      - .offset:         0
        .size:           4
        .value_kind:     by_value
      - .offset:         4
        .size:           4
        .value_kind:     by_value
      - .offset:         8
        .size:           4
        .value_kind:     by_value
      - .offset:         12
        .size:           4
        .value_kind:     by_value
      - .offset:         16
        .size:           4
        .value_kind:     by_value
      - .offset:         20
        .size:           4
        .value_kind:     by_value
      - .address_space:  global
        .offset:         24
        .size:           8
        .value_kind:     global_buffer
      - .actual_access:  read_only
        .address_space:  global
        .offset:         32
        .size:           8
        .value_kind:     global_buffer
      - .actual_access:  read_only
        .address_space:  global
        .offset:         40
        .size:           8
        .value_kind:     global_buffer
      - .address_space:  global
        .offset:         48
        .size:           8
        .value_kind:     global_buffer
      - .offset:         56
        .size:           4
        .value_kind:     by_value
      - .offset:         60
        .size:           4
        .value_kind:     by_value
    .group_segment_fixed_size: 65536
    .kernarg_segment_align: 8
    .kernarg_segment_size: 64
    .language:       OpenCL C
    .language_version:
      - 2
      - 0
    .max_flat_workgroup_size: 1024
    .name:           _Z16wvSplitK_hf_sml_I14__hip_bfloat16Li64ELi2ELi16ELi8ELi2ELi5EEviiiiiiPKT_S3_S3_PS1_ii
    .private_segment_fixed_size: 0
    .sgpr_count:     43
    .sgpr_spill_count: 0
    .symbol:         _Z16wvSplitK_hf_sml_I14__hip_bfloat16Li64ELi2ELi16ELi8ELi2ELi5EEviiiiiiPKT_S3_S3_PS1_ii.kd
    .uniform_work_group_size: 1
    .uses_dynamic_stack: false
    .vgpr_count:     111
    .vgpr_spill_count: 0
    .wavefront_size: 64
  - .agpr_count:     0
    .args:
      - .offset:         0
        .size:           4
        .value_kind:     by_value
      - .offset:         4
        .size:           4
        .value_kind:     by_value
      - .offset:         8
        .size:           4
        .value_kind:     by_value
      - .offset:         12
        .size:           4
        .value_kind:     by_value
      - .offset:         16
        .size:           4
        .value_kind:     by_value
      - .offset:         20
        .size:           4
        .value_kind:     by_value
      - .address_space:  global
        .offset:         24
        .size:           8
        .value_kind:     global_buffer
      - .actual_access:  read_only
        .address_space:  global
        .offset:         32
        .size:           8
        .value_kind:     global_buffer
      - .actual_access:  read_only
        .address_space:  global
        .offset:         40
        .size:           8
        .value_kind:     global_buffer
      - .address_space:  global
        .offset:         48
        .size:           8
        .value_kind:     global_buffer
      - .offset:         56
        .size:           4
        .value_kind:     by_value
      - .offset:         60
        .size:           4
        .value_kind:     by_value
    .group_segment_fixed_size: 65536
    .kernarg_segment_align: 8
    .kernarg_segment_size: 64
    .language:       OpenCL C
    .language_version:
      - 2
      - 0
    .max_flat_workgroup_size: 1024
    .name:           _Z12wvSplitK_hf_I14__hip_bfloat16Li64ELi2ELi16ELi8ELi2ELi5EEviiiiiiPKT_S3_S3_PS1_ii
    .private_segment_fixed_size: 0
    .sgpr_count:     53
    .sgpr_spill_count: 0
    .symbol:         _Z12wvSplitK_hf_I14__hip_bfloat16Li64ELi2ELi16ELi8ELi2ELi5EEviiiiiiPKT_S3_S3_PS1_ii.kd
    .uniform_work_group_size: 1
    .uses_dynamic_stack: false
    .vgpr_count:     123
    .vgpr_spill_count: 0
    .wavefront_size: 64
  - .agpr_count:     0
    .args:
      - .offset:         0
        .size:           4
        .value_kind:     by_value
      - .offset:         4
        .size:           4
        .value_kind:     by_value
      - .offset:         8
        .size:           4
        .value_kind:     by_value
      - .offset:         12
        .size:           4
        .value_kind:     by_value
      - .offset:         16
        .size:           4
        .value_kind:     by_value
      - .offset:         20
        .size:           4
        .value_kind:     by_value
      - .address_space:  global
        .offset:         24
        .size:           8
        .value_kind:     global_buffer
      - .actual_access:  read_only
        .address_space:  global
        .offset:         32
        .size:           8
        .value_kind:     global_buffer
      - .actual_access:  read_only
        .address_space:  global
        .offset:         40
        .size:           8
        .value_kind:     global_buffer
      - .address_space:  global
        .offset:         48
        .size:           8
        .value_kind:     global_buffer
      - .offset:         56
        .size:           4
        .value_kind:     by_value
      - .offset:         60
        .size:           4
        .value_kind:     by_value
    .group_segment_fixed_size: 65536
    .kernarg_segment_align: 8
    .kernarg_segment_size: 64
    .language:       OpenCL C
    .language_version:
      - 2
      - 0
    .max_flat_workgroup_size: 1024
    .name:           _Z16wvSplitK_hf_big_I14__hip_bfloat16Li64ELi2ELi16ELi8ELi2ELi5EEviiiiiiPKT_S3_S3_PS1_ii
    .private_segment_fixed_size: 0
    .sgpr_count:     64
    .sgpr_spill_count: 0
    .symbol:         _Z16wvSplitK_hf_big_I14__hip_bfloat16Li64ELi2ELi16ELi8ELi2ELi5EEviiiiiiPKT_S3_S3_PS1_ii.kd
    .uniform_work_group_size: 1
    .uses_dynamic_stack: false
    .vgpr_count:     118
    .vgpr_spill_count: 0
    .wavefront_size: 64
  - .agpr_count:     0
    .args:
      - .offset:         0
        .size:           4
        .value_kind:     by_value
      - .offset:         4
        .size:           4
        .value_kind:     by_value
      - .offset:         8
        .size:           4
        .value_kind:     by_value
      - .offset:         12
        .size:           4
        .value_kind:     by_value
      - .offset:         16
        .size:           4
        .value_kind:     by_value
      - .offset:         20
        .size:           4
        .value_kind:     by_value
      - .address_space:  global
        .offset:         24
        .size:           8
        .value_kind:     global_buffer
      - .actual_access:  read_only
        .address_space:  global
        .offset:         32
        .size:           8
        .value_kind:     global_buffer
      - .actual_access:  read_only
        .address_space:  global
        .offset:         40
        .size:           8
        .value_kind:     global_buffer
      - .address_space:  global
        .offset:         48
        .size:           8
        .value_kind:     global_buffer
      - .offset:         56
        .size:           4
        .value_kind:     by_value
      - .offset:         60
        .size:           4
        .value_kind:     by_value
    .group_segment_fixed_size: 65536
    .kernarg_segment_align: 8
    .kernarg_segment_size: 64
    .language:       OpenCL C
    .language_version:
      - 2
      - 0
    .max_flat_workgroup_size: 1024
    .name:           _Z16wvSplitK_hf_sml_I14__hip_bfloat16Li64ELi3ELi16ELi8ELi2ELi5EEviiiiiiPKT_S3_S3_PS1_ii
    .private_segment_fixed_size: 72
    .sgpr_count:     43
    .sgpr_spill_count: 0
    .symbol:         _Z16wvSplitK_hf_sml_I14__hip_bfloat16Li64ELi3ELi16ELi8ELi2ELi5EEviiiiiiPKT_S3_S3_PS1_ii.kd
    .uniform_work_group_size: 1
    .uses_dynamic_stack: false
    .vgpr_count:     128
    .vgpr_spill_count: 21
    .wavefront_size: 64
  - .agpr_count:     0
    .args:
      - .offset:         0
        .size:           4
        .value_kind:     by_value
      - .offset:         4
        .size:           4
        .value_kind:     by_value
      - .offset:         8
        .size:           4
        .value_kind:     by_value
      - .offset:         12
        .size:           4
        .value_kind:     by_value
      - .offset:         16
        .size:           4
        .value_kind:     by_value
      - .offset:         20
        .size:           4
        .value_kind:     by_value
      - .address_space:  global
        .offset:         24
        .size:           8
        .value_kind:     global_buffer
      - .actual_access:  read_only
        .address_space:  global
        .offset:         32
        .size:           8
        .value_kind:     global_buffer
      - .actual_access:  read_only
        .address_space:  global
        .offset:         40
        .size:           8
        .value_kind:     global_buffer
      - .address_space:  global
        .offset:         48
        .size:           8
        .value_kind:     global_buffer
      - .offset:         56
        .size:           4
        .value_kind:     by_value
      - .offset:         60
        .size:           4
        .value_kind:     by_value
    .group_segment_fixed_size: 65536
    .kernarg_segment_align: 8
    .kernarg_segment_size: 64
    .language:       OpenCL C
    .language_version:
      - 2
      - 0
    .max_flat_workgroup_size: 1024
    .name:           _Z12wvSplitK_hf_I14__hip_bfloat16Li64ELi3ELi16ELi8ELi2ELi5EEviiiiiiPKT_S3_S3_PS1_ii
    .private_segment_fixed_size: 120
    .sgpr_count:     55
    .sgpr_spill_count: 0
    .symbol:         _Z12wvSplitK_hf_I14__hip_bfloat16Li64ELi3ELi16ELi8ELi2ELi5EEviiiiiiPKT_S3_S3_PS1_ii.kd
    .uniform_work_group_size: 1
    .uses_dynamic_stack: false
    .vgpr_count:     128
    .vgpr_spill_count: 37
    .wavefront_size: 64
  - .agpr_count:     0
    .args:
      - .offset:         0
        .size:           4
        .value_kind:     by_value
      - .offset:         4
        .size:           4
        .value_kind:     by_value
      - .offset:         8
        .size:           4
        .value_kind:     by_value
      - .offset:         12
        .size:           4
        .value_kind:     by_value
      - .offset:         16
        .size:           4
        .value_kind:     by_value
      - .offset:         20
        .size:           4
        .value_kind:     by_value
      - .address_space:  global
        .offset:         24
        .size:           8
        .value_kind:     global_buffer
      - .actual_access:  read_only
        .address_space:  global
        .offset:         32
        .size:           8
        .value_kind:     global_buffer
      - .actual_access:  read_only
        .address_space:  global
        .offset:         40
        .size:           8
        .value_kind:     global_buffer
      - .address_space:  global
        .offset:         48
        .size:           8
        .value_kind:     global_buffer
      - .offset:         56
        .size:           4
        .value_kind:     by_value
      - .offset:         60
        .size:           4
        .value_kind:     by_value
    .group_segment_fixed_size: 65536
    .kernarg_segment_align: 8
    .kernarg_segment_size: 64
    .language:       OpenCL C
    .language_version:
      - 2
      - 0
    .max_flat_workgroup_size: 1024
    .name:           _Z16wvSplitK_hf_big_I14__hip_bfloat16Li64ELi3ELi16ELi8ELi2ELi5EEviiiiiiPKT_S3_S3_PS1_ii
    .private_segment_fixed_size: 100
    .sgpr_count:     64
    .sgpr_spill_count: 0
    .symbol:         _Z16wvSplitK_hf_big_I14__hip_bfloat16Li64ELi3ELi16ELi8ELi2ELi5EEviiiiiiPKT_S3_S3_PS1_ii.kd
    .uniform_work_group_size: 1
    .uses_dynamic_stack: false
    .vgpr_count:     128
    .vgpr_spill_count: 28
    .wavefront_size: 64
  - .agpr_count:     0
    .args:
      - .offset:         0
        .size:           4
        .value_kind:     by_value
      - .offset:         4
        .size:           4
        .value_kind:     by_value
      - .offset:         8
        .size:           4
        .value_kind:     by_value
      - .offset:         12
        .size:           4
        .value_kind:     by_value
      - .offset:         16
        .size:           4
        .value_kind:     by_value
      - .offset:         20
        .size:           4
        .value_kind:     by_value
      - .address_space:  global
        .offset:         24
        .size:           8
        .value_kind:     global_buffer
      - .actual_access:  read_only
        .address_space:  global
        .offset:         32
        .size:           8
        .value_kind:     global_buffer
      - .actual_access:  read_only
        .address_space:  global
        .offset:         40
        .size:           8
        .value_kind:     global_buffer
      - .address_space:  global
        .offset:         48
        .size:           8
        .value_kind:     global_buffer
      - .offset:         56
        .size:           4
        .value_kind:     by_value
      - .offset:         60
        .size:           4
        .value_kind:     by_value
    .group_segment_fixed_size: 65536
    .kernarg_segment_align: 8
    .kernarg_segment_size: 64
    .language:       OpenCL C
    .language_version:
      - 2
      - 0
    .max_flat_workgroup_size: 1024
    .name:           _Z16wvSplitK_hf_sml_I14__hip_bfloat16Li64ELi4ELi16ELi8ELi1ELi5EEviiiiiiPKT_S3_S3_PS1_ii
    .private_segment_fixed_size: 16
    .sgpr_count:     42
    .sgpr_spill_count: 0
    .symbol:         _Z16wvSplitK_hf_sml_I14__hip_bfloat16Li64ELi4ELi16ELi8ELi1ELi5EEviiiiiiPKT_S3_S3_PS1_ii.kd
    .uniform_work_group_size: 1
    .uses_dynamic_stack: false
    .vgpr_count:     128
    .vgpr_spill_count: 3
    .wavefront_size: 64
  - .agpr_count:     0
    .args:
      - .offset:         0
        .size:           4
        .value_kind:     by_value
      - .offset:         4
        .size:           4
        .value_kind:     by_value
      - .offset:         8
        .size:           4
        .value_kind:     by_value
      - .offset:         12
        .size:           4
        .value_kind:     by_value
      - .offset:         16
        .size:           4
        .value_kind:     by_value
      - .offset:         20
        .size:           4
        .value_kind:     by_value
      - .address_space:  global
        .offset:         24
        .size:           8
        .value_kind:     global_buffer
      - .actual_access:  read_only
        .address_space:  global
        .offset:         32
        .size:           8
        .value_kind:     global_buffer
      - .actual_access:  read_only
        .address_space:  global
        .offset:         40
        .size:           8
        .value_kind:     global_buffer
      - .address_space:  global
        .offset:         48
        .size:           8
        .value_kind:     global_buffer
      - .offset:         56
        .size:           4
        .value_kind:     by_value
      - .offset:         60
        .size:           4
        .value_kind:     by_value
    .group_segment_fixed_size: 65536
    .kernarg_segment_align: 8
    .kernarg_segment_size: 64
    .language:       OpenCL C
    .language_version:
      - 2
      - 0
    .max_flat_workgroup_size: 1024
    .name:           _Z12wvSplitK_hf_I14__hip_bfloat16Li64ELi4ELi16ELi8ELi1ELi5EEviiiiiiPKT_S3_S3_PS1_ii
    .private_segment_fixed_size: 88
    .sgpr_count:     55
    .sgpr_spill_count: 0
    .symbol:         _Z12wvSplitK_hf_I14__hip_bfloat16Li64ELi4ELi16ELi8ELi1ELi5EEviiiiiiPKT_S3_S3_PS1_ii.kd
    .uniform_work_group_size: 1
    .uses_dynamic_stack: false
    .vgpr_count:     128
    .vgpr_spill_count: 21
    .wavefront_size: 64
  - .agpr_count:     0
    .args:
      - .offset:         0
        .size:           4
        .value_kind:     by_value
      - .offset:         4
        .size:           4
        .value_kind:     by_value
      - .offset:         8
        .size:           4
        .value_kind:     by_value
      - .offset:         12
        .size:           4
        .value_kind:     by_value
      - .offset:         16
        .size:           4
        .value_kind:     by_value
      - .offset:         20
        .size:           4
        .value_kind:     by_value
      - .address_space:  global
        .offset:         24
        .size:           8
        .value_kind:     global_buffer
      - .actual_access:  read_only
        .address_space:  global
        .offset:         32
        .size:           8
        .value_kind:     global_buffer
      - .actual_access:  read_only
        .address_space:  global
        .offset:         40
        .size:           8
        .value_kind:     global_buffer
      - .address_space:  global
        .offset:         48
        .size:           8
        .value_kind:     global_buffer
      - .offset:         56
        .size:           4
        .value_kind:     by_value
      - .offset:         60
        .size:           4
        .value_kind:     by_value
    .group_segment_fixed_size: 65536
    .kernarg_segment_align: 8
    .kernarg_segment_size: 64
    .language:       OpenCL C
    .language_version:
      - 2
      - 0
    .max_flat_workgroup_size: 1024
    .name:           _Z16wvSplitK_hf_big_I14__hip_bfloat16Li64ELi4ELi16ELi8ELi1ELi5EEviiiiiiPKT_S3_S3_PS1_ii
    .private_segment_fixed_size: 60
    .sgpr_count:     66
    .sgpr_spill_count: 0
    .symbol:         _Z16wvSplitK_hf_big_I14__hip_bfloat16Li64ELi4ELi16ELi8ELi1ELi5EEviiiiiiPKT_S3_S3_PS1_ii.kd
    .uniform_work_group_size: 1
    .uses_dynamic_stack: false
    .vgpr_count:     128
    .vgpr_spill_count: 14
    .wavefront_size: 64
  - .agpr_count:     0
    .args:
      - .offset:         0
        .size:           4
        .value_kind:     by_value
      - .offset:         4
        .size:           4
        .value_kind:     by_value
      - .offset:         8
        .size:           4
        .value_kind:     by_value
      - .offset:         12
        .size:           4
        .value_kind:     by_value
      - .offset:         16
        .size:           4
        .value_kind:     by_value
      - .offset:         20
        .size:           4
        .value_kind:     by_value
      - .address_space:  global
        .offset:         24
        .size:           8
        .value_kind:     global_buffer
      - .actual_access:  read_only
        .address_space:  global
        .offset:         32
        .size:           8
        .value_kind:     global_buffer
      - .actual_access:  read_only
        .address_space:  global
        .offset:         40
        .size:           8
        .value_kind:     global_buffer
      - .address_space:  global
        .offset:         48
        .size:           8
        .value_kind:     global_buffer
      - .offset:         56
        .size:           4
        .value_kind:     by_value
      - .offset:         60
        .size:           4
        .value_kind:     by_value
    .group_segment_fixed_size: 65536
    .kernarg_segment_align: 8
    .kernarg_segment_size: 64
    .language:       OpenCL C
    .language_version:
      - 2
      - 0
    .max_flat_workgroup_size: 1024
    .name:           _Z16wvSplitK_hf_sml_I14__hip_bfloat16Li64ELi4ELi16ELi8ELi2ELi5EEviiiiiiPKT_S3_S3_PS1_ii
    .private_segment_fixed_size: 224
    .sgpr_count:     43
    .sgpr_spill_count: 0
    .symbol:         _Z16wvSplitK_hf_sml_I14__hip_bfloat16Li64ELi4ELi16ELi8ELi2ELi5EEviiiiiiPKT_S3_S3_PS1_ii.kd
    .uniform_work_group_size: 1
    .uses_dynamic_stack: false
    .vgpr_count:     128
    .vgpr_spill_count: 93
    .wavefront_size: 64
  - .agpr_count:     0
    .args:
      - .offset:         0
        .size:           4
        .value_kind:     by_value
      - .offset:         4
        .size:           4
        .value_kind:     by_value
      - .offset:         8
        .size:           4
        .value_kind:     by_value
      - .offset:         12
        .size:           4
        .value_kind:     by_value
      - .offset:         16
        .size:           4
        .value_kind:     by_value
      - .offset:         20
        .size:           4
        .value_kind:     by_value
      - .address_space:  global
        .offset:         24
        .size:           8
        .value_kind:     global_buffer
      - .actual_access:  read_only
        .address_space:  global
        .offset:         32
        .size:           8
        .value_kind:     global_buffer
      - .actual_access:  read_only
        .address_space:  global
        .offset:         40
        .size:           8
        .value_kind:     global_buffer
      - .address_space:  global
        .offset:         48
        .size:           8
        .value_kind:     global_buffer
      - .offset:         56
        .size:           4
        .value_kind:     by_value
      - .offset:         60
        .size:           4
        .value_kind:     by_value
    .group_segment_fixed_size: 65536
    .kernarg_segment_align: 8
    .kernarg_segment_size: 64
    .language:       OpenCL C
    .language_version:
      - 2
      - 0
    .max_flat_workgroup_size: 1024
    .name:           _Z12wvSplitK_hf_I14__hip_bfloat16Li64ELi4ELi16ELi8ELi2ELi5EEviiiiiiPKT_S3_S3_PS1_ii
    .private_segment_fixed_size: 256
    .sgpr_count:     57
    .sgpr_spill_count: 0
    .symbol:         _Z12wvSplitK_hf_I14__hip_bfloat16Li64ELi4ELi16ELi8ELi2ELi5EEviiiiiiPKT_S3_S3_PS1_ii.kd
    .uniform_work_group_size: 1
    .uses_dynamic_stack: false
    .vgpr_count:     128
    .vgpr_spill_count: 99
    .wavefront_size: 64
  - .agpr_count:     0
    .args:
      - .offset:         0
        .size:           4
        .value_kind:     by_value
      - .offset:         4
        .size:           4
        .value_kind:     by_value
      - .offset:         8
        .size:           4
        .value_kind:     by_value
      - .offset:         12
        .size:           4
        .value_kind:     by_value
      - .offset:         16
        .size:           4
        .value_kind:     by_value
      - .offset:         20
        .size:           4
        .value_kind:     by_value
      - .address_space:  global
        .offset:         24
        .size:           8
        .value_kind:     global_buffer
      - .actual_access:  read_only
        .address_space:  global
        .offset:         32
        .size:           8
        .value_kind:     global_buffer
      - .actual_access:  read_only
        .address_space:  global
        .offset:         40
        .size:           8
        .value_kind:     global_buffer
      - .address_space:  global
        .offset:         48
        .size:           8
        .value_kind:     global_buffer
      - .offset:         56
        .size:           4
        .value_kind:     by_value
      - .offset:         60
        .size:           4
        .value_kind:     by_value
    .group_segment_fixed_size: 65536
    .kernarg_segment_align: 8
    .kernarg_segment_size: 64
    .language:       OpenCL C
    .language_version:
      - 2
      - 0
    .max_flat_workgroup_size: 1024
    .name:           _Z16wvSplitK_hf_big_I14__hip_bfloat16Li64ELi4ELi16ELi8ELi2ELi5EEviiiiiiPKT_S3_S3_PS1_ii
    .private_segment_fixed_size: 252
    .sgpr_count:     66
    .sgpr_spill_count: 0
    .symbol:         _Z16wvSplitK_hf_big_I14__hip_bfloat16Li64ELi4ELi16ELi8ELi2ELi5EEviiiiiiPKT_S3_S3_PS1_ii.kd
    .uniform_work_group_size: 1
    .uses_dynamic_stack: false
    .vgpr_count:     128
    .vgpr_spill_count: 94
    .wavefront_size: 64
  - .agpr_count:     0
    .args:
      - .offset:         0
        .size:           4
        .value_kind:     by_value
      - .offset:         4
        .size:           4
        .value_kind:     by_value
      - .offset:         8
        .size:           4
        .value_kind:     by_value
      - .offset:         12
        .size:           4
        .value_kind:     by_value
      - .offset:         16
        .size:           4
        .value_kind:     by_value
      - .offset:         20
        .size:           4
        .value_kind:     by_value
      - .address_space:  global
        .offset:         24
        .size:           8
        .value_kind:     global_buffer
      - .actual_access:  read_only
        .address_space:  global
        .offset:         32
        .size:           8
        .value_kind:     global_buffer
      - .actual_access:  read_only
        .address_space:  global
        .offset:         40
        .size:           8
        .value_kind:     global_buffer
      - .address_space:  global
        .offset:         48
        .size:           8
        .value_kind:     global_buffer
      - .address_space:  global
        .offset:         56
        .size:           8
        .value_kind:     global_buffer
      - .address_space:  global
        .offset:         64
        .size:           8
        .value_kind:     global_buffer
      - .offset:         72
        .size:           4
        .value_kind:     by_value
      - .offset:         80
        .size:           4
        .value_kind:     hidden_block_count_x
      - .offset:         84
        .size:           4
        .value_kind:     hidden_block_count_y
      - .offset:         88
        .size:           4
        .value_kind:     hidden_block_count_z
      - .offset:         92
        .size:           2
        .value_kind:     hidden_group_size_x
      - .offset:         94
        .size:           2
        .value_kind:     hidden_group_size_y
      - .offset:         96
        .size:           2
        .value_kind:     hidden_group_size_z
      - .offset:         98
        .size:           2
        .value_kind:     hidden_remainder_x
      - .offset:         100
        .size:           2
        .value_kind:     hidden_remainder_y
      - .offset:         102
        .size:           2
        .value_kind:     hidden_remainder_z
      - .offset:         120
        .size:           8
        .value_kind:     hidden_global_offset_x
      - .offset:         128
        .size:           8
        .value_kind:     hidden_global_offset_y
      - .offset:         136
        .size:           8
        .value_kind:     hidden_global_offset_z
      - .offset:         144
        .size:           2
        .value_kind:     hidden_grid_dims
      - .offset:         160
        .size:           8
        .value_kind:     hidden_hostcall_buffer
    .group_segment_fixed_size: 0
    .kernarg_segment_align: 8
    .kernarg_segment_size: 336
    .language:       OpenCL C
    .language_version:
      - 2
      - 0
    .max_flat_workgroup_size: 1024
    .name:           _Z11wvSplitKrc_I6__halfLi64ELi16ELi4ELi8ELi1ELi16ELi1ELi1ELi1EEviiiiiiPKT_S3_S3_PfPiPS1_i
    .private_segment_fixed_size: 64
    .sgpr_count:     40
    .sgpr_spill_count: 0
    .symbol:         _Z11wvSplitKrc_I6__halfLi64ELi16ELi4ELi8ELi1ELi16ELi1ELi1ELi1EEviiiiiiPKT_S3_S3_PfPiPS1_i.kd
    .uniform_work_group_size: 1
    .uses_dynamic_stack: false
    .vgpr_count:     40
    .vgpr_spill_count: 0
    .wavefront_size: 64
  - .agpr_count:     0
    .args:
      - .offset:         0
        .size:           4
        .value_kind:     by_value
      - .offset:         4
        .size:           4
        .value_kind:     by_value
      - .offset:         8
        .size:           4
        .value_kind:     by_value
      - .offset:         12
        .size:           4
        .value_kind:     by_value
      - .offset:         16
        .size:           4
        .value_kind:     by_value
      - .offset:         20
        .size:           4
        .value_kind:     by_value
      - .address_space:  global
        .offset:         24
        .size:           8
        .value_kind:     global_buffer
      - .actual_access:  read_only
        .address_space:  global
        .offset:         32
        .size:           8
        .value_kind:     global_buffer
      - .actual_access:  read_only
        .address_space:  global
        .offset:         40
        .size:           8
        .value_kind:     global_buffer
      - .address_space:  global
        .offset:         48
        .size:           8
        .value_kind:     global_buffer
      - .address_space:  global
        .offset:         56
        .size:           8
        .value_kind:     global_buffer
      - .address_space:  global
        .offset:         64
        .size:           8
        .value_kind:     global_buffer
      - .offset:         72
        .size:           4
        .value_kind:     by_value
      - .offset:         80
        .size:           4
        .value_kind:     hidden_block_count_x
      - .offset:         84
        .size:           4
        .value_kind:     hidden_block_count_y
      - .offset:         88
        .size:           4
        .value_kind:     hidden_block_count_z
      - .offset:         92
        .size:           2
        .value_kind:     hidden_group_size_x
      - .offset:         94
        .size:           2
        .value_kind:     hidden_group_size_y
      - .offset:         96
        .size:           2
        .value_kind:     hidden_group_size_z
      - .offset:         98
        .size:           2
        .value_kind:     hidden_remainder_x
      - .offset:         100
        .size:           2
        .value_kind:     hidden_remainder_y
      - .offset:         102
        .size:           2
        .value_kind:     hidden_remainder_z
      - .offset:         120
        .size:           8
        .value_kind:     hidden_global_offset_x
      - .offset:         128
        .size:           8
        .value_kind:     hidden_global_offset_y
      - .offset:         136
        .size:           8
        .value_kind:     hidden_global_offset_z
      - .offset:         144
        .size:           2
        .value_kind:     hidden_grid_dims
      - .offset:         160
        .size:           8
        .value_kind:     hidden_hostcall_buffer
    .group_segment_fixed_size: 0
    .kernarg_segment_align: 8
    .kernarg_segment_size: 336
    .language:       OpenCL C
    .language_version:
      - 2
      - 0
    .max_flat_workgroup_size: 1024
    .name:           _Z11wvSplitKrc_I6__halfLi64ELi16ELi4ELi8ELi1ELi16ELi1ELi1ELi0EEviiiiiiPKT_S3_S3_PfPiPS1_i
    .private_segment_fixed_size: 64
    .sgpr_count:     40
    .sgpr_spill_count: 0
    .symbol:         _Z11wvSplitKrc_I6__halfLi64ELi16ELi4ELi8ELi1ELi16ELi1ELi1ELi0EEviiiiiiPKT_S3_S3_PfPiPS1_i.kd
    .uniform_work_group_size: 1
    .uses_dynamic_stack: false
    .vgpr_count:     40
    .vgpr_spill_count: 0
    .wavefront_size: 64
  - .agpr_count:     0
    .args:
      - .offset:         0
        .size:           4
        .value_kind:     by_value
      - .offset:         4
        .size:           4
        .value_kind:     by_value
      - .offset:         8
        .size:           4
        .value_kind:     by_value
      - .offset:         12
        .size:           4
        .value_kind:     by_value
      - .offset:         16
        .size:           4
        .value_kind:     by_value
      - .offset:         20
        .size:           4
        .value_kind:     by_value
      - .address_space:  global
        .offset:         24
        .size:           8
        .value_kind:     global_buffer
      - .actual_access:  read_only
        .address_space:  global
        .offset:         32
        .size:           8
        .value_kind:     global_buffer
      - .actual_access:  read_only
        .address_space:  global
        .offset:         40
        .size:           8
        .value_kind:     global_buffer
      - .address_space:  global
        .offset:         48
        .size:           8
        .value_kind:     global_buffer
      - .address_space:  global
        .offset:         56
        .size:           8
        .value_kind:     global_buffer
      - .address_space:  global
        .offset:         64
        .size:           8
        .value_kind:     global_buffer
      - .offset:         72
        .size:           4
        .value_kind:     by_value
      - .offset:         80
        .size:           4
        .value_kind:     hidden_block_count_x
      - .offset:         84
        .size:           4
        .value_kind:     hidden_block_count_y
      - .offset:         88
        .size:           4
        .value_kind:     hidden_block_count_z
      - .offset:         92
        .size:           2
        .value_kind:     hidden_group_size_x
      - .offset:         94
        .size:           2
        .value_kind:     hidden_group_size_y
      - .offset:         96
        .size:           2
        .value_kind:     hidden_group_size_z
      - .offset:         98
        .size:           2
        .value_kind:     hidden_remainder_x
      - .offset:         100
        .size:           2
        .value_kind:     hidden_remainder_y
      - .offset:         102
        .size:           2
        .value_kind:     hidden_remainder_z
      - .offset:         120
        .size:           8
        .value_kind:     hidden_global_offset_x
      - .offset:         128
        .size:           8
        .value_kind:     hidden_global_offset_y
      - .offset:         136
        .size:           8
        .value_kind:     hidden_global_offset_z
      - .offset:         144
        .size:           2
        .value_kind:     hidden_grid_dims
      - .offset:         160
        .size:           8
        .value_kind:     hidden_hostcall_buffer
    .group_segment_fixed_size: 0
    .kernarg_segment_align: 8
    .kernarg_segment_size: 336
    .language:       OpenCL C
    .language_version:
      - 2
      - 0
    .max_flat_workgroup_size: 1024
    .name:           _Z11wvSplitKrc_I6__halfLi64ELi16ELi4ELi8ELi1ELi32ELi2ELi2ELi1EEviiiiiiPKT_S3_S3_PfPiPS1_i
    .private_segment_fixed_size: 64
    .sgpr_count:     40
    .sgpr_spill_count: 0
    .symbol:         _Z11wvSplitKrc_I6__halfLi64ELi16ELi4ELi8ELi1ELi32ELi2ELi2ELi1EEviiiiiiPKT_S3_S3_PfPiPS1_i.kd
    .uniform_work_group_size: 1
    .uses_dynamic_stack: false
    .vgpr_count:     40
    .vgpr_spill_count: 0
    .wavefront_size: 64
  - .agpr_count:     0
    .args:
      - .offset:         0
        .size:           4
        .value_kind:     by_value
      - .offset:         4
        .size:           4
        .value_kind:     by_value
      - .offset:         8
        .size:           4
        .value_kind:     by_value
      - .offset:         12
        .size:           4
        .value_kind:     by_value
      - .offset:         16
        .size:           4
        .value_kind:     by_value
      - .offset:         20
        .size:           4
        .value_kind:     by_value
      - .address_space:  global
        .offset:         24
        .size:           8
        .value_kind:     global_buffer
      - .actual_access:  read_only
        .address_space:  global
        .offset:         32
        .size:           8
        .value_kind:     global_buffer
      - .actual_access:  read_only
        .address_space:  global
        .offset:         40
        .size:           8
        .value_kind:     global_buffer
      - .address_space:  global
        .offset:         48
        .size:           8
        .value_kind:     global_buffer
      - .address_space:  global
        .offset:         56
        .size:           8
        .value_kind:     global_buffer
      - .address_space:  global
        .offset:         64
        .size:           8
        .value_kind:     global_buffer
      - .offset:         72
        .size:           4
        .value_kind:     by_value
      - .offset:         80
        .size:           4
        .value_kind:     hidden_block_count_x
      - .offset:         84
        .size:           4
        .value_kind:     hidden_block_count_y
      - .offset:         88
        .size:           4
        .value_kind:     hidden_block_count_z
      - .offset:         92
        .size:           2
        .value_kind:     hidden_group_size_x
      - .offset:         94
        .size:           2
        .value_kind:     hidden_group_size_y
      - .offset:         96
        .size:           2
        .value_kind:     hidden_group_size_z
      - .offset:         98
        .size:           2
        .value_kind:     hidden_remainder_x
      - .offset:         100
        .size:           2
        .value_kind:     hidden_remainder_y
      - .offset:         102
        .size:           2
        .value_kind:     hidden_remainder_z
      - .offset:         120
        .size:           8
        .value_kind:     hidden_global_offset_x
      - .offset:         128
        .size:           8
        .value_kind:     hidden_global_offset_y
      - .offset:         136
        .size:           8
        .value_kind:     hidden_global_offset_z
      - .offset:         144
        .size:           2
        .value_kind:     hidden_grid_dims
      - .offset:         160
        .size:           8
        .value_kind:     hidden_hostcall_buffer
    .group_segment_fixed_size: 0
    .kernarg_segment_align: 8
    .kernarg_segment_size: 336
    .language:       OpenCL C
    .language_version:
      - 2
      - 0
    .max_flat_workgroup_size: 1024
    .name:           _Z11wvSplitKrc_I6__halfLi64ELi16ELi4ELi8ELi1ELi32ELi2ELi2ELi0EEviiiiiiPKT_S3_S3_PfPiPS1_i
    .private_segment_fixed_size: 64
    .sgpr_count:     40
    .sgpr_spill_count: 0
    .symbol:         _Z11wvSplitKrc_I6__halfLi64ELi16ELi4ELi8ELi1ELi32ELi2ELi2ELi0EEviiiiiiPKT_S3_S3_PfPiPS1_i.kd
    .uniform_work_group_size: 1
    .uses_dynamic_stack: false
    .vgpr_count:     40
    .vgpr_spill_count: 0
    .wavefront_size: 64
  - .agpr_count:     0
    .args:
      - .offset:         0
        .size:           4
        .value_kind:     by_value
      - .offset:         4
        .size:           4
        .value_kind:     by_value
      - .offset:         8
        .size:           4
        .value_kind:     by_value
      - .offset:         12
        .size:           4
        .value_kind:     by_value
      - .offset:         16
        .size:           4
        .value_kind:     by_value
      - .offset:         20
        .size:           4
        .value_kind:     by_value
      - .address_space:  global
        .offset:         24
        .size:           8
        .value_kind:     global_buffer
      - .actual_access:  read_only
        .address_space:  global
        .offset:         32
        .size:           8
        .value_kind:     global_buffer
      - .actual_access:  read_only
        .address_space:  global
        .offset:         40
        .size:           8
        .value_kind:     global_buffer
      - .address_space:  global
        .offset:         48
        .size:           8
        .value_kind:     global_buffer
      - .address_space:  global
        .offset:         56
        .size:           8
        .value_kind:     global_buffer
      - .address_space:  global
        .offset:         64
        .size:           8
        .value_kind:     global_buffer
      - .offset:         72
        .size:           4
        .value_kind:     by_value
      - .offset:         80
        .size:           4
        .value_kind:     hidden_block_count_x
      - .offset:         84
        .size:           4
        .value_kind:     hidden_block_count_y
      - .offset:         88
        .size:           4
        .value_kind:     hidden_block_count_z
      - .offset:         92
        .size:           2
        .value_kind:     hidden_group_size_x
      - .offset:         94
        .size:           2
        .value_kind:     hidden_group_size_y
      - .offset:         96
        .size:           2
        .value_kind:     hidden_group_size_z
      - .offset:         98
        .size:           2
        .value_kind:     hidden_remainder_x
      - .offset:         100
        .size:           2
        .value_kind:     hidden_remainder_y
      - .offset:         102
        .size:           2
        .value_kind:     hidden_remainder_z
      - .offset:         120
        .size:           8
        .value_kind:     hidden_global_offset_x
      - .offset:         128
        .size:           8
        .value_kind:     hidden_global_offset_y
      - .offset:         136
        .size:           8
        .value_kind:     hidden_global_offset_z
      - .offset:         144
        .size:           2
        .value_kind:     hidden_grid_dims
      - .offset:         160
        .size:           8
        .value_kind:     hidden_hostcall_buffer
    .group_segment_fixed_size: 0
    .kernarg_segment_align: 8
    .kernarg_segment_size: 336
    .language:       OpenCL C
    .language_version:
      - 2
      - 0
    .max_flat_workgroup_size: 1024
    .name:           _Z11wvSplitKrc_I6__halfLi64ELi16ELi4ELi8ELi1ELi32ELi2ELi1ELi1EEviiiiiiPKT_S3_S3_PfPiPS1_i
    .private_segment_fixed_size: 64
    .sgpr_count:     40
    .sgpr_spill_count: 0
    .symbol:         _Z11wvSplitKrc_I6__halfLi64ELi16ELi4ELi8ELi1ELi32ELi2ELi1ELi1EEviiiiiiPKT_S3_S3_PfPiPS1_i.kd
    .uniform_work_group_size: 1
    .uses_dynamic_stack: false
    .vgpr_count:     40
    .vgpr_spill_count: 0
    .wavefront_size: 64
  - .agpr_count:     0
    .args:
      - .offset:         0
        .size:           4
        .value_kind:     by_value
      - .offset:         4
        .size:           4
        .value_kind:     by_value
      - .offset:         8
        .size:           4
        .value_kind:     by_value
      - .offset:         12
        .size:           4
        .value_kind:     by_value
      - .offset:         16
        .size:           4
        .value_kind:     by_value
      - .offset:         20
        .size:           4
        .value_kind:     by_value
      - .address_space:  global
        .offset:         24
        .size:           8
        .value_kind:     global_buffer
      - .actual_access:  read_only
        .address_space:  global
        .offset:         32
        .size:           8
        .value_kind:     global_buffer
      - .actual_access:  read_only
        .address_space:  global
        .offset:         40
        .size:           8
        .value_kind:     global_buffer
      - .address_space:  global
        .offset:         48
        .size:           8
        .value_kind:     global_buffer
      - .address_space:  global
        .offset:         56
        .size:           8
        .value_kind:     global_buffer
      - .address_space:  global
        .offset:         64
        .size:           8
        .value_kind:     global_buffer
      - .offset:         72
        .size:           4
        .value_kind:     by_value
      - .offset:         80
        .size:           4
        .value_kind:     hidden_block_count_x
      - .offset:         84
        .size:           4
        .value_kind:     hidden_block_count_y
      - .offset:         88
        .size:           4
        .value_kind:     hidden_block_count_z
      - .offset:         92
        .size:           2
        .value_kind:     hidden_group_size_x
      - .offset:         94
        .size:           2
        .value_kind:     hidden_group_size_y
      - .offset:         96
        .size:           2
        .value_kind:     hidden_group_size_z
      - .offset:         98
        .size:           2
        .value_kind:     hidden_remainder_x
      - .offset:         100
        .size:           2
        .value_kind:     hidden_remainder_y
      - .offset:         102
        .size:           2
        .value_kind:     hidden_remainder_z
      - .offset:         120
        .size:           8
        .value_kind:     hidden_global_offset_x
      - .offset:         128
        .size:           8
        .value_kind:     hidden_global_offset_y
      - .offset:         136
        .size:           8
        .value_kind:     hidden_global_offset_z
      - .offset:         144
        .size:           2
        .value_kind:     hidden_grid_dims
      - .offset:         160
        .size:           8
        .value_kind:     hidden_hostcall_buffer
    .group_segment_fixed_size: 0
    .kernarg_segment_align: 8
    .kernarg_segment_size: 336
    .language:       OpenCL C
    .language_version:
      - 2
      - 0
    .max_flat_workgroup_size: 1024
    .name:           _Z11wvSplitKrc_I6__halfLi64ELi16ELi4ELi8ELi1ELi32ELi2ELi1ELi0EEviiiiiiPKT_S3_S3_PfPiPS1_i
    .private_segment_fixed_size: 64
    .sgpr_count:     40
    .sgpr_spill_count: 0
    .symbol:         _Z11wvSplitKrc_I6__halfLi64ELi16ELi4ELi8ELi1ELi32ELi2ELi1ELi0EEviiiiiiPKT_S3_S3_PfPiPS1_i.kd
    .uniform_work_group_size: 1
    .uses_dynamic_stack: false
    .vgpr_count:     40
    .vgpr_spill_count: 0
    .wavefront_size: 64
  - .agpr_count:     0
    .args:
      - .offset:         0
        .size:           4
        .value_kind:     by_value
      - .offset:         4
        .size:           4
        .value_kind:     by_value
      - .offset:         8
        .size:           4
        .value_kind:     by_value
      - .offset:         12
        .size:           4
        .value_kind:     by_value
      - .offset:         16
        .size:           4
        .value_kind:     by_value
      - .offset:         20
        .size:           4
        .value_kind:     by_value
      - .address_space:  global
        .offset:         24
        .size:           8
        .value_kind:     global_buffer
      - .actual_access:  read_only
        .address_space:  global
        .offset:         32
        .size:           8
        .value_kind:     global_buffer
      - .actual_access:  read_only
        .address_space:  global
        .offset:         40
        .size:           8
        .value_kind:     global_buffer
      - .address_space:  global
        .offset:         48
        .size:           8
        .value_kind:     global_buffer
      - .address_space:  global
        .offset:         56
        .size:           8
        .value_kind:     global_buffer
      - .address_space:  global
        .offset:         64
        .size:           8
        .value_kind:     global_buffer
      - .offset:         72
        .size:           4
        .value_kind:     by_value
      - .offset:         80
        .size:           4
        .value_kind:     hidden_block_count_x
      - .offset:         84
        .size:           4
        .value_kind:     hidden_block_count_y
      - .offset:         88
        .size:           4
        .value_kind:     hidden_block_count_z
      - .offset:         92
        .size:           2
        .value_kind:     hidden_group_size_x
      - .offset:         94
        .size:           2
        .value_kind:     hidden_group_size_y
      - .offset:         96
        .size:           2
        .value_kind:     hidden_group_size_z
      - .offset:         98
        .size:           2
        .value_kind:     hidden_remainder_x
      - .offset:         100
        .size:           2
        .value_kind:     hidden_remainder_y
      - .offset:         102
        .size:           2
        .value_kind:     hidden_remainder_z
      - .offset:         120
        .size:           8
        .value_kind:     hidden_global_offset_x
      - .offset:         128
        .size:           8
        .value_kind:     hidden_global_offset_y
      - .offset:         136
        .size:           8
        .value_kind:     hidden_global_offset_z
      - .offset:         144
        .size:           2
        .value_kind:     hidden_grid_dims
      - .offset:         160
        .size:           8
        .value_kind:     hidden_hostcall_buffer
    .group_segment_fixed_size: 0
    .kernarg_segment_align: 8
    .kernarg_segment_size: 336
    .language:       OpenCL C
    .language_version:
      - 2
      - 0
    .max_flat_workgroup_size: 1024
    .name:           _Z11wvSplitKrc_I6__halfLi64ELi16ELi4ELi8ELi1ELi64ELi4ELi2ELi1EEviiiiiiPKT_S3_S3_PfPiPS1_i
    .private_segment_fixed_size: 64
    .sgpr_count:     40
    .sgpr_spill_count: 0
    .symbol:         _Z11wvSplitKrc_I6__halfLi64ELi16ELi4ELi8ELi1ELi64ELi4ELi2ELi1EEviiiiiiPKT_S3_S3_PfPiPS1_i.kd
    .uniform_work_group_size: 1
    .uses_dynamic_stack: false
    .vgpr_count:     40
    .vgpr_spill_count: 0
    .wavefront_size: 64
  - .agpr_count:     0
    .args:
      - .offset:         0
        .size:           4
        .value_kind:     by_value
      - .offset:         4
        .size:           4
        .value_kind:     by_value
      - .offset:         8
        .size:           4
        .value_kind:     by_value
      - .offset:         12
        .size:           4
        .value_kind:     by_value
      - .offset:         16
        .size:           4
        .value_kind:     by_value
      - .offset:         20
        .size:           4
        .value_kind:     by_value
      - .address_space:  global
        .offset:         24
        .size:           8
        .value_kind:     global_buffer
      - .actual_access:  read_only
        .address_space:  global
        .offset:         32
        .size:           8
        .value_kind:     global_buffer
      - .actual_access:  read_only
        .address_space:  global
        .offset:         40
        .size:           8
        .value_kind:     global_buffer
      - .address_space:  global
        .offset:         48
        .size:           8
        .value_kind:     global_buffer
      - .address_space:  global
        .offset:         56
        .size:           8
        .value_kind:     global_buffer
      - .address_space:  global
        .offset:         64
        .size:           8
        .value_kind:     global_buffer
      - .offset:         72
        .size:           4
        .value_kind:     by_value
      - .offset:         80
        .size:           4
        .value_kind:     hidden_block_count_x
      - .offset:         84
        .size:           4
        .value_kind:     hidden_block_count_y
      - .offset:         88
        .size:           4
        .value_kind:     hidden_block_count_z
      - .offset:         92
        .size:           2
        .value_kind:     hidden_group_size_x
      - .offset:         94
        .size:           2
        .value_kind:     hidden_group_size_y
      - .offset:         96
        .size:           2
        .value_kind:     hidden_group_size_z
      - .offset:         98
        .size:           2
        .value_kind:     hidden_remainder_x
      - .offset:         100
        .size:           2
        .value_kind:     hidden_remainder_y
      - .offset:         102
        .size:           2
        .value_kind:     hidden_remainder_z
      - .offset:         120
        .size:           8
        .value_kind:     hidden_global_offset_x
      - .offset:         128
        .size:           8
        .value_kind:     hidden_global_offset_y
      - .offset:         136
        .size:           8
        .value_kind:     hidden_global_offset_z
      - .offset:         144
        .size:           2
        .value_kind:     hidden_grid_dims
      - .offset:         160
        .size:           8
        .value_kind:     hidden_hostcall_buffer
    .group_segment_fixed_size: 0
    .kernarg_segment_align: 8
    .kernarg_segment_size: 336
    .language:       OpenCL C
    .language_version:
      - 2
      - 0
    .max_flat_workgroup_size: 1024
    .name:           _Z11wvSplitKrc_I6__halfLi64ELi16ELi4ELi8ELi1ELi64ELi4ELi2ELi0EEviiiiiiPKT_S3_S3_PfPiPS1_i
    .private_segment_fixed_size: 64
    .sgpr_count:     40
    .sgpr_spill_count: 0
    .symbol:         _Z11wvSplitKrc_I6__halfLi64ELi16ELi4ELi8ELi1ELi64ELi4ELi2ELi0EEviiiiiiPKT_S3_S3_PfPiPS1_i.kd
    .uniform_work_group_size: 1
    .uses_dynamic_stack: false
    .vgpr_count:     40
    .vgpr_spill_count: 0
    .wavefront_size: 64
  - .agpr_count:     0
    .args:
      - .offset:         0
        .size:           4
        .value_kind:     by_value
      - .offset:         4
        .size:           4
        .value_kind:     by_value
      - .offset:         8
        .size:           4
        .value_kind:     by_value
      - .offset:         12
        .size:           4
        .value_kind:     by_value
      - .offset:         16
        .size:           4
        .value_kind:     by_value
      - .offset:         20
        .size:           4
        .value_kind:     by_value
      - .address_space:  global
        .offset:         24
        .size:           8
        .value_kind:     global_buffer
      - .actual_access:  read_only
        .address_space:  global
        .offset:         32
        .size:           8
        .value_kind:     global_buffer
      - .actual_access:  read_only
        .address_space:  global
        .offset:         40
        .size:           8
        .value_kind:     global_buffer
      - .address_space:  global
        .offset:         48
        .size:           8
        .value_kind:     global_buffer
      - .address_space:  global
        .offset:         56
        .size:           8
        .value_kind:     global_buffer
      - .address_space:  global
        .offset:         64
        .size:           8
        .value_kind:     global_buffer
      - .offset:         72
        .size:           4
        .value_kind:     by_value
      - .offset:         80
        .size:           4
        .value_kind:     hidden_block_count_x
      - .offset:         84
        .size:           4
        .value_kind:     hidden_block_count_y
      - .offset:         88
        .size:           4
        .value_kind:     hidden_block_count_z
      - .offset:         92
        .size:           2
        .value_kind:     hidden_group_size_x
      - .offset:         94
        .size:           2
        .value_kind:     hidden_group_size_y
      - .offset:         96
        .size:           2
        .value_kind:     hidden_group_size_z
      - .offset:         98
        .size:           2
        .value_kind:     hidden_remainder_x
      - .offset:         100
        .size:           2
        .value_kind:     hidden_remainder_y
      - .offset:         102
        .size:           2
        .value_kind:     hidden_remainder_z
      - .offset:         120
        .size:           8
        .value_kind:     hidden_global_offset_x
      - .offset:         128
        .size:           8
        .value_kind:     hidden_global_offset_y
      - .offset:         136
        .size:           8
        .value_kind:     hidden_global_offset_z
      - .offset:         144
        .size:           2
        .value_kind:     hidden_grid_dims
      - .offset:         160
        .size:           8
        .value_kind:     hidden_hostcall_buffer
    .group_segment_fixed_size: 0
    .kernarg_segment_align: 8
    .kernarg_segment_size: 336
    .language:       OpenCL C
    .language_version:
      - 2
      - 0
    .max_flat_workgroup_size: 1024
    .name:           _Z11wvSplitKrc_I6__halfLi64ELi16ELi4ELi8ELi1ELi64ELi4ELi1ELi1EEviiiiiiPKT_S3_S3_PfPiPS1_i
    .private_segment_fixed_size: 64
    .sgpr_count:     40
    .sgpr_spill_count: 0
    .symbol:         _Z11wvSplitKrc_I6__halfLi64ELi16ELi4ELi8ELi1ELi64ELi4ELi1ELi1EEviiiiiiPKT_S3_S3_PfPiPS1_i.kd
    .uniform_work_group_size: 1
    .uses_dynamic_stack: false
    .vgpr_count:     40
    .vgpr_spill_count: 0
    .wavefront_size: 64
  - .agpr_count:     0
    .args:
      - .offset:         0
        .size:           4
        .value_kind:     by_value
      - .offset:         4
        .size:           4
        .value_kind:     by_value
      - .offset:         8
        .size:           4
        .value_kind:     by_value
      - .offset:         12
        .size:           4
        .value_kind:     by_value
      - .offset:         16
        .size:           4
        .value_kind:     by_value
      - .offset:         20
        .size:           4
        .value_kind:     by_value
      - .address_space:  global
        .offset:         24
        .size:           8
        .value_kind:     global_buffer
      - .actual_access:  read_only
        .address_space:  global
        .offset:         32
        .size:           8
        .value_kind:     global_buffer
      - .actual_access:  read_only
        .address_space:  global
        .offset:         40
        .size:           8
        .value_kind:     global_buffer
      - .address_space:  global
        .offset:         48
        .size:           8
        .value_kind:     global_buffer
      - .address_space:  global
        .offset:         56
        .size:           8
        .value_kind:     global_buffer
      - .address_space:  global
        .offset:         64
        .size:           8
        .value_kind:     global_buffer
      - .offset:         72
        .size:           4
        .value_kind:     by_value
      - .offset:         80
        .size:           4
        .value_kind:     hidden_block_count_x
      - .offset:         84
        .size:           4
        .value_kind:     hidden_block_count_y
      - .offset:         88
        .size:           4
        .value_kind:     hidden_block_count_z
      - .offset:         92
        .size:           2
        .value_kind:     hidden_group_size_x
      - .offset:         94
        .size:           2
        .value_kind:     hidden_group_size_y
      - .offset:         96
        .size:           2
        .value_kind:     hidden_group_size_z
      - .offset:         98
        .size:           2
        .value_kind:     hidden_remainder_x
      - .offset:         100
        .size:           2
        .value_kind:     hidden_remainder_y
      - .offset:         102
        .size:           2
        .value_kind:     hidden_remainder_z
      - .offset:         120
        .size:           8
        .value_kind:     hidden_global_offset_x
      - .offset:         128
        .size:           8
        .value_kind:     hidden_global_offset_y
      - .offset:         136
        .size:           8
        .value_kind:     hidden_global_offset_z
      - .offset:         144
        .size:           2
        .value_kind:     hidden_grid_dims
      - .offset:         160
        .size:           8
        .value_kind:     hidden_hostcall_buffer
    .group_segment_fixed_size: 0
    .kernarg_segment_align: 8
    .kernarg_segment_size: 336
    .language:       OpenCL C
    .language_version:
      - 2
      - 0
    .max_flat_workgroup_size: 1024
    .name:           _Z11wvSplitKrc_I6__halfLi64ELi16ELi4ELi8ELi1ELi64ELi4ELi1ELi0EEviiiiiiPKT_S3_S3_PfPiPS1_i
    .private_segment_fixed_size: 64
    .sgpr_count:     40
    .sgpr_spill_count: 0
    .symbol:         _Z11wvSplitKrc_I6__halfLi64ELi16ELi4ELi8ELi1ELi64ELi4ELi1ELi0EEviiiiiiPKT_S3_S3_PfPiPS1_i.kd
    .uniform_work_group_size: 1
    .uses_dynamic_stack: false
    .vgpr_count:     40
    .vgpr_spill_count: 0
    .wavefront_size: 64
  - .agpr_count:     0
    .args:
      - .offset:         0
        .size:           4
        .value_kind:     by_value
      - .offset:         4
        .size:           4
        .value_kind:     by_value
      - .offset:         8
        .size:           4
        .value_kind:     by_value
      - .offset:         12
        .size:           4
        .value_kind:     by_value
      - .offset:         16
        .size:           4
        .value_kind:     by_value
      - .offset:         20
        .size:           4
        .value_kind:     by_value
      - .address_space:  global
        .offset:         24
        .size:           8
        .value_kind:     global_buffer
      - .actual_access:  read_only
        .address_space:  global
        .offset:         32
        .size:           8
        .value_kind:     global_buffer
      - .actual_access:  read_only
        .address_space:  global
        .offset:         40
        .size:           8
        .value_kind:     global_buffer
      - .address_space:  global
        .offset:         48
        .size:           8
        .value_kind:     global_buffer
      - .address_space:  global
        .offset:         56
        .size:           8
        .value_kind:     global_buffer
      - .address_space:  global
        .offset:         64
        .size:           8
        .value_kind:     global_buffer
      - .offset:         72
        .size:           4
        .value_kind:     by_value
      - .offset:         80
        .size:           4
        .value_kind:     hidden_block_count_x
      - .offset:         84
        .size:           4
        .value_kind:     hidden_block_count_y
      - .offset:         88
        .size:           4
        .value_kind:     hidden_block_count_z
      - .offset:         92
        .size:           2
        .value_kind:     hidden_group_size_x
      - .offset:         94
        .size:           2
        .value_kind:     hidden_group_size_y
      - .offset:         96
        .size:           2
        .value_kind:     hidden_group_size_z
      - .offset:         98
        .size:           2
        .value_kind:     hidden_remainder_x
      - .offset:         100
        .size:           2
        .value_kind:     hidden_remainder_y
      - .offset:         102
        .size:           2
        .value_kind:     hidden_remainder_z
      - .offset:         120
        .size:           8
        .value_kind:     hidden_global_offset_x
      - .offset:         128
        .size:           8
        .value_kind:     hidden_global_offset_y
      - .offset:         136
        .size:           8
        .value_kind:     hidden_global_offset_z
      - .offset:         144
        .size:           2
        .value_kind:     hidden_grid_dims
      - .offset:         160
        .size:           8
        .value_kind:     hidden_hostcall_buffer
    .group_segment_fixed_size: 0
    .kernarg_segment_align: 8
    .kernarg_segment_size: 336
    .language:       OpenCL C
    .language_version:
      - 2
      - 0
    .max_flat_workgroup_size: 1024
    .name:           _Z11wvSplitKrc_I6__halfLi64ELi16ELi4ELi8ELi1ELi128ELi4ELi2ELi1EEviiiiiiPKT_S3_S3_PfPiPS1_i
    .private_segment_fixed_size: 64
    .sgpr_count:     40
    .sgpr_spill_count: 0
    .symbol:         _Z11wvSplitKrc_I6__halfLi64ELi16ELi4ELi8ELi1ELi128ELi4ELi2ELi1EEviiiiiiPKT_S3_S3_PfPiPS1_i.kd
    .uniform_work_group_size: 1
    .uses_dynamic_stack: false
    .vgpr_count:     40
    .vgpr_spill_count: 0
    .wavefront_size: 64
  - .agpr_count:     0
    .args:
      - .offset:         0
        .size:           4
        .value_kind:     by_value
      - .offset:         4
        .size:           4
        .value_kind:     by_value
      - .offset:         8
        .size:           4
        .value_kind:     by_value
      - .offset:         12
        .size:           4
        .value_kind:     by_value
      - .offset:         16
        .size:           4
        .value_kind:     by_value
      - .offset:         20
        .size:           4
        .value_kind:     by_value
      - .address_space:  global
        .offset:         24
        .size:           8
        .value_kind:     global_buffer
      - .actual_access:  read_only
        .address_space:  global
        .offset:         32
        .size:           8
        .value_kind:     global_buffer
      - .actual_access:  read_only
        .address_space:  global
        .offset:         40
        .size:           8
        .value_kind:     global_buffer
      - .address_space:  global
        .offset:         48
        .size:           8
        .value_kind:     global_buffer
      - .address_space:  global
        .offset:         56
        .size:           8
        .value_kind:     global_buffer
      - .address_space:  global
        .offset:         64
        .size:           8
        .value_kind:     global_buffer
      - .offset:         72
        .size:           4
        .value_kind:     by_value
      - .offset:         80
        .size:           4
        .value_kind:     hidden_block_count_x
      - .offset:         84
        .size:           4
        .value_kind:     hidden_block_count_y
      - .offset:         88
        .size:           4
        .value_kind:     hidden_block_count_z
      - .offset:         92
        .size:           2
        .value_kind:     hidden_group_size_x
      - .offset:         94
        .size:           2
        .value_kind:     hidden_group_size_y
      - .offset:         96
        .size:           2
        .value_kind:     hidden_group_size_z
      - .offset:         98
        .size:           2
        .value_kind:     hidden_remainder_x
      - .offset:         100
        .size:           2
        .value_kind:     hidden_remainder_y
      - .offset:         102
        .size:           2
        .value_kind:     hidden_remainder_z
      - .offset:         120
        .size:           8
        .value_kind:     hidden_global_offset_x
      - .offset:         128
        .size:           8
        .value_kind:     hidden_global_offset_y
      - .offset:         136
        .size:           8
        .value_kind:     hidden_global_offset_z
      - .offset:         144
        .size:           2
        .value_kind:     hidden_grid_dims
      - .offset:         160
        .size:           8
        .value_kind:     hidden_hostcall_buffer
    .group_segment_fixed_size: 0
    .kernarg_segment_align: 8
    .kernarg_segment_size: 336
    .language:       OpenCL C
    .language_version:
      - 2
      - 0
    .max_flat_workgroup_size: 1024
    .name:           _Z11wvSplitKrc_I6__halfLi64ELi16ELi4ELi8ELi1ELi128ELi4ELi2ELi0EEviiiiiiPKT_S3_S3_PfPiPS1_i
    .private_segment_fixed_size: 64
    .sgpr_count:     40
    .sgpr_spill_count: 0
    .symbol:         _Z11wvSplitKrc_I6__halfLi64ELi16ELi4ELi8ELi1ELi128ELi4ELi2ELi0EEviiiiiiPKT_S3_S3_PfPiPS1_i.kd
    .uniform_work_group_size: 1
    .uses_dynamic_stack: false
    .vgpr_count:     40
    .vgpr_spill_count: 0
    .wavefront_size: 64
  - .agpr_count:     0
    .args:
      - .offset:         0
        .size:           4
        .value_kind:     by_value
      - .offset:         4
        .size:           4
        .value_kind:     by_value
      - .offset:         8
        .size:           4
        .value_kind:     by_value
      - .offset:         12
        .size:           4
        .value_kind:     by_value
      - .offset:         16
        .size:           4
        .value_kind:     by_value
      - .offset:         20
        .size:           4
        .value_kind:     by_value
      - .address_space:  global
        .offset:         24
        .size:           8
        .value_kind:     global_buffer
      - .actual_access:  read_only
        .address_space:  global
        .offset:         32
        .size:           8
        .value_kind:     global_buffer
      - .actual_access:  read_only
        .address_space:  global
        .offset:         40
        .size:           8
        .value_kind:     global_buffer
      - .address_space:  global
        .offset:         48
        .size:           8
        .value_kind:     global_buffer
      - .address_space:  global
        .offset:         56
        .size:           8
        .value_kind:     global_buffer
      - .address_space:  global
        .offset:         64
        .size:           8
        .value_kind:     global_buffer
      - .offset:         72
        .size:           4
        .value_kind:     by_value
      - .offset:         80
        .size:           4
        .value_kind:     hidden_block_count_x
      - .offset:         84
        .size:           4
        .value_kind:     hidden_block_count_y
      - .offset:         88
        .size:           4
        .value_kind:     hidden_block_count_z
      - .offset:         92
        .size:           2
        .value_kind:     hidden_group_size_x
      - .offset:         94
        .size:           2
        .value_kind:     hidden_group_size_y
      - .offset:         96
        .size:           2
        .value_kind:     hidden_group_size_z
      - .offset:         98
        .size:           2
        .value_kind:     hidden_remainder_x
      - .offset:         100
        .size:           2
        .value_kind:     hidden_remainder_y
      - .offset:         102
        .size:           2
        .value_kind:     hidden_remainder_z
      - .offset:         120
        .size:           8
        .value_kind:     hidden_global_offset_x
      - .offset:         128
        .size:           8
        .value_kind:     hidden_global_offset_y
      - .offset:         136
        .size:           8
        .value_kind:     hidden_global_offset_z
      - .offset:         144
        .size:           2
        .value_kind:     hidden_grid_dims
      - .offset:         160
        .size:           8
        .value_kind:     hidden_hostcall_buffer
    .group_segment_fixed_size: 0
    .kernarg_segment_align: 8
    .kernarg_segment_size: 336
    .language:       OpenCL C
    .language_version:
      - 2
      - 0
    .max_flat_workgroup_size: 1024
    .name:           _Z11wvSplitKrc_I6__halfLi64ELi16ELi4ELi8ELi1ELi128ELi4ELi1ELi1EEviiiiiiPKT_S3_S3_PfPiPS1_i
    .private_segment_fixed_size: 64
    .sgpr_count:     40
    .sgpr_spill_count: 0
    .symbol:         _Z11wvSplitKrc_I6__halfLi64ELi16ELi4ELi8ELi1ELi128ELi4ELi1ELi1EEviiiiiiPKT_S3_S3_PfPiPS1_i.kd
    .uniform_work_group_size: 1
    .uses_dynamic_stack: false
    .vgpr_count:     40
    .vgpr_spill_count: 0
    .wavefront_size: 64
  - .agpr_count:     0
    .args:
      - .offset:         0
        .size:           4
        .value_kind:     by_value
      - .offset:         4
        .size:           4
        .value_kind:     by_value
      - .offset:         8
        .size:           4
        .value_kind:     by_value
      - .offset:         12
        .size:           4
        .value_kind:     by_value
      - .offset:         16
        .size:           4
        .value_kind:     by_value
      - .offset:         20
        .size:           4
        .value_kind:     by_value
      - .address_space:  global
        .offset:         24
        .size:           8
        .value_kind:     global_buffer
      - .actual_access:  read_only
        .address_space:  global
        .offset:         32
        .size:           8
        .value_kind:     global_buffer
      - .actual_access:  read_only
        .address_space:  global
        .offset:         40
        .size:           8
        .value_kind:     global_buffer
      - .address_space:  global
        .offset:         48
        .size:           8
        .value_kind:     global_buffer
      - .address_space:  global
        .offset:         56
        .size:           8
        .value_kind:     global_buffer
      - .address_space:  global
        .offset:         64
        .size:           8
        .value_kind:     global_buffer
      - .offset:         72
        .size:           4
        .value_kind:     by_value
      - .offset:         80
        .size:           4
        .value_kind:     hidden_block_count_x
      - .offset:         84
        .size:           4
        .value_kind:     hidden_block_count_y
      - .offset:         88
        .size:           4
        .value_kind:     hidden_block_count_z
      - .offset:         92
        .size:           2
        .value_kind:     hidden_group_size_x
      - .offset:         94
        .size:           2
        .value_kind:     hidden_group_size_y
      - .offset:         96
        .size:           2
        .value_kind:     hidden_group_size_z
      - .offset:         98
        .size:           2
        .value_kind:     hidden_remainder_x
      - .offset:         100
        .size:           2
        .value_kind:     hidden_remainder_y
      - .offset:         102
        .size:           2
        .value_kind:     hidden_remainder_z
      - .offset:         120
        .size:           8
        .value_kind:     hidden_global_offset_x
      - .offset:         128
        .size:           8
        .value_kind:     hidden_global_offset_y
      - .offset:         136
        .size:           8
        .value_kind:     hidden_global_offset_z
      - .offset:         144
        .size:           2
        .value_kind:     hidden_grid_dims
      - .offset:         160
        .size:           8
        .value_kind:     hidden_hostcall_buffer
    .group_segment_fixed_size: 0
    .kernarg_segment_align: 8
    .kernarg_segment_size: 336
    .language:       OpenCL C
    .language_version:
      - 2
      - 0
    .max_flat_workgroup_size: 1024
    .name:           _Z11wvSplitKrc_I6__halfLi64ELi16ELi4ELi8ELi1ELi128ELi4ELi1ELi0EEviiiiiiPKT_S3_S3_PfPiPS1_i
    .private_segment_fixed_size: 64
    .sgpr_count:     40
    .sgpr_spill_count: 0
    .symbol:         _Z11wvSplitKrc_I6__halfLi64ELi16ELi4ELi8ELi1ELi128ELi4ELi1ELi0EEviiiiiiPKT_S3_S3_PfPiPS1_i.kd
    .uniform_work_group_size: 1
    .uses_dynamic_stack: false
    .vgpr_count:     40
    .vgpr_spill_count: 0
    .wavefront_size: 64
  - .agpr_count:     0
    .args:
      - .offset:         0
        .size:           4
        .value_kind:     by_value
      - .offset:         4
        .size:           4
        .value_kind:     by_value
      - .offset:         8
        .size:           4
        .value_kind:     by_value
      - .offset:         12
        .size:           4
        .value_kind:     by_value
      - .offset:         16
        .size:           4
        .value_kind:     by_value
      - .offset:         20
        .size:           4
        .value_kind:     by_value
      - .address_space:  global
        .offset:         24
        .size:           8
        .value_kind:     global_buffer
      - .actual_access:  read_only
        .address_space:  global
        .offset:         32
        .size:           8
        .value_kind:     global_buffer
      - .actual_access:  read_only
        .address_space:  global
        .offset:         40
        .size:           8
        .value_kind:     global_buffer
      - .address_space:  global
        .offset:         48
        .size:           8
        .value_kind:     global_buffer
      - .address_space:  global
        .offset:         56
        .size:           8
        .value_kind:     global_buffer
      - .address_space:  global
        .offset:         64
        .size:           8
        .value_kind:     global_buffer
      - .offset:         72
        .size:           4
        .value_kind:     by_value
      - .offset:         80
        .size:           4
        .value_kind:     hidden_block_count_x
      - .offset:         84
        .size:           4
        .value_kind:     hidden_block_count_y
      - .offset:         88
        .size:           4
        .value_kind:     hidden_block_count_z
      - .offset:         92
        .size:           2
        .value_kind:     hidden_group_size_x
      - .offset:         94
        .size:           2
        .value_kind:     hidden_group_size_y
      - .offset:         96
        .size:           2
        .value_kind:     hidden_group_size_z
      - .offset:         98
        .size:           2
        .value_kind:     hidden_remainder_x
      - .offset:         100
        .size:           2
        .value_kind:     hidden_remainder_y
      - .offset:         102
        .size:           2
        .value_kind:     hidden_remainder_z
      - .offset:         120
        .size:           8
        .value_kind:     hidden_global_offset_x
      - .offset:         128
        .size:           8
        .value_kind:     hidden_global_offset_y
      - .offset:         136
        .size:           8
        .value_kind:     hidden_global_offset_z
      - .offset:         144
        .size:           2
        .value_kind:     hidden_grid_dims
      - .offset:         160
        .size:           8
        .value_kind:     hidden_hostcall_buffer
    .group_segment_fixed_size: 0
    .kernarg_segment_align: 8
    .kernarg_segment_size: 336
    .language:       OpenCL C
    .language_version:
      - 2
      - 0
    .max_flat_workgroup_size: 1024
    .name:           _Z11wvSplitKrc_I14__hip_bfloat16Li64ELi16ELi4ELi8ELi1ELi16ELi1ELi1ELi1EEviiiiiiPKT_S3_S3_PfPiPS1_i
    .private_segment_fixed_size: 64
    .sgpr_count:     40
    .sgpr_spill_count: 0
    .symbol:         _Z11wvSplitKrc_I14__hip_bfloat16Li64ELi16ELi4ELi8ELi1ELi16ELi1ELi1ELi1EEviiiiiiPKT_S3_S3_PfPiPS1_i.kd
    .uniform_work_group_size: 1
    .uses_dynamic_stack: false
    .vgpr_count:     40
    .vgpr_spill_count: 0
    .wavefront_size: 64
  - .agpr_count:     0
    .args:
      - .offset:         0
        .size:           4
        .value_kind:     by_value
      - .offset:         4
        .size:           4
        .value_kind:     by_value
      - .offset:         8
        .size:           4
        .value_kind:     by_value
      - .offset:         12
        .size:           4
        .value_kind:     by_value
      - .offset:         16
        .size:           4
        .value_kind:     by_value
      - .offset:         20
        .size:           4
        .value_kind:     by_value
      - .address_space:  global
        .offset:         24
        .size:           8
        .value_kind:     global_buffer
      - .actual_access:  read_only
        .address_space:  global
        .offset:         32
        .size:           8
        .value_kind:     global_buffer
      - .actual_access:  read_only
        .address_space:  global
        .offset:         40
        .size:           8
        .value_kind:     global_buffer
      - .address_space:  global
        .offset:         48
        .size:           8
        .value_kind:     global_buffer
      - .address_space:  global
        .offset:         56
        .size:           8
        .value_kind:     global_buffer
      - .address_space:  global
        .offset:         64
        .size:           8
        .value_kind:     global_buffer
      - .offset:         72
        .size:           4
        .value_kind:     by_value
      - .offset:         80
        .size:           4
        .value_kind:     hidden_block_count_x
      - .offset:         84
        .size:           4
        .value_kind:     hidden_block_count_y
      - .offset:         88
        .size:           4
        .value_kind:     hidden_block_count_z
      - .offset:         92
        .size:           2
        .value_kind:     hidden_group_size_x
      - .offset:         94
        .size:           2
        .value_kind:     hidden_group_size_y
      - .offset:         96
        .size:           2
        .value_kind:     hidden_group_size_z
      - .offset:         98
        .size:           2
        .value_kind:     hidden_remainder_x
      - .offset:         100
        .size:           2
        .value_kind:     hidden_remainder_y
      - .offset:         102
        .size:           2
        .value_kind:     hidden_remainder_z
      - .offset:         120
        .size:           8
        .value_kind:     hidden_global_offset_x
      - .offset:         128
        .size:           8
        .value_kind:     hidden_global_offset_y
      - .offset:         136
        .size:           8
        .value_kind:     hidden_global_offset_z
      - .offset:         144
        .size:           2
        .value_kind:     hidden_grid_dims
      - .offset:         160
        .size:           8
        .value_kind:     hidden_hostcall_buffer
    .group_segment_fixed_size: 0
    .kernarg_segment_align: 8
    .kernarg_segment_size: 336
    .language:       OpenCL C
    .language_version:
      - 2
      - 0
    .max_flat_workgroup_size: 1024
    .name:           _Z11wvSplitKrc_I14__hip_bfloat16Li64ELi16ELi4ELi8ELi1ELi16ELi1ELi1ELi0EEviiiiiiPKT_S3_S3_PfPiPS1_i
    .private_segment_fixed_size: 64
    .sgpr_count:     40
    .sgpr_spill_count: 0
    .symbol:         _Z11wvSplitKrc_I14__hip_bfloat16Li64ELi16ELi4ELi8ELi1ELi16ELi1ELi1ELi0EEviiiiiiPKT_S3_S3_PfPiPS1_i.kd
    .uniform_work_group_size: 1
    .uses_dynamic_stack: false
    .vgpr_count:     40
    .vgpr_spill_count: 0
    .wavefront_size: 64
  - .agpr_count:     0
    .args:
      - .offset:         0
        .size:           4
        .value_kind:     by_value
      - .offset:         4
        .size:           4
        .value_kind:     by_value
      - .offset:         8
        .size:           4
        .value_kind:     by_value
      - .offset:         12
        .size:           4
        .value_kind:     by_value
      - .offset:         16
        .size:           4
        .value_kind:     by_value
      - .offset:         20
        .size:           4
        .value_kind:     by_value
      - .address_space:  global
        .offset:         24
        .size:           8
        .value_kind:     global_buffer
      - .actual_access:  read_only
        .address_space:  global
        .offset:         32
        .size:           8
        .value_kind:     global_buffer
      - .actual_access:  read_only
        .address_space:  global
        .offset:         40
        .size:           8
        .value_kind:     global_buffer
      - .address_space:  global
        .offset:         48
        .size:           8
        .value_kind:     global_buffer
      - .address_space:  global
        .offset:         56
        .size:           8
        .value_kind:     global_buffer
      - .address_space:  global
        .offset:         64
        .size:           8
        .value_kind:     global_buffer
      - .offset:         72
        .size:           4
        .value_kind:     by_value
      - .offset:         80
        .size:           4
        .value_kind:     hidden_block_count_x
      - .offset:         84
        .size:           4
        .value_kind:     hidden_block_count_y
      - .offset:         88
        .size:           4
        .value_kind:     hidden_block_count_z
      - .offset:         92
        .size:           2
        .value_kind:     hidden_group_size_x
      - .offset:         94
        .size:           2
        .value_kind:     hidden_group_size_y
      - .offset:         96
        .size:           2
        .value_kind:     hidden_group_size_z
      - .offset:         98
        .size:           2
        .value_kind:     hidden_remainder_x
      - .offset:         100
        .size:           2
        .value_kind:     hidden_remainder_y
      - .offset:         102
        .size:           2
        .value_kind:     hidden_remainder_z
      - .offset:         120
        .size:           8
        .value_kind:     hidden_global_offset_x
      - .offset:         128
        .size:           8
        .value_kind:     hidden_global_offset_y
      - .offset:         136
        .size:           8
        .value_kind:     hidden_global_offset_z
      - .offset:         144
        .size:           2
        .value_kind:     hidden_grid_dims
      - .offset:         160
        .size:           8
        .value_kind:     hidden_hostcall_buffer
    .group_segment_fixed_size: 0
    .kernarg_segment_align: 8
    .kernarg_segment_size: 336
    .language:       OpenCL C
    .language_version:
      - 2
      - 0
    .max_flat_workgroup_size: 1024
    .name:           _Z11wvSplitKrc_I14__hip_bfloat16Li64ELi16ELi4ELi8ELi1ELi32ELi2ELi2ELi1EEviiiiiiPKT_S3_S3_PfPiPS1_i
    .private_segment_fixed_size: 64
    .sgpr_count:     40
    .sgpr_spill_count: 0
    .symbol:         _Z11wvSplitKrc_I14__hip_bfloat16Li64ELi16ELi4ELi8ELi1ELi32ELi2ELi2ELi1EEviiiiiiPKT_S3_S3_PfPiPS1_i.kd
    .uniform_work_group_size: 1
    .uses_dynamic_stack: false
    .vgpr_count:     40
    .vgpr_spill_count: 0
    .wavefront_size: 64
  - .agpr_count:     0
    .args:
      - .offset:         0
        .size:           4
        .value_kind:     by_value
      - .offset:         4
        .size:           4
        .value_kind:     by_value
      - .offset:         8
        .size:           4
        .value_kind:     by_value
      - .offset:         12
        .size:           4
        .value_kind:     by_value
      - .offset:         16
        .size:           4
        .value_kind:     by_value
      - .offset:         20
        .size:           4
        .value_kind:     by_value
      - .address_space:  global
        .offset:         24
        .size:           8
        .value_kind:     global_buffer
      - .actual_access:  read_only
        .address_space:  global
        .offset:         32
        .size:           8
        .value_kind:     global_buffer
      - .actual_access:  read_only
        .address_space:  global
        .offset:         40
        .size:           8
        .value_kind:     global_buffer
      - .address_space:  global
        .offset:         48
        .size:           8
        .value_kind:     global_buffer
      - .address_space:  global
        .offset:         56
        .size:           8
        .value_kind:     global_buffer
      - .address_space:  global
        .offset:         64
        .size:           8
        .value_kind:     global_buffer
      - .offset:         72
        .size:           4
        .value_kind:     by_value
      - .offset:         80
        .size:           4
        .value_kind:     hidden_block_count_x
      - .offset:         84
        .size:           4
        .value_kind:     hidden_block_count_y
      - .offset:         88
        .size:           4
        .value_kind:     hidden_block_count_z
      - .offset:         92
        .size:           2
        .value_kind:     hidden_group_size_x
      - .offset:         94
        .size:           2
        .value_kind:     hidden_group_size_y
      - .offset:         96
        .size:           2
        .value_kind:     hidden_group_size_z
      - .offset:         98
        .size:           2
        .value_kind:     hidden_remainder_x
      - .offset:         100
        .size:           2
        .value_kind:     hidden_remainder_y
      - .offset:         102
        .size:           2
        .value_kind:     hidden_remainder_z
      - .offset:         120
        .size:           8
        .value_kind:     hidden_global_offset_x
      - .offset:         128
        .size:           8
        .value_kind:     hidden_global_offset_y
      - .offset:         136
        .size:           8
        .value_kind:     hidden_global_offset_z
      - .offset:         144
        .size:           2
        .value_kind:     hidden_grid_dims
      - .offset:         160
        .size:           8
        .value_kind:     hidden_hostcall_buffer
    .group_segment_fixed_size: 0
    .kernarg_segment_align: 8
    .kernarg_segment_size: 336
    .language:       OpenCL C
    .language_version:
      - 2
      - 0
    .max_flat_workgroup_size: 1024
    .name:           _Z11wvSplitKrc_I14__hip_bfloat16Li64ELi16ELi4ELi8ELi1ELi32ELi2ELi2ELi0EEviiiiiiPKT_S3_S3_PfPiPS1_i
    .private_segment_fixed_size: 64
    .sgpr_count:     40
    .sgpr_spill_count: 0
    .symbol:         _Z11wvSplitKrc_I14__hip_bfloat16Li64ELi16ELi4ELi8ELi1ELi32ELi2ELi2ELi0EEviiiiiiPKT_S3_S3_PfPiPS1_i.kd
    .uniform_work_group_size: 1
    .uses_dynamic_stack: false
    .vgpr_count:     40
    .vgpr_spill_count: 0
    .wavefront_size: 64
  - .agpr_count:     0
    .args:
      - .offset:         0
        .size:           4
        .value_kind:     by_value
      - .offset:         4
        .size:           4
        .value_kind:     by_value
      - .offset:         8
        .size:           4
        .value_kind:     by_value
      - .offset:         12
        .size:           4
        .value_kind:     by_value
      - .offset:         16
        .size:           4
        .value_kind:     by_value
      - .offset:         20
        .size:           4
        .value_kind:     by_value
      - .address_space:  global
        .offset:         24
        .size:           8
        .value_kind:     global_buffer
      - .actual_access:  read_only
        .address_space:  global
        .offset:         32
        .size:           8
        .value_kind:     global_buffer
      - .actual_access:  read_only
        .address_space:  global
        .offset:         40
        .size:           8
        .value_kind:     global_buffer
      - .address_space:  global
        .offset:         48
        .size:           8
        .value_kind:     global_buffer
      - .address_space:  global
        .offset:         56
        .size:           8
        .value_kind:     global_buffer
      - .address_space:  global
        .offset:         64
        .size:           8
        .value_kind:     global_buffer
      - .offset:         72
        .size:           4
        .value_kind:     by_value
      - .offset:         80
        .size:           4
        .value_kind:     hidden_block_count_x
      - .offset:         84
        .size:           4
        .value_kind:     hidden_block_count_y
      - .offset:         88
        .size:           4
        .value_kind:     hidden_block_count_z
      - .offset:         92
        .size:           2
        .value_kind:     hidden_group_size_x
      - .offset:         94
        .size:           2
        .value_kind:     hidden_group_size_y
      - .offset:         96
        .size:           2
        .value_kind:     hidden_group_size_z
      - .offset:         98
        .size:           2
        .value_kind:     hidden_remainder_x
      - .offset:         100
        .size:           2
        .value_kind:     hidden_remainder_y
      - .offset:         102
        .size:           2
        .value_kind:     hidden_remainder_z
      - .offset:         120
        .size:           8
        .value_kind:     hidden_global_offset_x
      - .offset:         128
        .size:           8
        .value_kind:     hidden_global_offset_y
      - .offset:         136
        .size:           8
        .value_kind:     hidden_global_offset_z
      - .offset:         144
        .size:           2
        .value_kind:     hidden_grid_dims
      - .offset:         160
        .size:           8
        .value_kind:     hidden_hostcall_buffer
    .group_segment_fixed_size: 0
    .kernarg_segment_align: 8
    .kernarg_segment_size: 336
    .language:       OpenCL C
    .language_version:
      - 2
      - 0
    .max_flat_workgroup_size: 1024
    .name:           _Z11wvSplitKrc_I14__hip_bfloat16Li64ELi16ELi4ELi8ELi1ELi32ELi2ELi1ELi1EEviiiiiiPKT_S3_S3_PfPiPS1_i
    .private_segment_fixed_size: 64
    .sgpr_count:     40
    .sgpr_spill_count: 0
    .symbol:         _Z11wvSplitKrc_I14__hip_bfloat16Li64ELi16ELi4ELi8ELi1ELi32ELi2ELi1ELi1EEviiiiiiPKT_S3_S3_PfPiPS1_i.kd
    .uniform_work_group_size: 1
    .uses_dynamic_stack: false
    .vgpr_count:     40
    .vgpr_spill_count: 0
    .wavefront_size: 64
  - .agpr_count:     0
    .args:
      - .offset:         0
        .size:           4
        .value_kind:     by_value
      - .offset:         4
        .size:           4
        .value_kind:     by_value
      - .offset:         8
        .size:           4
        .value_kind:     by_value
      - .offset:         12
        .size:           4
        .value_kind:     by_value
      - .offset:         16
        .size:           4
        .value_kind:     by_value
      - .offset:         20
        .size:           4
        .value_kind:     by_value
      - .address_space:  global
        .offset:         24
        .size:           8
        .value_kind:     global_buffer
      - .actual_access:  read_only
        .address_space:  global
        .offset:         32
        .size:           8
        .value_kind:     global_buffer
      - .actual_access:  read_only
        .address_space:  global
        .offset:         40
        .size:           8
        .value_kind:     global_buffer
      - .address_space:  global
        .offset:         48
        .size:           8
        .value_kind:     global_buffer
      - .address_space:  global
        .offset:         56
        .size:           8
        .value_kind:     global_buffer
      - .address_space:  global
        .offset:         64
        .size:           8
        .value_kind:     global_buffer
      - .offset:         72
        .size:           4
        .value_kind:     by_value
      - .offset:         80
        .size:           4
        .value_kind:     hidden_block_count_x
      - .offset:         84
        .size:           4
        .value_kind:     hidden_block_count_y
      - .offset:         88
        .size:           4
        .value_kind:     hidden_block_count_z
      - .offset:         92
        .size:           2
        .value_kind:     hidden_group_size_x
      - .offset:         94
        .size:           2
        .value_kind:     hidden_group_size_y
      - .offset:         96
        .size:           2
        .value_kind:     hidden_group_size_z
      - .offset:         98
        .size:           2
        .value_kind:     hidden_remainder_x
      - .offset:         100
        .size:           2
        .value_kind:     hidden_remainder_y
      - .offset:         102
        .size:           2
        .value_kind:     hidden_remainder_z
      - .offset:         120
        .size:           8
        .value_kind:     hidden_global_offset_x
      - .offset:         128
        .size:           8
        .value_kind:     hidden_global_offset_y
      - .offset:         136
        .size:           8
        .value_kind:     hidden_global_offset_z
      - .offset:         144
        .size:           2
        .value_kind:     hidden_grid_dims
      - .offset:         160
        .size:           8
        .value_kind:     hidden_hostcall_buffer
    .group_segment_fixed_size: 0
    .kernarg_segment_align: 8
    .kernarg_segment_size: 336
    .language:       OpenCL C
    .language_version:
      - 2
      - 0
    .max_flat_workgroup_size: 1024
    .name:           _Z11wvSplitKrc_I14__hip_bfloat16Li64ELi16ELi4ELi8ELi1ELi32ELi2ELi1ELi0EEviiiiiiPKT_S3_S3_PfPiPS1_i
    .private_segment_fixed_size: 64
    .sgpr_count:     40
    .sgpr_spill_count: 0
    .symbol:         _Z11wvSplitKrc_I14__hip_bfloat16Li64ELi16ELi4ELi8ELi1ELi32ELi2ELi1ELi0EEviiiiiiPKT_S3_S3_PfPiPS1_i.kd
    .uniform_work_group_size: 1
    .uses_dynamic_stack: false
    .vgpr_count:     40
    .vgpr_spill_count: 0
    .wavefront_size: 64
  - .agpr_count:     0
    .args:
      - .offset:         0
        .size:           4
        .value_kind:     by_value
      - .offset:         4
        .size:           4
        .value_kind:     by_value
      - .offset:         8
        .size:           4
        .value_kind:     by_value
      - .offset:         12
        .size:           4
        .value_kind:     by_value
      - .offset:         16
        .size:           4
        .value_kind:     by_value
      - .offset:         20
        .size:           4
        .value_kind:     by_value
      - .address_space:  global
        .offset:         24
        .size:           8
        .value_kind:     global_buffer
      - .actual_access:  read_only
        .address_space:  global
        .offset:         32
        .size:           8
        .value_kind:     global_buffer
      - .actual_access:  read_only
        .address_space:  global
        .offset:         40
        .size:           8
        .value_kind:     global_buffer
      - .address_space:  global
        .offset:         48
        .size:           8
        .value_kind:     global_buffer
      - .address_space:  global
        .offset:         56
        .size:           8
        .value_kind:     global_buffer
      - .address_space:  global
        .offset:         64
        .size:           8
        .value_kind:     global_buffer
      - .offset:         72
        .size:           4
        .value_kind:     by_value
      - .offset:         80
        .size:           4
        .value_kind:     hidden_block_count_x
      - .offset:         84
        .size:           4
        .value_kind:     hidden_block_count_y
      - .offset:         88
        .size:           4
        .value_kind:     hidden_block_count_z
      - .offset:         92
        .size:           2
        .value_kind:     hidden_group_size_x
      - .offset:         94
        .size:           2
        .value_kind:     hidden_group_size_y
      - .offset:         96
        .size:           2
        .value_kind:     hidden_group_size_z
      - .offset:         98
        .size:           2
        .value_kind:     hidden_remainder_x
      - .offset:         100
        .size:           2
        .value_kind:     hidden_remainder_y
      - .offset:         102
        .size:           2
        .value_kind:     hidden_remainder_z
      - .offset:         120
        .size:           8
        .value_kind:     hidden_global_offset_x
      - .offset:         128
        .size:           8
        .value_kind:     hidden_global_offset_y
      - .offset:         136
        .size:           8
        .value_kind:     hidden_global_offset_z
      - .offset:         144
        .size:           2
        .value_kind:     hidden_grid_dims
      - .offset:         160
        .size:           8
        .value_kind:     hidden_hostcall_buffer
    .group_segment_fixed_size: 0
    .kernarg_segment_align: 8
    .kernarg_segment_size: 336
    .language:       OpenCL C
    .language_version:
      - 2
      - 0
    .max_flat_workgroup_size: 1024
    .name:           _Z11wvSplitKrc_I14__hip_bfloat16Li64ELi16ELi4ELi8ELi1ELi64ELi4ELi2ELi1EEviiiiiiPKT_S3_S3_PfPiPS1_i
    .private_segment_fixed_size: 64
    .sgpr_count:     40
    .sgpr_spill_count: 0
    .symbol:         _Z11wvSplitKrc_I14__hip_bfloat16Li64ELi16ELi4ELi8ELi1ELi64ELi4ELi2ELi1EEviiiiiiPKT_S3_S3_PfPiPS1_i.kd
    .uniform_work_group_size: 1
    .uses_dynamic_stack: false
    .vgpr_count:     40
    .vgpr_spill_count: 0
    .wavefront_size: 64
  - .agpr_count:     0
    .args:
      - .offset:         0
        .size:           4
        .value_kind:     by_value
      - .offset:         4
        .size:           4
        .value_kind:     by_value
      - .offset:         8
        .size:           4
        .value_kind:     by_value
      - .offset:         12
        .size:           4
        .value_kind:     by_value
      - .offset:         16
        .size:           4
        .value_kind:     by_value
      - .offset:         20
        .size:           4
        .value_kind:     by_value
      - .address_space:  global
        .offset:         24
        .size:           8
        .value_kind:     global_buffer
      - .actual_access:  read_only
        .address_space:  global
        .offset:         32
        .size:           8
        .value_kind:     global_buffer
      - .actual_access:  read_only
        .address_space:  global
        .offset:         40
        .size:           8
        .value_kind:     global_buffer
      - .address_space:  global
        .offset:         48
        .size:           8
        .value_kind:     global_buffer
      - .address_space:  global
        .offset:         56
        .size:           8
        .value_kind:     global_buffer
      - .address_space:  global
        .offset:         64
        .size:           8
        .value_kind:     global_buffer
      - .offset:         72
        .size:           4
        .value_kind:     by_value
      - .offset:         80
        .size:           4
        .value_kind:     hidden_block_count_x
      - .offset:         84
        .size:           4
        .value_kind:     hidden_block_count_y
      - .offset:         88
        .size:           4
        .value_kind:     hidden_block_count_z
      - .offset:         92
        .size:           2
        .value_kind:     hidden_group_size_x
      - .offset:         94
        .size:           2
        .value_kind:     hidden_group_size_y
      - .offset:         96
        .size:           2
        .value_kind:     hidden_group_size_z
      - .offset:         98
        .size:           2
        .value_kind:     hidden_remainder_x
      - .offset:         100
        .size:           2
        .value_kind:     hidden_remainder_y
      - .offset:         102
        .size:           2
        .value_kind:     hidden_remainder_z
      - .offset:         120
        .size:           8
        .value_kind:     hidden_global_offset_x
      - .offset:         128
        .size:           8
        .value_kind:     hidden_global_offset_y
      - .offset:         136
        .size:           8
        .value_kind:     hidden_global_offset_z
      - .offset:         144
        .size:           2
        .value_kind:     hidden_grid_dims
      - .offset:         160
        .size:           8
        .value_kind:     hidden_hostcall_buffer
    .group_segment_fixed_size: 0
    .kernarg_segment_align: 8
    .kernarg_segment_size: 336
    .language:       OpenCL C
    .language_version:
      - 2
      - 0
    .max_flat_workgroup_size: 1024
    .name:           _Z11wvSplitKrc_I14__hip_bfloat16Li64ELi16ELi4ELi8ELi1ELi64ELi4ELi2ELi0EEviiiiiiPKT_S3_S3_PfPiPS1_i
    .private_segment_fixed_size: 64
    .sgpr_count:     40
    .sgpr_spill_count: 0
    .symbol:         _Z11wvSplitKrc_I14__hip_bfloat16Li64ELi16ELi4ELi8ELi1ELi64ELi4ELi2ELi0EEviiiiiiPKT_S3_S3_PfPiPS1_i.kd
    .uniform_work_group_size: 1
    .uses_dynamic_stack: false
    .vgpr_count:     40
    .vgpr_spill_count: 0
    .wavefront_size: 64
  - .agpr_count:     0
    .args:
      - .offset:         0
        .size:           4
        .value_kind:     by_value
      - .offset:         4
        .size:           4
        .value_kind:     by_value
      - .offset:         8
        .size:           4
        .value_kind:     by_value
      - .offset:         12
        .size:           4
        .value_kind:     by_value
      - .offset:         16
        .size:           4
        .value_kind:     by_value
      - .offset:         20
        .size:           4
        .value_kind:     by_value
      - .address_space:  global
        .offset:         24
        .size:           8
        .value_kind:     global_buffer
      - .actual_access:  read_only
        .address_space:  global
        .offset:         32
        .size:           8
        .value_kind:     global_buffer
      - .actual_access:  read_only
        .address_space:  global
        .offset:         40
        .size:           8
        .value_kind:     global_buffer
      - .address_space:  global
        .offset:         48
        .size:           8
        .value_kind:     global_buffer
      - .address_space:  global
        .offset:         56
        .size:           8
        .value_kind:     global_buffer
      - .address_space:  global
        .offset:         64
        .size:           8
        .value_kind:     global_buffer
      - .offset:         72
        .size:           4
        .value_kind:     by_value
      - .offset:         80
        .size:           4
        .value_kind:     hidden_block_count_x
      - .offset:         84
        .size:           4
        .value_kind:     hidden_block_count_y
      - .offset:         88
        .size:           4
        .value_kind:     hidden_block_count_z
      - .offset:         92
        .size:           2
        .value_kind:     hidden_group_size_x
      - .offset:         94
        .size:           2
        .value_kind:     hidden_group_size_y
      - .offset:         96
        .size:           2
        .value_kind:     hidden_group_size_z
      - .offset:         98
        .size:           2
        .value_kind:     hidden_remainder_x
      - .offset:         100
        .size:           2
        .value_kind:     hidden_remainder_y
      - .offset:         102
        .size:           2
        .value_kind:     hidden_remainder_z
      - .offset:         120
        .size:           8
        .value_kind:     hidden_global_offset_x
      - .offset:         128
        .size:           8
        .value_kind:     hidden_global_offset_y
      - .offset:         136
        .size:           8
        .value_kind:     hidden_global_offset_z
      - .offset:         144
        .size:           2
        .value_kind:     hidden_grid_dims
      - .offset:         160
        .size:           8
        .value_kind:     hidden_hostcall_buffer
    .group_segment_fixed_size: 0
    .kernarg_segment_align: 8
    .kernarg_segment_size: 336
    .language:       OpenCL C
    .language_version:
      - 2
      - 0
    .max_flat_workgroup_size: 1024
    .name:           _Z11wvSplitKrc_I14__hip_bfloat16Li64ELi16ELi4ELi8ELi1ELi64ELi4ELi1ELi1EEviiiiiiPKT_S3_S3_PfPiPS1_i
    .private_segment_fixed_size: 64
    .sgpr_count:     40
    .sgpr_spill_count: 0
    .symbol:         _Z11wvSplitKrc_I14__hip_bfloat16Li64ELi16ELi4ELi8ELi1ELi64ELi4ELi1ELi1EEviiiiiiPKT_S3_S3_PfPiPS1_i.kd
    .uniform_work_group_size: 1
    .uses_dynamic_stack: false
    .vgpr_count:     40
    .vgpr_spill_count: 0
    .wavefront_size: 64
  - .agpr_count:     0
    .args:
      - .offset:         0
        .size:           4
        .value_kind:     by_value
      - .offset:         4
        .size:           4
        .value_kind:     by_value
      - .offset:         8
        .size:           4
        .value_kind:     by_value
      - .offset:         12
        .size:           4
        .value_kind:     by_value
      - .offset:         16
        .size:           4
        .value_kind:     by_value
      - .offset:         20
        .size:           4
        .value_kind:     by_value
      - .address_space:  global
        .offset:         24
        .size:           8
        .value_kind:     global_buffer
      - .actual_access:  read_only
        .address_space:  global
        .offset:         32
        .size:           8
        .value_kind:     global_buffer
      - .actual_access:  read_only
        .address_space:  global
        .offset:         40
        .size:           8
        .value_kind:     global_buffer
      - .address_space:  global
        .offset:         48
        .size:           8
        .value_kind:     global_buffer
      - .address_space:  global
        .offset:         56
        .size:           8
        .value_kind:     global_buffer
      - .address_space:  global
        .offset:         64
        .size:           8
        .value_kind:     global_buffer
      - .offset:         72
        .size:           4
        .value_kind:     by_value
      - .offset:         80
        .size:           4
        .value_kind:     hidden_block_count_x
      - .offset:         84
        .size:           4
        .value_kind:     hidden_block_count_y
      - .offset:         88
        .size:           4
        .value_kind:     hidden_block_count_z
      - .offset:         92
        .size:           2
        .value_kind:     hidden_group_size_x
      - .offset:         94
        .size:           2
        .value_kind:     hidden_group_size_y
      - .offset:         96
        .size:           2
        .value_kind:     hidden_group_size_z
      - .offset:         98
        .size:           2
        .value_kind:     hidden_remainder_x
      - .offset:         100
        .size:           2
        .value_kind:     hidden_remainder_y
      - .offset:         102
        .size:           2
        .value_kind:     hidden_remainder_z
      - .offset:         120
        .size:           8
        .value_kind:     hidden_global_offset_x
      - .offset:         128
        .size:           8
        .value_kind:     hidden_global_offset_y
      - .offset:         136
        .size:           8
        .value_kind:     hidden_global_offset_z
      - .offset:         144
        .size:           2
        .value_kind:     hidden_grid_dims
      - .offset:         160
        .size:           8
        .value_kind:     hidden_hostcall_buffer
    .group_segment_fixed_size: 0
    .kernarg_segment_align: 8
    .kernarg_segment_size: 336
    .language:       OpenCL C
    .language_version:
      - 2
      - 0
    .max_flat_workgroup_size: 1024
    .name:           _Z11wvSplitKrc_I14__hip_bfloat16Li64ELi16ELi4ELi8ELi1ELi64ELi4ELi1ELi0EEviiiiiiPKT_S3_S3_PfPiPS1_i
    .private_segment_fixed_size: 64
    .sgpr_count:     40
    .sgpr_spill_count: 0
    .symbol:         _Z11wvSplitKrc_I14__hip_bfloat16Li64ELi16ELi4ELi8ELi1ELi64ELi4ELi1ELi0EEviiiiiiPKT_S3_S3_PfPiPS1_i.kd
    .uniform_work_group_size: 1
    .uses_dynamic_stack: false
    .vgpr_count:     40
    .vgpr_spill_count: 0
    .wavefront_size: 64
  - .agpr_count:     0
    .args:
      - .offset:         0
        .size:           4
        .value_kind:     by_value
      - .offset:         4
        .size:           4
        .value_kind:     by_value
      - .offset:         8
        .size:           4
        .value_kind:     by_value
      - .offset:         12
        .size:           4
        .value_kind:     by_value
      - .offset:         16
        .size:           4
        .value_kind:     by_value
      - .offset:         20
        .size:           4
        .value_kind:     by_value
      - .address_space:  global
        .offset:         24
        .size:           8
        .value_kind:     global_buffer
      - .actual_access:  read_only
        .address_space:  global
        .offset:         32
        .size:           8
        .value_kind:     global_buffer
      - .actual_access:  read_only
        .address_space:  global
        .offset:         40
        .size:           8
        .value_kind:     global_buffer
      - .address_space:  global
        .offset:         48
        .size:           8
        .value_kind:     global_buffer
      - .address_space:  global
        .offset:         56
        .size:           8
        .value_kind:     global_buffer
      - .address_space:  global
        .offset:         64
        .size:           8
        .value_kind:     global_buffer
      - .offset:         72
        .size:           4
        .value_kind:     by_value
      - .offset:         80
        .size:           4
        .value_kind:     hidden_block_count_x
      - .offset:         84
        .size:           4
        .value_kind:     hidden_block_count_y
      - .offset:         88
        .size:           4
        .value_kind:     hidden_block_count_z
      - .offset:         92
        .size:           2
        .value_kind:     hidden_group_size_x
      - .offset:         94
        .size:           2
        .value_kind:     hidden_group_size_y
      - .offset:         96
        .size:           2
        .value_kind:     hidden_group_size_z
      - .offset:         98
        .size:           2
        .value_kind:     hidden_remainder_x
      - .offset:         100
        .size:           2
        .value_kind:     hidden_remainder_y
      - .offset:         102
        .size:           2
        .value_kind:     hidden_remainder_z
      - .offset:         120
        .size:           8
        .value_kind:     hidden_global_offset_x
      - .offset:         128
        .size:           8
        .value_kind:     hidden_global_offset_y
      - .offset:         136
        .size:           8
        .value_kind:     hidden_global_offset_z
      - .offset:         144
        .size:           2
        .value_kind:     hidden_grid_dims
      - .offset:         160
        .size:           8
        .value_kind:     hidden_hostcall_buffer
    .group_segment_fixed_size: 0
    .kernarg_segment_align: 8
    .kernarg_segment_size: 336
    .language:       OpenCL C
    .language_version:
      - 2
      - 0
    .max_flat_workgroup_size: 1024
    .name:           _Z11wvSplitKrc_I14__hip_bfloat16Li64ELi16ELi4ELi8ELi1ELi128ELi4ELi2ELi1EEviiiiiiPKT_S3_S3_PfPiPS1_i
    .private_segment_fixed_size: 64
    .sgpr_count:     40
    .sgpr_spill_count: 0
    .symbol:         _Z11wvSplitKrc_I14__hip_bfloat16Li64ELi16ELi4ELi8ELi1ELi128ELi4ELi2ELi1EEviiiiiiPKT_S3_S3_PfPiPS1_i.kd
    .uniform_work_group_size: 1
    .uses_dynamic_stack: false
    .vgpr_count:     40
    .vgpr_spill_count: 0
    .wavefront_size: 64
  - .agpr_count:     0
    .args:
      - .offset:         0
        .size:           4
        .value_kind:     by_value
      - .offset:         4
        .size:           4
        .value_kind:     by_value
      - .offset:         8
        .size:           4
        .value_kind:     by_value
      - .offset:         12
        .size:           4
        .value_kind:     by_value
      - .offset:         16
        .size:           4
        .value_kind:     by_value
      - .offset:         20
        .size:           4
        .value_kind:     by_value
      - .address_space:  global
        .offset:         24
        .size:           8
        .value_kind:     global_buffer
      - .actual_access:  read_only
        .address_space:  global
        .offset:         32
        .size:           8
        .value_kind:     global_buffer
      - .actual_access:  read_only
        .address_space:  global
        .offset:         40
        .size:           8
        .value_kind:     global_buffer
      - .address_space:  global
        .offset:         48
        .size:           8
        .value_kind:     global_buffer
      - .address_space:  global
        .offset:         56
        .size:           8
        .value_kind:     global_buffer
      - .address_space:  global
        .offset:         64
        .size:           8
        .value_kind:     global_buffer
      - .offset:         72
        .size:           4
        .value_kind:     by_value
      - .offset:         80
        .size:           4
        .value_kind:     hidden_block_count_x
      - .offset:         84
        .size:           4
        .value_kind:     hidden_block_count_y
      - .offset:         88
        .size:           4
        .value_kind:     hidden_block_count_z
      - .offset:         92
        .size:           2
        .value_kind:     hidden_group_size_x
      - .offset:         94
        .size:           2
        .value_kind:     hidden_group_size_y
      - .offset:         96
        .size:           2
        .value_kind:     hidden_group_size_z
      - .offset:         98
        .size:           2
        .value_kind:     hidden_remainder_x
      - .offset:         100
        .size:           2
        .value_kind:     hidden_remainder_y
      - .offset:         102
        .size:           2
        .value_kind:     hidden_remainder_z
      - .offset:         120
        .size:           8
        .value_kind:     hidden_global_offset_x
      - .offset:         128
        .size:           8
        .value_kind:     hidden_global_offset_y
      - .offset:         136
        .size:           8
        .value_kind:     hidden_global_offset_z
      - .offset:         144
        .size:           2
        .value_kind:     hidden_grid_dims
      - .offset:         160
        .size:           8
        .value_kind:     hidden_hostcall_buffer
    .group_segment_fixed_size: 0
    .kernarg_segment_align: 8
    .kernarg_segment_size: 336
    .language:       OpenCL C
    .language_version:
      - 2
      - 0
    .max_flat_workgroup_size: 1024
    .name:           _Z11wvSplitKrc_I14__hip_bfloat16Li64ELi16ELi4ELi8ELi1ELi128ELi4ELi2ELi0EEviiiiiiPKT_S3_S3_PfPiPS1_i
    .private_segment_fixed_size: 64
    .sgpr_count:     40
    .sgpr_spill_count: 0
    .symbol:         _Z11wvSplitKrc_I14__hip_bfloat16Li64ELi16ELi4ELi8ELi1ELi128ELi4ELi2ELi0EEviiiiiiPKT_S3_S3_PfPiPS1_i.kd
    .uniform_work_group_size: 1
    .uses_dynamic_stack: false
    .vgpr_count:     40
    .vgpr_spill_count: 0
    .wavefront_size: 64
  - .agpr_count:     0
    .args:
      - .offset:         0
        .size:           4
        .value_kind:     by_value
      - .offset:         4
        .size:           4
        .value_kind:     by_value
      - .offset:         8
        .size:           4
        .value_kind:     by_value
      - .offset:         12
        .size:           4
        .value_kind:     by_value
      - .offset:         16
        .size:           4
        .value_kind:     by_value
      - .offset:         20
        .size:           4
        .value_kind:     by_value
      - .address_space:  global
        .offset:         24
        .size:           8
        .value_kind:     global_buffer
      - .actual_access:  read_only
        .address_space:  global
        .offset:         32
        .size:           8
        .value_kind:     global_buffer
      - .actual_access:  read_only
        .address_space:  global
        .offset:         40
        .size:           8
        .value_kind:     global_buffer
      - .address_space:  global
        .offset:         48
        .size:           8
        .value_kind:     global_buffer
      - .address_space:  global
        .offset:         56
        .size:           8
        .value_kind:     global_buffer
      - .address_space:  global
        .offset:         64
        .size:           8
        .value_kind:     global_buffer
      - .offset:         72
        .size:           4
        .value_kind:     by_value
      - .offset:         80
        .size:           4
        .value_kind:     hidden_block_count_x
      - .offset:         84
        .size:           4
        .value_kind:     hidden_block_count_y
      - .offset:         88
        .size:           4
        .value_kind:     hidden_block_count_z
      - .offset:         92
        .size:           2
        .value_kind:     hidden_group_size_x
      - .offset:         94
        .size:           2
        .value_kind:     hidden_group_size_y
      - .offset:         96
        .size:           2
        .value_kind:     hidden_group_size_z
      - .offset:         98
        .size:           2
        .value_kind:     hidden_remainder_x
      - .offset:         100
        .size:           2
        .value_kind:     hidden_remainder_y
      - .offset:         102
        .size:           2
        .value_kind:     hidden_remainder_z
      - .offset:         120
        .size:           8
        .value_kind:     hidden_global_offset_x
      - .offset:         128
        .size:           8
        .value_kind:     hidden_global_offset_y
      - .offset:         136
        .size:           8
        .value_kind:     hidden_global_offset_z
      - .offset:         144
        .size:           2
        .value_kind:     hidden_grid_dims
      - .offset:         160
        .size:           8
        .value_kind:     hidden_hostcall_buffer
    .group_segment_fixed_size: 0
    .kernarg_segment_align: 8
    .kernarg_segment_size: 336
    .language:       OpenCL C
    .language_version:
      - 2
      - 0
    .max_flat_workgroup_size: 1024
    .name:           _Z11wvSplitKrc_I14__hip_bfloat16Li64ELi16ELi4ELi8ELi1ELi128ELi4ELi1ELi1EEviiiiiiPKT_S3_S3_PfPiPS1_i
    .private_segment_fixed_size: 64
    .sgpr_count:     40
    .sgpr_spill_count: 0
    .symbol:         _Z11wvSplitKrc_I14__hip_bfloat16Li64ELi16ELi4ELi8ELi1ELi128ELi4ELi1ELi1EEviiiiiiPKT_S3_S3_PfPiPS1_i.kd
    .uniform_work_group_size: 1
    .uses_dynamic_stack: false
    .vgpr_count:     40
    .vgpr_spill_count: 0
    .wavefront_size: 64
  - .agpr_count:     0
    .args:
      - .offset:         0
        .size:           4
        .value_kind:     by_value
      - .offset:         4
        .size:           4
        .value_kind:     by_value
      - .offset:         8
        .size:           4
        .value_kind:     by_value
      - .offset:         12
        .size:           4
        .value_kind:     by_value
      - .offset:         16
        .size:           4
        .value_kind:     by_value
      - .offset:         20
        .size:           4
        .value_kind:     by_value
      - .address_space:  global
        .offset:         24
        .size:           8
        .value_kind:     global_buffer
      - .actual_access:  read_only
        .address_space:  global
        .offset:         32
        .size:           8
        .value_kind:     global_buffer
      - .actual_access:  read_only
        .address_space:  global
        .offset:         40
        .size:           8
        .value_kind:     global_buffer
      - .address_space:  global
        .offset:         48
        .size:           8
        .value_kind:     global_buffer
      - .address_space:  global
        .offset:         56
        .size:           8
        .value_kind:     global_buffer
      - .address_space:  global
        .offset:         64
        .size:           8
        .value_kind:     global_buffer
      - .offset:         72
        .size:           4
        .value_kind:     by_value
      - .offset:         80
        .size:           4
        .value_kind:     hidden_block_count_x
      - .offset:         84
        .size:           4
        .value_kind:     hidden_block_count_y
      - .offset:         88
        .size:           4
        .value_kind:     hidden_block_count_z
      - .offset:         92
        .size:           2
        .value_kind:     hidden_group_size_x
      - .offset:         94
        .size:           2
        .value_kind:     hidden_group_size_y
      - .offset:         96
        .size:           2
        .value_kind:     hidden_group_size_z
      - .offset:         98
        .size:           2
        .value_kind:     hidden_remainder_x
      - .offset:         100
        .size:           2
        .value_kind:     hidden_remainder_y
      - .offset:         102
        .size:           2
        .value_kind:     hidden_remainder_z
      - .offset:         120
        .size:           8
        .value_kind:     hidden_global_offset_x
      - .offset:         128
        .size:           8
        .value_kind:     hidden_global_offset_y
      - .offset:         136
        .size:           8
        .value_kind:     hidden_global_offset_z
      - .offset:         144
        .size:           2
        .value_kind:     hidden_grid_dims
      - .offset:         160
        .size:           8
        .value_kind:     hidden_hostcall_buffer
    .group_segment_fixed_size: 0
    .kernarg_segment_align: 8
    .kernarg_segment_size: 336
    .language:       OpenCL C
    .language_version:
      - 2
      - 0
    .max_flat_workgroup_size: 1024
    .name:           _Z11wvSplitKrc_I14__hip_bfloat16Li64ELi16ELi4ELi8ELi1ELi128ELi4ELi1ELi0EEviiiiiiPKT_S3_S3_PfPiPS1_i
    .private_segment_fixed_size: 64
    .sgpr_count:     40
    .sgpr_spill_count: 0
    .symbol:         _Z11wvSplitKrc_I14__hip_bfloat16Li64ELi16ELi4ELi8ELi1ELi128ELi4ELi1ELi0EEviiiiiiPKT_S3_S3_PfPiPS1_i.kd
    .uniform_work_group_size: 1
    .uses_dynamic_stack: false
    .vgpr_count:     40
    .vgpr_spill_count: 0
    .wavefront_size: 64
  - .agpr_count:     0
    .args:
      - .offset:         0
        .size:           4
        .value_kind:     by_value
      - .offset:         4
        .size:           4
        .value_kind:     by_value
      - .offset:         8
        .size:           4
        .value_kind:     by_value
      - .offset:         12
        .size:           4
        .value_kind:     by_value
      - .offset:         16
        .size:           4
        .value_kind:     by_value
      - .offset:         20
        .size:           4
        .value_kind:     by_value
      - .address_space:  global
        .offset:         24
        .size:           8
        .value_kind:     global_buffer
      - .actual_access:  read_only
        .address_space:  global
        .offset:         32
        .size:           8
        .value_kind:     global_buffer
      - .actual_access:  read_only
        .address_space:  global
        .offset:         40
        .size:           8
        .value_kind:     global_buffer
      - .address_space:  global
        .offset:         48
        .size:           8
        .value_kind:     global_buffer
      - .actual_access:  read_only
        .address_space:  global
        .offset:         56
        .size:           8
        .value_kind:     global_buffer
      - .actual_access:  read_only
        .address_space:  global
        .offset:         64
        .size:           8
        .value_kind:     global_buffer
      - .offset:         72
        .size:           4
        .value_kind:     by_value
      - .offset:         76
        .size:           4
        .value_kind:     by_value
    .group_segment_fixed_size: 65536
    .kernarg_segment_align: 8
    .kernarg_segment_size: 80
    .language:       OpenCL C
    .language_version:
      - 2
      - 0
    .max_flat_workgroup_size: 512
    .name:           _Z17wvSplitKQ_hf_sml_I6__halfN3c1013Float8_e4m3fnELi32ELi2ELi16ELi16ELi2ELi1EEviiiiiiPKT0_S5_PKT_PS6_PKfSB_ii
    .private_segment_fixed_size: 0
    .sgpr_count:     34
    .sgpr_spill_count: 0
    .symbol:         _Z17wvSplitKQ_hf_sml_I6__halfN3c1013Float8_e4m3fnELi32ELi2ELi16ELi16ELi2ELi1EEviiiiiiPKT0_S5_PKT_PS6_PKfSB_ii.kd
    .uniform_work_group_size: 1
    .uses_dynamic_stack: false
    .vgpr_count:     46
    .vgpr_spill_count: 0
    .wavefront_size: 64
  - .agpr_count:     0
    .args:
      - .offset:         0
        .size:           4
        .value_kind:     by_value
      - .offset:         4
        .size:           4
        .value_kind:     by_value
      - .offset:         8
        .size:           4
        .value_kind:     by_value
      - .offset:         12
        .size:           4
        .value_kind:     by_value
      - .offset:         16
        .size:           4
        .value_kind:     by_value
      - .offset:         20
        .size:           4
        .value_kind:     by_value
      - .address_space:  global
        .offset:         24
        .size:           8
        .value_kind:     global_buffer
      - .actual_access:  read_only
        .address_space:  global
        .offset:         32
        .size:           8
        .value_kind:     global_buffer
      - .actual_access:  read_only
        .address_space:  global
        .offset:         40
        .size:           8
        .value_kind:     global_buffer
      - .address_space:  global
        .offset:         48
        .size:           8
        .value_kind:     global_buffer
      - .actual_access:  read_only
        .address_space:  global
        .offset:         56
        .size:           8
        .value_kind:     global_buffer
      - .actual_access:  read_only
        .address_space:  global
        .offset:         64
        .size:           8
        .value_kind:     global_buffer
      - .offset:         72
        .size:           4
        .value_kind:     by_value
      - .offset:         76
        .size:           4
        .value_kind:     by_value
    .group_segment_fixed_size: 65536
    .kernarg_segment_align: 8
    .kernarg_segment_size: 80
    .language:       OpenCL C
    .language_version:
      - 2
      - 0
    .max_flat_workgroup_size: 512
    .name:           _Z13wvSplitKQ_hf_I6__halfN3c1013Float8_e4m3fnELi32ELi2ELi16ELi16ELi2ELi1EEviiiiiiPKT0_S5_PKT_PS6_PKfSB_ii
    .private_segment_fixed_size: 0
    .sgpr_count:     40
    .sgpr_spill_count: 0
    .symbol:         _Z13wvSplitKQ_hf_I6__halfN3c1013Float8_e4m3fnELi32ELi2ELi16ELi16ELi2ELi1EEviiiiiiPKT0_S5_PKT_PS6_PKfSB_ii.kd
    .uniform_work_group_size: 1
    .uses_dynamic_stack: false
    .vgpr_count:     46
    .vgpr_spill_count: 0
    .wavefront_size: 64
  - .agpr_count:     0
    .args:
      - .offset:         0
        .size:           4
        .value_kind:     by_value
      - .offset:         4
        .size:           4
        .value_kind:     by_value
      - .offset:         8
        .size:           4
        .value_kind:     by_value
      - .offset:         12
        .size:           4
        .value_kind:     by_value
      - .offset:         16
        .size:           4
        .value_kind:     by_value
      - .offset:         20
        .size:           4
        .value_kind:     by_value
      - .address_space:  global
        .offset:         24
        .size:           8
        .value_kind:     global_buffer
      - .actual_access:  read_only
        .address_space:  global
        .offset:         32
        .size:           8
        .value_kind:     global_buffer
      - .actual_access:  read_only
        .address_space:  global
        .offset:         40
        .size:           8
        .value_kind:     global_buffer
      - .address_space:  global
        .offset:         48
        .size:           8
        .value_kind:     global_buffer
      - .actual_access:  read_only
        .address_space:  global
        .offset:         56
        .size:           8
        .value_kind:     global_buffer
      - .actual_access:  read_only
        .address_space:  global
        .offset:         64
        .size:           8
        .value_kind:     global_buffer
      - .offset:         72
        .size:           4
        .value_kind:     by_value
      - .offset:         76
        .size:           4
        .value_kind:     by_value
    .group_segment_fixed_size: 65536
    .kernarg_segment_align: 8
    .kernarg_segment_size: 80
    .language:       OpenCL C
    .language_version:
      - 2
      - 0
    .max_flat_workgroup_size: 1024
    .name:           _Z17wvSplitKQ_hf_sml_I6__halfN3c1013Float8_e4m3fnELi64ELi2ELi16ELi16ELi2ELi1EEviiiiiiPKT0_S5_PKT_PS6_PKfSB_ii
    .private_segment_fixed_size: 0
    .sgpr_count:     34
    .sgpr_spill_count: 0
    .symbol:         _Z17wvSplitKQ_hf_sml_I6__halfN3c1013Float8_e4m3fnELi64ELi2ELi16ELi16ELi2ELi1EEviiiiiiPKT0_S5_PKT_PS6_PKfSB_ii.kd
    .uniform_work_group_size: 1
    .uses_dynamic_stack: false
    .vgpr_count:     46
    .vgpr_spill_count: 0
    .wavefront_size: 64
  - .agpr_count:     0
    .args:
      - .offset:         0
        .size:           4
        .value_kind:     by_value
      - .offset:         4
        .size:           4
        .value_kind:     by_value
      - .offset:         8
        .size:           4
        .value_kind:     by_value
      - .offset:         12
        .size:           4
        .value_kind:     by_value
      - .offset:         16
        .size:           4
        .value_kind:     by_value
      - .offset:         20
        .size:           4
        .value_kind:     by_value
      - .address_space:  global
        .offset:         24
        .size:           8
        .value_kind:     global_buffer
      - .actual_access:  read_only
        .address_space:  global
        .offset:         32
        .size:           8
        .value_kind:     global_buffer
      - .actual_access:  read_only
        .address_space:  global
        .offset:         40
        .size:           8
        .value_kind:     global_buffer
      - .address_space:  global
        .offset:         48
        .size:           8
        .value_kind:     global_buffer
      - .actual_access:  read_only
        .address_space:  global
        .offset:         56
        .size:           8
        .value_kind:     global_buffer
      - .actual_access:  read_only
        .address_space:  global
        .offset:         64
        .size:           8
        .value_kind:     global_buffer
      - .offset:         72
        .size:           4
        .value_kind:     by_value
      - .offset:         76
        .size:           4
        .value_kind:     by_value
    .group_segment_fixed_size: 65536
    .kernarg_segment_align: 8
    .kernarg_segment_size: 80
    .language:       OpenCL C
    .language_version:
      - 2
      - 0
    .max_flat_workgroup_size: 1024
    .name:           _Z13wvSplitKQ_hf_I6__halfN3c1013Float8_e4m3fnELi64ELi2ELi16ELi16ELi2ELi1EEviiiiiiPKT0_S5_PKT_PS6_PKfSB_ii
    .private_segment_fixed_size: 0
    .sgpr_count:     40
    .sgpr_spill_count: 0
    .symbol:         _Z13wvSplitKQ_hf_I6__halfN3c1013Float8_e4m3fnELi64ELi2ELi16ELi16ELi2ELi1EEviiiiiiPKT0_S5_PKT_PS6_PKfSB_ii.kd
    .uniform_work_group_size: 1
    .uses_dynamic_stack: false
    .vgpr_count:     46
    .vgpr_spill_count: 0
    .wavefront_size: 64
  - .agpr_count:     0
    .args:
      - .offset:         0
        .size:           4
        .value_kind:     by_value
      - .offset:         4
        .size:           4
        .value_kind:     by_value
      - .offset:         8
        .size:           4
        .value_kind:     by_value
      - .offset:         12
        .size:           4
        .value_kind:     by_value
      - .offset:         16
        .size:           4
        .value_kind:     by_value
      - .offset:         20
        .size:           4
        .value_kind:     by_value
      - .address_space:  global
        .offset:         24
        .size:           8
        .value_kind:     global_buffer
      - .actual_access:  read_only
        .address_space:  global
        .offset:         32
        .size:           8
        .value_kind:     global_buffer
      - .actual_access:  read_only
        .address_space:  global
        .offset:         40
        .size:           8
        .value_kind:     global_buffer
      - .address_space:  global
        .offset:         48
        .size:           8
        .value_kind:     global_buffer
      - .actual_access:  read_only
        .address_space:  global
        .offset:         56
        .size:           8
        .value_kind:     global_buffer
      - .actual_access:  read_only
        .address_space:  global
        .offset:         64
        .size:           8
        .value_kind:     global_buffer
      - .offset:         72
        .size:           4
        .value_kind:     by_value
      - .offset:         76
        .size:           4
        .value_kind:     by_value
    .group_segment_fixed_size: 65536
    .kernarg_segment_align: 8
    .kernarg_segment_size: 80
    .language:       OpenCL C
    .language_version:
      - 2
      - 0
    .max_flat_workgroup_size: 512
    .name:           _Z17wvSplitKQ_hf_sml_I6__halfN3c1013Float8_e4m3fnELi32ELi2ELi16ELi16ELi2ELi2EEviiiiiiPKT0_S5_PKT_PS6_PKfSB_ii
    .private_segment_fixed_size: 0
    .sgpr_count:     35
    .sgpr_spill_count: 0
    .symbol:         _Z17wvSplitKQ_hf_sml_I6__halfN3c1013Float8_e4m3fnELi32ELi2ELi16ELi16ELi2ELi2EEviiiiiiPKT0_S5_PKT_PS6_PKfSB_ii.kd
    .uniform_work_group_size: 1
    .uses_dynamic_stack: false
    .vgpr_count:     63
    .vgpr_spill_count: 0
    .wavefront_size: 64
  - .agpr_count:     0
    .args:
      - .offset:         0
        .size:           4
        .value_kind:     by_value
      - .offset:         4
        .size:           4
        .value_kind:     by_value
      - .offset:         8
        .size:           4
        .value_kind:     by_value
      - .offset:         12
        .size:           4
        .value_kind:     by_value
      - .offset:         16
        .size:           4
        .value_kind:     by_value
      - .offset:         20
        .size:           4
        .value_kind:     by_value
      - .address_space:  global
        .offset:         24
        .size:           8
        .value_kind:     global_buffer
      - .actual_access:  read_only
        .address_space:  global
        .offset:         32
        .size:           8
        .value_kind:     global_buffer
      - .actual_access:  read_only
        .address_space:  global
        .offset:         40
        .size:           8
        .value_kind:     global_buffer
      - .address_space:  global
        .offset:         48
        .size:           8
        .value_kind:     global_buffer
      - .actual_access:  read_only
        .address_space:  global
        .offset:         56
        .size:           8
        .value_kind:     global_buffer
      - .actual_access:  read_only
        .address_space:  global
        .offset:         64
        .size:           8
        .value_kind:     global_buffer
      - .offset:         72
        .size:           4
        .value_kind:     by_value
      - .offset:         76
        .size:           4
        .value_kind:     by_value
    .group_segment_fixed_size: 65536
    .kernarg_segment_align: 8
    .kernarg_segment_size: 80
    .language:       OpenCL C
    .language_version:
      - 2
      - 0
    .max_flat_workgroup_size: 512
    .name:           _Z13wvSplitKQ_hf_I6__halfN3c1013Float8_e4m3fnELi32ELi2ELi16ELi16ELi2ELi2EEviiiiiiPKT0_S5_PKT_PS6_PKfSB_ii
    .private_segment_fixed_size: 0
    .sgpr_count:     42
    .sgpr_spill_count: 0
    .symbol:         _Z13wvSplitKQ_hf_I6__halfN3c1013Float8_e4m3fnELi32ELi2ELi16ELi16ELi2ELi2EEviiiiiiPKT0_S5_PKT_PS6_PKfSB_ii.kd
    .uniform_work_group_size: 1
    .uses_dynamic_stack: false
    .vgpr_count:     62
    .vgpr_spill_count: 0
    .wavefront_size: 64
  - .agpr_count:     0
    .args:
      - .offset:         0
        .size:           4
        .value_kind:     by_value
      - .offset:         4
        .size:           4
        .value_kind:     by_value
      - .offset:         8
        .size:           4
        .value_kind:     by_value
      - .offset:         12
        .size:           4
        .value_kind:     by_value
      - .offset:         16
        .size:           4
        .value_kind:     by_value
      - .offset:         20
        .size:           4
        .value_kind:     by_value
      - .address_space:  global
        .offset:         24
        .size:           8
        .value_kind:     global_buffer
      - .actual_access:  read_only
        .address_space:  global
        .offset:         32
        .size:           8
        .value_kind:     global_buffer
      - .actual_access:  read_only
        .address_space:  global
        .offset:         40
        .size:           8
        .value_kind:     global_buffer
      - .address_space:  global
        .offset:         48
        .size:           8
        .value_kind:     global_buffer
      - .actual_access:  read_only
        .address_space:  global
        .offset:         56
        .size:           8
        .value_kind:     global_buffer
      - .actual_access:  read_only
        .address_space:  global
        .offset:         64
        .size:           8
        .value_kind:     global_buffer
      - .offset:         72
        .size:           4
        .value_kind:     by_value
      - .offset:         76
        .size:           4
        .value_kind:     by_value
    .group_segment_fixed_size: 65536
    .kernarg_segment_align: 8
    .kernarg_segment_size: 80
    .language:       OpenCL C
    .language_version:
      - 2
      - 0
    .max_flat_workgroup_size: 1024
    .name:           _Z17wvSplitKQ_hf_sml_I6__halfN3c1013Float8_e4m3fnELi64ELi2ELi16ELi16ELi2ELi2EEviiiiiiPKT0_S5_PKT_PS6_PKfSB_ii
    .private_segment_fixed_size: 0
    .sgpr_count:     35
    .sgpr_spill_count: 0
    .symbol:         _Z17wvSplitKQ_hf_sml_I6__halfN3c1013Float8_e4m3fnELi64ELi2ELi16ELi16ELi2ELi2EEviiiiiiPKT0_S5_PKT_PS6_PKfSB_ii.kd
    .uniform_work_group_size: 1
    .uses_dynamic_stack: false
    .vgpr_count:     63
    .vgpr_spill_count: 0
    .wavefront_size: 64
  - .agpr_count:     0
    .args:
      - .offset:         0
        .size:           4
        .value_kind:     by_value
      - .offset:         4
        .size:           4
        .value_kind:     by_value
      - .offset:         8
        .size:           4
        .value_kind:     by_value
      - .offset:         12
        .size:           4
        .value_kind:     by_value
      - .offset:         16
        .size:           4
        .value_kind:     by_value
      - .offset:         20
        .size:           4
        .value_kind:     by_value
      - .address_space:  global
        .offset:         24
        .size:           8
        .value_kind:     global_buffer
      - .actual_access:  read_only
        .address_space:  global
        .offset:         32
        .size:           8
        .value_kind:     global_buffer
      - .actual_access:  read_only
        .address_space:  global
        .offset:         40
        .size:           8
        .value_kind:     global_buffer
      - .address_space:  global
        .offset:         48
        .size:           8
        .value_kind:     global_buffer
      - .actual_access:  read_only
        .address_space:  global
        .offset:         56
        .size:           8
        .value_kind:     global_buffer
      - .actual_access:  read_only
        .address_space:  global
        .offset:         64
        .size:           8
        .value_kind:     global_buffer
      - .offset:         72
        .size:           4
        .value_kind:     by_value
      - .offset:         76
        .size:           4
        .value_kind:     by_value
    .group_segment_fixed_size: 65536
    .kernarg_segment_align: 8
    .kernarg_segment_size: 80
    .language:       OpenCL C
    .language_version:
      - 2
      - 0
    .max_flat_workgroup_size: 1024
    .name:           _Z13wvSplitKQ_hf_I6__halfN3c1013Float8_e4m3fnELi64ELi2ELi16ELi16ELi2ELi2EEviiiiiiPKT0_S5_PKT_PS6_PKfSB_ii
    .private_segment_fixed_size: 0
    .sgpr_count:     42
    .sgpr_spill_count: 0
    .symbol:         _Z13wvSplitKQ_hf_I6__halfN3c1013Float8_e4m3fnELi64ELi2ELi16ELi16ELi2ELi2EEviiiiiiPKT0_S5_PKT_PS6_PKfSB_ii.kd
    .uniform_work_group_size: 1
    .uses_dynamic_stack: false
    .vgpr_count:     62
    .vgpr_spill_count: 0
    .wavefront_size: 64
  - .agpr_count:     0
    .args:
      - .offset:         0
        .size:           4
        .value_kind:     by_value
      - .offset:         4
        .size:           4
        .value_kind:     by_value
      - .offset:         8
        .size:           4
        .value_kind:     by_value
      - .offset:         12
        .size:           4
        .value_kind:     by_value
      - .offset:         16
        .size:           4
        .value_kind:     by_value
      - .offset:         20
        .size:           4
        .value_kind:     by_value
      - .address_space:  global
        .offset:         24
        .size:           8
        .value_kind:     global_buffer
      - .actual_access:  read_only
        .address_space:  global
        .offset:         32
        .size:           8
        .value_kind:     global_buffer
      - .actual_access:  read_only
        .address_space:  global
        .offset:         40
        .size:           8
        .value_kind:     global_buffer
      - .address_space:  global
        .offset:         48
        .size:           8
        .value_kind:     global_buffer
      - .actual_access:  read_only
        .address_space:  global
        .offset:         56
        .size:           8
        .value_kind:     global_buffer
      - .actual_access:  read_only
        .address_space:  global
        .offset:         64
        .size:           8
        .value_kind:     global_buffer
      - .offset:         72
        .size:           4
        .value_kind:     by_value
      - .offset:         76
        .size:           4
        .value_kind:     by_value
    .group_segment_fixed_size: 65536
    .kernarg_segment_align: 8
    .kernarg_segment_size: 80
    .language:       OpenCL C
    .language_version:
      - 2
      - 0
    .max_flat_workgroup_size: 512
    .name:           _Z17wvSplitKQ_hf_sml_I6__halfN3c1013Float8_e4m3fnELi32ELi2ELi16ELi16ELi1ELi3EEviiiiiiPKT0_S5_PKT_PS6_PKfSB_ii
    .private_segment_fixed_size: 0
    .sgpr_count:     37
    .sgpr_spill_count: 0
    .symbol:         _Z17wvSplitKQ_hf_sml_I6__halfN3c1013Float8_e4m3fnELi32ELi2ELi16ELi16ELi1ELi3EEviiiiiiPKT0_S5_PKT_PS6_PKfSB_ii.kd
    .uniform_work_group_size: 1
    .uses_dynamic_stack: false
    .vgpr_count:     59
    .vgpr_spill_count: 0
    .wavefront_size: 64
  - .agpr_count:     0
    .args:
      - .offset:         0
        .size:           4
        .value_kind:     by_value
      - .offset:         4
        .size:           4
        .value_kind:     by_value
      - .offset:         8
        .size:           4
        .value_kind:     by_value
      - .offset:         12
        .size:           4
        .value_kind:     by_value
      - .offset:         16
        .size:           4
        .value_kind:     by_value
      - .offset:         20
        .size:           4
        .value_kind:     by_value
      - .address_space:  global
        .offset:         24
        .size:           8
        .value_kind:     global_buffer
      - .actual_access:  read_only
        .address_space:  global
        .offset:         32
        .size:           8
        .value_kind:     global_buffer
      - .actual_access:  read_only
        .address_space:  global
        .offset:         40
        .size:           8
        .value_kind:     global_buffer
      - .address_space:  global
        .offset:         48
        .size:           8
        .value_kind:     global_buffer
      - .actual_access:  read_only
        .address_space:  global
        .offset:         56
        .size:           8
        .value_kind:     global_buffer
      - .actual_access:  read_only
        .address_space:  global
        .offset:         64
        .size:           8
        .value_kind:     global_buffer
      - .offset:         72
        .size:           4
        .value_kind:     by_value
      - .offset:         76
        .size:           4
        .value_kind:     by_value
    .group_segment_fixed_size: 65536
    .kernarg_segment_align: 8
    .kernarg_segment_size: 80
    .language:       OpenCL C
    .language_version:
      - 2
      - 0
    .max_flat_workgroup_size: 512
    .name:           _Z13wvSplitKQ_hf_I6__halfN3c1013Float8_e4m3fnELi32ELi2ELi16ELi16ELi1ELi3EEviiiiiiPKT0_S5_PKT_PS6_PKfSB_ii
    .private_segment_fixed_size: 0
    .sgpr_count:     41
    .sgpr_spill_count: 0
    .symbol:         _Z13wvSplitKQ_hf_I6__halfN3c1013Float8_e4m3fnELi32ELi2ELi16ELi16ELi1ELi3EEviiiiiiPKT0_S5_PKT_PS6_PKfSB_ii.kd
    .uniform_work_group_size: 1
    .uses_dynamic_stack: false
    .vgpr_count:     59
    .vgpr_spill_count: 0
    .wavefront_size: 64
  - .agpr_count:     0
    .args:
      - .offset:         0
        .size:           4
        .value_kind:     by_value
      - .offset:         4
        .size:           4
        .value_kind:     by_value
      - .offset:         8
        .size:           4
        .value_kind:     by_value
      - .offset:         12
        .size:           4
        .value_kind:     by_value
      - .offset:         16
        .size:           4
        .value_kind:     by_value
      - .offset:         20
        .size:           4
        .value_kind:     by_value
      - .address_space:  global
        .offset:         24
        .size:           8
        .value_kind:     global_buffer
      - .actual_access:  read_only
        .address_space:  global
        .offset:         32
        .size:           8
        .value_kind:     global_buffer
      - .actual_access:  read_only
        .address_space:  global
        .offset:         40
        .size:           8
        .value_kind:     global_buffer
      - .address_space:  global
        .offset:         48
        .size:           8
        .value_kind:     global_buffer
      - .actual_access:  read_only
        .address_space:  global
        .offset:         56
        .size:           8
        .value_kind:     global_buffer
      - .actual_access:  read_only
        .address_space:  global
        .offset:         64
        .size:           8
        .value_kind:     global_buffer
      - .offset:         72
        .size:           4
        .value_kind:     by_value
      - .offset:         76
        .size:           4
        .value_kind:     by_value
    .group_segment_fixed_size: 65536
    .kernarg_segment_align: 8
    .kernarg_segment_size: 80
    .language:       OpenCL C
    .language_version:
      - 2
      - 0
    .max_flat_workgroup_size: 1024
    .name:           _Z17wvSplitKQ_hf_sml_I6__halfN3c1013Float8_e4m3fnELi64ELi2ELi16ELi16ELi1ELi3EEviiiiiiPKT0_S5_PKT_PS6_PKfSB_ii
    .private_segment_fixed_size: 0
    .sgpr_count:     37
    .sgpr_spill_count: 0
    .symbol:         _Z17wvSplitKQ_hf_sml_I6__halfN3c1013Float8_e4m3fnELi64ELi2ELi16ELi16ELi1ELi3EEviiiiiiPKT0_S5_PKT_PS6_PKfSB_ii.kd
    .uniform_work_group_size: 1
    .uses_dynamic_stack: false
    .vgpr_count:     59
    .vgpr_spill_count: 0
    .wavefront_size: 64
  - .agpr_count:     0
    .args:
      - .offset:         0
        .size:           4
        .value_kind:     by_value
      - .offset:         4
        .size:           4
        .value_kind:     by_value
      - .offset:         8
        .size:           4
        .value_kind:     by_value
      - .offset:         12
        .size:           4
        .value_kind:     by_value
      - .offset:         16
        .size:           4
        .value_kind:     by_value
      - .offset:         20
        .size:           4
        .value_kind:     by_value
      - .address_space:  global
        .offset:         24
        .size:           8
        .value_kind:     global_buffer
      - .actual_access:  read_only
        .address_space:  global
        .offset:         32
        .size:           8
        .value_kind:     global_buffer
      - .actual_access:  read_only
        .address_space:  global
        .offset:         40
        .size:           8
        .value_kind:     global_buffer
      - .address_space:  global
        .offset:         48
        .size:           8
        .value_kind:     global_buffer
      - .actual_access:  read_only
        .address_space:  global
        .offset:         56
        .size:           8
        .value_kind:     global_buffer
      - .actual_access:  read_only
        .address_space:  global
        .offset:         64
        .size:           8
        .value_kind:     global_buffer
      - .offset:         72
        .size:           4
        .value_kind:     by_value
      - .offset:         76
        .size:           4
        .value_kind:     by_value
    .group_segment_fixed_size: 65536
    .kernarg_segment_align: 8
    .kernarg_segment_size: 80
    .language:       OpenCL C
    .language_version:
      - 2
      - 0
    .max_flat_workgroup_size: 1024
    .name:           _Z13wvSplitKQ_hf_I6__halfN3c1013Float8_e4m3fnELi64ELi2ELi16ELi16ELi1ELi3EEviiiiiiPKT0_S5_PKT_PS6_PKfSB_ii
    .private_segment_fixed_size: 0
    .sgpr_count:     41
    .sgpr_spill_count: 0
    .symbol:         _Z13wvSplitKQ_hf_I6__halfN3c1013Float8_e4m3fnELi64ELi2ELi16ELi16ELi1ELi3EEviiiiiiPKT0_S5_PKT_PS6_PKfSB_ii.kd
    .uniform_work_group_size: 1
    .uses_dynamic_stack: false
    .vgpr_count:     59
    .vgpr_spill_count: 0
    .wavefront_size: 64
  - .agpr_count:     0
    .args:
      - .offset:         0
        .size:           4
        .value_kind:     by_value
      - .offset:         4
        .size:           4
        .value_kind:     by_value
      - .offset:         8
        .size:           4
        .value_kind:     by_value
      - .offset:         12
        .size:           4
        .value_kind:     by_value
      - .offset:         16
        .size:           4
        .value_kind:     by_value
      - .offset:         20
        .size:           4
        .value_kind:     by_value
      - .address_space:  global
        .offset:         24
        .size:           8
        .value_kind:     global_buffer
      - .actual_access:  read_only
        .address_space:  global
        .offset:         32
        .size:           8
        .value_kind:     global_buffer
      - .actual_access:  read_only
        .address_space:  global
        .offset:         40
        .size:           8
        .value_kind:     global_buffer
      - .address_space:  global
        .offset:         48
        .size:           8
        .value_kind:     global_buffer
      - .actual_access:  read_only
        .address_space:  global
        .offset:         56
        .size:           8
        .value_kind:     global_buffer
      - .actual_access:  read_only
        .address_space:  global
        .offset:         64
        .size:           8
        .value_kind:     global_buffer
      - .offset:         72
        .size:           4
        .value_kind:     by_value
      - .offset:         76
        .size:           4
        .value_kind:     by_value
    .group_segment_fixed_size: 65536
    .kernarg_segment_align: 8
    .kernarg_segment_size: 80
    .language:       OpenCL C
    .language_version:
      - 2
      - 0
    .max_flat_workgroup_size: 512
    .name:           _Z17wvSplitKQ_hf_sml_I6__halfN3c1013Float8_e4m3fnELi32ELi2ELi16ELi16ELi1ELi4EEviiiiiiPKT0_S5_PKT_PS6_PKfSB_ii
    .private_segment_fixed_size: 0
    .sgpr_count:     40
    .sgpr_spill_count: 0
    .symbol:         _Z17wvSplitKQ_hf_sml_I6__halfN3c1013Float8_e4m3fnELi32ELi2ELi16ELi16ELi1ELi4EEviiiiiiPKT0_S5_PKT_PS6_PKfSB_ii.kd
    .uniform_work_group_size: 1
    .uses_dynamic_stack: false
    .vgpr_count:     72
    .vgpr_spill_count: 0
    .wavefront_size: 64
  - .agpr_count:     0
    .args:
      - .offset:         0
        .size:           4
        .value_kind:     by_value
      - .offset:         4
        .size:           4
        .value_kind:     by_value
      - .offset:         8
        .size:           4
        .value_kind:     by_value
      - .offset:         12
        .size:           4
        .value_kind:     by_value
      - .offset:         16
        .size:           4
        .value_kind:     by_value
      - .offset:         20
        .size:           4
        .value_kind:     by_value
      - .address_space:  global
        .offset:         24
        .size:           8
        .value_kind:     global_buffer
      - .actual_access:  read_only
        .address_space:  global
        .offset:         32
        .size:           8
        .value_kind:     global_buffer
      - .actual_access:  read_only
        .address_space:  global
        .offset:         40
        .size:           8
        .value_kind:     global_buffer
      - .address_space:  global
        .offset:         48
        .size:           8
        .value_kind:     global_buffer
      - .actual_access:  read_only
        .address_space:  global
        .offset:         56
        .size:           8
        .value_kind:     global_buffer
      - .actual_access:  read_only
        .address_space:  global
        .offset:         64
        .size:           8
        .value_kind:     global_buffer
      - .offset:         72
        .size:           4
        .value_kind:     by_value
      - .offset:         76
        .size:           4
        .value_kind:     by_value
    .group_segment_fixed_size: 65536
    .kernarg_segment_align: 8
    .kernarg_segment_size: 80
    .language:       OpenCL C
    .language_version:
      - 2
      - 0
    .max_flat_workgroup_size: 512
    .name:           _Z13wvSplitKQ_hf_I6__halfN3c1013Float8_e4m3fnELi32ELi2ELi16ELi16ELi1ELi4EEviiiiiiPKT0_S5_PKT_PS6_PKfSB_ii
    .private_segment_fixed_size: 0
    .sgpr_count:     43
    .sgpr_spill_count: 0
    .symbol:         _Z13wvSplitKQ_hf_I6__halfN3c1013Float8_e4m3fnELi32ELi2ELi16ELi16ELi1ELi4EEviiiiiiPKT0_S5_PKT_PS6_PKfSB_ii.kd
    .uniform_work_group_size: 1
    .uses_dynamic_stack: false
    .vgpr_count:     72
    .vgpr_spill_count: 0
    .wavefront_size: 64
  - .agpr_count:     0
    .args:
      - .offset:         0
        .size:           4
        .value_kind:     by_value
      - .offset:         4
        .size:           4
        .value_kind:     by_value
      - .offset:         8
        .size:           4
        .value_kind:     by_value
      - .offset:         12
        .size:           4
        .value_kind:     by_value
      - .offset:         16
        .size:           4
        .value_kind:     by_value
      - .offset:         20
        .size:           4
        .value_kind:     by_value
      - .address_space:  global
        .offset:         24
        .size:           8
        .value_kind:     global_buffer
      - .actual_access:  read_only
        .address_space:  global
        .offset:         32
        .size:           8
        .value_kind:     global_buffer
      - .actual_access:  read_only
        .address_space:  global
        .offset:         40
        .size:           8
        .value_kind:     global_buffer
      - .address_space:  global
        .offset:         48
        .size:           8
        .value_kind:     global_buffer
      - .actual_access:  read_only
        .address_space:  global
        .offset:         56
        .size:           8
        .value_kind:     global_buffer
      - .actual_access:  read_only
        .address_space:  global
        .offset:         64
        .size:           8
        .value_kind:     global_buffer
      - .offset:         72
        .size:           4
        .value_kind:     by_value
      - .offset:         76
        .size:           4
        .value_kind:     by_value
    .group_segment_fixed_size: 65536
    .kernarg_segment_align: 8
    .kernarg_segment_size: 80
    .language:       OpenCL C
    .language_version:
      - 2
      - 0
    .max_flat_workgroup_size: 1024
    .name:           _Z17wvSplitKQ_hf_sml_I6__halfN3c1013Float8_e4m3fnELi64ELi2ELi16ELi16ELi1ELi4EEviiiiiiPKT0_S5_PKT_PS6_PKfSB_ii
    .private_segment_fixed_size: 0
    .sgpr_count:     40
    .sgpr_spill_count: 0
    .symbol:         _Z17wvSplitKQ_hf_sml_I6__halfN3c1013Float8_e4m3fnELi64ELi2ELi16ELi16ELi1ELi4EEviiiiiiPKT0_S5_PKT_PS6_PKfSB_ii.kd
    .uniform_work_group_size: 1
    .uses_dynamic_stack: false
    .vgpr_count:     72
    .vgpr_spill_count: 0
    .wavefront_size: 64
  - .agpr_count:     0
    .args:
      - .offset:         0
        .size:           4
        .value_kind:     by_value
      - .offset:         4
        .size:           4
        .value_kind:     by_value
      - .offset:         8
        .size:           4
        .value_kind:     by_value
      - .offset:         12
        .size:           4
        .value_kind:     by_value
      - .offset:         16
        .size:           4
        .value_kind:     by_value
      - .offset:         20
        .size:           4
        .value_kind:     by_value
      - .address_space:  global
        .offset:         24
        .size:           8
        .value_kind:     global_buffer
      - .actual_access:  read_only
        .address_space:  global
        .offset:         32
        .size:           8
        .value_kind:     global_buffer
      - .actual_access:  read_only
        .address_space:  global
        .offset:         40
        .size:           8
        .value_kind:     global_buffer
      - .address_space:  global
        .offset:         48
        .size:           8
        .value_kind:     global_buffer
      - .actual_access:  read_only
        .address_space:  global
        .offset:         56
        .size:           8
        .value_kind:     global_buffer
      - .actual_access:  read_only
        .address_space:  global
        .offset:         64
        .size:           8
        .value_kind:     global_buffer
      - .offset:         72
        .size:           4
        .value_kind:     by_value
      - .offset:         76
        .size:           4
        .value_kind:     by_value
    .group_segment_fixed_size: 65536
    .kernarg_segment_align: 8
    .kernarg_segment_size: 80
    .language:       OpenCL C
    .language_version:
      - 2
      - 0
    .max_flat_workgroup_size: 1024
    .name:           _Z13wvSplitKQ_hf_I6__halfN3c1013Float8_e4m3fnELi64ELi2ELi16ELi16ELi1ELi4EEviiiiiiPKT0_S5_PKT_PS6_PKfSB_ii
    .private_segment_fixed_size: 0
    .sgpr_count:     43
    .sgpr_spill_count: 0
    .symbol:         _Z13wvSplitKQ_hf_I6__halfN3c1013Float8_e4m3fnELi64ELi2ELi16ELi16ELi1ELi4EEviiiiiiPKT0_S5_PKT_PS6_PKfSB_ii.kd
    .uniform_work_group_size: 1
    .uses_dynamic_stack: false
    .vgpr_count:     72
    .vgpr_spill_count: 0
    .wavefront_size: 64
  - .agpr_count:     0
    .args:
      - .offset:         0
        .size:           4
        .value_kind:     by_value
      - .offset:         4
        .size:           4
        .value_kind:     by_value
      - .offset:         8
        .size:           4
        .value_kind:     by_value
      - .offset:         12
        .size:           4
        .value_kind:     by_value
      - .offset:         16
        .size:           4
        .value_kind:     by_value
      - .offset:         20
        .size:           4
        .value_kind:     by_value
      - .address_space:  global
        .offset:         24
        .size:           8
        .value_kind:     global_buffer
      - .actual_access:  read_only
        .address_space:  global
        .offset:         32
        .size:           8
        .value_kind:     global_buffer
      - .actual_access:  read_only
        .address_space:  global
        .offset:         40
        .size:           8
        .value_kind:     global_buffer
      - .address_space:  global
        .offset:         48
        .size:           8
        .value_kind:     global_buffer
      - .actual_access:  read_only
        .address_space:  global
        .offset:         56
        .size:           8
        .value_kind:     global_buffer
      - .actual_access:  read_only
        .address_space:  global
        .offset:         64
        .size:           8
        .value_kind:     global_buffer
      - .offset:         72
        .size:           4
        .value_kind:     by_value
      - .offset:         76
        .size:           4
        .value_kind:     by_value
    .group_segment_fixed_size: 65536
    .kernarg_segment_align: 8
    .kernarg_segment_size: 80
    .language:       OpenCL C
    .language_version:
      - 2
      - 0
    .max_flat_workgroup_size: 512
    .name:           _Z17wvSplitKQ_hf_sml_I6__halfN3c1015Float8_e4m3fnuzELi32ELi2ELi16ELi16ELi2ELi1EEviiiiiiPKT0_S5_PKT_PS6_PKfSB_ii
    .private_segment_fixed_size: 0
    .sgpr_count:     34
    .sgpr_spill_count: 0
    .symbol:         _Z17wvSplitKQ_hf_sml_I6__halfN3c1015Float8_e4m3fnuzELi32ELi2ELi16ELi16ELi2ELi1EEviiiiiiPKT0_S5_PKT_PS6_PKfSB_ii.kd
    .uniform_work_group_size: 1
    .uses_dynamic_stack: false
    .vgpr_count:     46
    .vgpr_spill_count: 0
    .wavefront_size: 64
  - .agpr_count:     0
    .args:
      - .offset:         0
        .size:           4
        .value_kind:     by_value
      - .offset:         4
        .size:           4
        .value_kind:     by_value
      - .offset:         8
        .size:           4
        .value_kind:     by_value
      - .offset:         12
        .size:           4
        .value_kind:     by_value
      - .offset:         16
        .size:           4
        .value_kind:     by_value
      - .offset:         20
        .size:           4
        .value_kind:     by_value
      - .address_space:  global
        .offset:         24
        .size:           8
        .value_kind:     global_buffer
      - .actual_access:  read_only
        .address_space:  global
        .offset:         32
        .size:           8
        .value_kind:     global_buffer
      - .actual_access:  read_only
        .address_space:  global
        .offset:         40
        .size:           8
        .value_kind:     global_buffer
      - .address_space:  global
        .offset:         48
        .size:           8
        .value_kind:     global_buffer
      - .actual_access:  read_only
        .address_space:  global
        .offset:         56
        .size:           8
        .value_kind:     global_buffer
      - .actual_access:  read_only
        .address_space:  global
        .offset:         64
        .size:           8
        .value_kind:     global_buffer
      - .offset:         72
        .size:           4
        .value_kind:     by_value
      - .offset:         76
        .size:           4
        .value_kind:     by_value
    .group_segment_fixed_size: 65536
    .kernarg_segment_align: 8
    .kernarg_segment_size: 80
    .language:       OpenCL C
    .language_version:
      - 2
      - 0
    .max_flat_workgroup_size: 512
    .name:           _Z13wvSplitKQ_hf_I6__halfN3c1015Float8_e4m3fnuzELi32ELi2ELi16ELi16ELi2ELi1EEviiiiiiPKT0_S5_PKT_PS6_PKfSB_ii
    .private_segment_fixed_size: 0
    .sgpr_count:     40
    .sgpr_spill_count: 0
    .symbol:         _Z13wvSplitKQ_hf_I6__halfN3c1015Float8_e4m3fnuzELi32ELi2ELi16ELi16ELi2ELi1EEviiiiiiPKT0_S5_PKT_PS6_PKfSB_ii.kd
    .uniform_work_group_size: 1
    .uses_dynamic_stack: false
    .vgpr_count:     46
    .vgpr_spill_count: 0
    .wavefront_size: 64
  - .agpr_count:     0
    .args:
      - .offset:         0
        .size:           4
        .value_kind:     by_value
      - .offset:         4
        .size:           4
        .value_kind:     by_value
      - .offset:         8
        .size:           4
        .value_kind:     by_value
      - .offset:         12
        .size:           4
        .value_kind:     by_value
      - .offset:         16
        .size:           4
        .value_kind:     by_value
      - .offset:         20
        .size:           4
        .value_kind:     by_value
      - .address_space:  global
        .offset:         24
        .size:           8
        .value_kind:     global_buffer
      - .actual_access:  read_only
        .address_space:  global
        .offset:         32
        .size:           8
        .value_kind:     global_buffer
      - .actual_access:  read_only
        .address_space:  global
        .offset:         40
        .size:           8
        .value_kind:     global_buffer
      - .address_space:  global
        .offset:         48
        .size:           8
        .value_kind:     global_buffer
      - .actual_access:  read_only
        .address_space:  global
        .offset:         56
        .size:           8
        .value_kind:     global_buffer
      - .actual_access:  read_only
        .address_space:  global
        .offset:         64
        .size:           8
        .value_kind:     global_buffer
      - .offset:         72
        .size:           4
        .value_kind:     by_value
      - .offset:         76
        .size:           4
        .value_kind:     by_value
    .group_segment_fixed_size: 65536
    .kernarg_segment_align: 8
    .kernarg_segment_size: 80
    .language:       OpenCL C
    .language_version:
      - 2
      - 0
    .max_flat_workgroup_size: 1024
    .name:           _Z17wvSplitKQ_hf_sml_I6__halfN3c1015Float8_e4m3fnuzELi64ELi2ELi16ELi16ELi2ELi1EEviiiiiiPKT0_S5_PKT_PS6_PKfSB_ii
    .private_segment_fixed_size: 0
    .sgpr_count:     34
    .sgpr_spill_count: 0
    .symbol:         _Z17wvSplitKQ_hf_sml_I6__halfN3c1015Float8_e4m3fnuzELi64ELi2ELi16ELi16ELi2ELi1EEviiiiiiPKT0_S5_PKT_PS6_PKfSB_ii.kd
    .uniform_work_group_size: 1
    .uses_dynamic_stack: false
    .vgpr_count:     46
    .vgpr_spill_count: 0
    .wavefront_size: 64
  - .agpr_count:     0
    .args:
      - .offset:         0
        .size:           4
        .value_kind:     by_value
      - .offset:         4
        .size:           4
        .value_kind:     by_value
      - .offset:         8
        .size:           4
        .value_kind:     by_value
      - .offset:         12
        .size:           4
        .value_kind:     by_value
      - .offset:         16
        .size:           4
        .value_kind:     by_value
      - .offset:         20
        .size:           4
        .value_kind:     by_value
      - .address_space:  global
        .offset:         24
        .size:           8
        .value_kind:     global_buffer
      - .actual_access:  read_only
        .address_space:  global
        .offset:         32
        .size:           8
        .value_kind:     global_buffer
      - .actual_access:  read_only
        .address_space:  global
        .offset:         40
        .size:           8
        .value_kind:     global_buffer
      - .address_space:  global
        .offset:         48
        .size:           8
        .value_kind:     global_buffer
      - .actual_access:  read_only
        .address_space:  global
        .offset:         56
        .size:           8
        .value_kind:     global_buffer
      - .actual_access:  read_only
        .address_space:  global
        .offset:         64
        .size:           8
        .value_kind:     global_buffer
      - .offset:         72
        .size:           4
        .value_kind:     by_value
      - .offset:         76
        .size:           4
        .value_kind:     by_value
    .group_segment_fixed_size: 65536
    .kernarg_segment_align: 8
    .kernarg_segment_size: 80
    .language:       OpenCL C
    .language_version:
      - 2
      - 0
    .max_flat_workgroup_size: 1024
    .name:           _Z13wvSplitKQ_hf_I6__halfN3c1015Float8_e4m3fnuzELi64ELi2ELi16ELi16ELi2ELi1EEviiiiiiPKT0_S5_PKT_PS6_PKfSB_ii
    .private_segment_fixed_size: 0
    .sgpr_count:     40
    .sgpr_spill_count: 0
    .symbol:         _Z13wvSplitKQ_hf_I6__halfN3c1015Float8_e4m3fnuzELi64ELi2ELi16ELi16ELi2ELi1EEviiiiiiPKT0_S5_PKT_PS6_PKfSB_ii.kd
    .uniform_work_group_size: 1
    .uses_dynamic_stack: false
    .vgpr_count:     46
    .vgpr_spill_count: 0
    .wavefront_size: 64
  - .agpr_count:     0
    .args:
      - .offset:         0
        .size:           4
        .value_kind:     by_value
      - .offset:         4
        .size:           4
        .value_kind:     by_value
      - .offset:         8
        .size:           4
        .value_kind:     by_value
      - .offset:         12
        .size:           4
        .value_kind:     by_value
      - .offset:         16
        .size:           4
        .value_kind:     by_value
      - .offset:         20
        .size:           4
        .value_kind:     by_value
      - .address_space:  global
        .offset:         24
        .size:           8
        .value_kind:     global_buffer
      - .actual_access:  read_only
        .address_space:  global
        .offset:         32
        .size:           8
        .value_kind:     global_buffer
      - .actual_access:  read_only
        .address_space:  global
        .offset:         40
        .size:           8
        .value_kind:     global_buffer
      - .address_space:  global
        .offset:         48
        .size:           8
        .value_kind:     global_buffer
      - .actual_access:  read_only
        .address_space:  global
        .offset:         56
        .size:           8
        .value_kind:     global_buffer
      - .actual_access:  read_only
        .address_space:  global
        .offset:         64
        .size:           8
        .value_kind:     global_buffer
      - .offset:         72
        .size:           4
        .value_kind:     by_value
      - .offset:         76
        .size:           4
        .value_kind:     by_value
    .group_segment_fixed_size: 65536
    .kernarg_segment_align: 8
    .kernarg_segment_size: 80
    .language:       OpenCL C
    .language_version:
      - 2
      - 0
    .max_flat_workgroup_size: 512
    .name:           _Z17wvSplitKQ_hf_sml_I6__halfN3c1015Float8_e4m3fnuzELi32ELi2ELi16ELi16ELi2ELi2EEviiiiiiPKT0_S5_PKT_PS6_PKfSB_ii
    .private_segment_fixed_size: 0
    .sgpr_count:     35
    .sgpr_spill_count: 0
    .symbol:         _Z17wvSplitKQ_hf_sml_I6__halfN3c1015Float8_e4m3fnuzELi32ELi2ELi16ELi16ELi2ELi2EEviiiiiiPKT0_S5_PKT_PS6_PKfSB_ii.kd
    .uniform_work_group_size: 1
    .uses_dynamic_stack: false
    .vgpr_count:     63
    .vgpr_spill_count: 0
    .wavefront_size: 64
  - .agpr_count:     0
    .args:
      - .offset:         0
        .size:           4
        .value_kind:     by_value
      - .offset:         4
        .size:           4
        .value_kind:     by_value
      - .offset:         8
        .size:           4
        .value_kind:     by_value
      - .offset:         12
        .size:           4
        .value_kind:     by_value
      - .offset:         16
        .size:           4
        .value_kind:     by_value
      - .offset:         20
        .size:           4
        .value_kind:     by_value
      - .address_space:  global
        .offset:         24
        .size:           8
        .value_kind:     global_buffer
      - .actual_access:  read_only
        .address_space:  global
        .offset:         32
        .size:           8
        .value_kind:     global_buffer
      - .actual_access:  read_only
        .address_space:  global
        .offset:         40
        .size:           8
        .value_kind:     global_buffer
      - .address_space:  global
        .offset:         48
        .size:           8
        .value_kind:     global_buffer
      - .actual_access:  read_only
        .address_space:  global
        .offset:         56
        .size:           8
        .value_kind:     global_buffer
      - .actual_access:  read_only
        .address_space:  global
        .offset:         64
        .size:           8
        .value_kind:     global_buffer
      - .offset:         72
        .size:           4
        .value_kind:     by_value
      - .offset:         76
        .size:           4
        .value_kind:     by_value
    .group_segment_fixed_size: 65536
    .kernarg_segment_align: 8
    .kernarg_segment_size: 80
    .language:       OpenCL C
    .language_version:
      - 2
      - 0
    .max_flat_workgroup_size: 512
    .name:           _Z13wvSplitKQ_hf_I6__halfN3c1015Float8_e4m3fnuzELi32ELi2ELi16ELi16ELi2ELi2EEviiiiiiPKT0_S5_PKT_PS6_PKfSB_ii
    .private_segment_fixed_size: 0
    .sgpr_count:     42
    .sgpr_spill_count: 0
    .symbol:         _Z13wvSplitKQ_hf_I6__halfN3c1015Float8_e4m3fnuzELi32ELi2ELi16ELi16ELi2ELi2EEviiiiiiPKT0_S5_PKT_PS6_PKfSB_ii.kd
    .uniform_work_group_size: 1
    .uses_dynamic_stack: false
    .vgpr_count:     62
    .vgpr_spill_count: 0
    .wavefront_size: 64
  - .agpr_count:     0
    .args:
      - .offset:         0
        .size:           4
        .value_kind:     by_value
      - .offset:         4
        .size:           4
        .value_kind:     by_value
      - .offset:         8
        .size:           4
        .value_kind:     by_value
      - .offset:         12
        .size:           4
        .value_kind:     by_value
      - .offset:         16
        .size:           4
        .value_kind:     by_value
      - .offset:         20
        .size:           4
        .value_kind:     by_value
      - .address_space:  global
        .offset:         24
        .size:           8
        .value_kind:     global_buffer
      - .actual_access:  read_only
        .address_space:  global
        .offset:         32
        .size:           8
        .value_kind:     global_buffer
      - .actual_access:  read_only
        .address_space:  global
        .offset:         40
        .size:           8
        .value_kind:     global_buffer
      - .address_space:  global
        .offset:         48
        .size:           8
        .value_kind:     global_buffer
      - .actual_access:  read_only
        .address_space:  global
        .offset:         56
        .size:           8
        .value_kind:     global_buffer
      - .actual_access:  read_only
        .address_space:  global
        .offset:         64
        .size:           8
        .value_kind:     global_buffer
      - .offset:         72
        .size:           4
        .value_kind:     by_value
      - .offset:         76
        .size:           4
        .value_kind:     by_value
    .group_segment_fixed_size: 65536
    .kernarg_segment_align: 8
    .kernarg_segment_size: 80
    .language:       OpenCL C
    .language_version:
      - 2
      - 0
    .max_flat_workgroup_size: 1024
    .name:           _Z17wvSplitKQ_hf_sml_I6__halfN3c1015Float8_e4m3fnuzELi64ELi2ELi16ELi16ELi2ELi2EEviiiiiiPKT0_S5_PKT_PS6_PKfSB_ii
    .private_segment_fixed_size: 0
    .sgpr_count:     35
    .sgpr_spill_count: 0
    .symbol:         _Z17wvSplitKQ_hf_sml_I6__halfN3c1015Float8_e4m3fnuzELi64ELi2ELi16ELi16ELi2ELi2EEviiiiiiPKT0_S5_PKT_PS6_PKfSB_ii.kd
    .uniform_work_group_size: 1
    .uses_dynamic_stack: false
    .vgpr_count:     63
    .vgpr_spill_count: 0
    .wavefront_size: 64
  - .agpr_count:     0
    .args:
      - .offset:         0
        .size:           4
        .value_kind:     by_value
      - .offset:         4
        .size:           4
        .value_kind:     by_value
      - .offset:         8
        .size:           4
        .value_kind:     by_value
      - .offset:         12
        .size:           4
        .value_kind:     by_value
      - .offset:         16
        .size:           4
        .value_kind:     by_value
      - .offset:         20
        .size:           4
        .value_kind:     by_value
      - .address_space:  global
        .offset:         24
        .size:           8
        .value_kind:     global_buffer
      - .actual_access:  read_only
        .address_space:  global
        .offset:         32
        .size:           8
        .value_kind:     global_buffer
      - .actual_access:  read_only
        .address_space:  global
        .offset:         40
        .size:           8
        .value_kind:     global_buffer
      - .address_space:  global
        .offset:         48
        .size:           8
        .value_kind:     global_buffer
      - .actual_access:  read_only
        .address_space:  global
        .offset:         56
        .size:           8
        .value_kind:     global_buffer
      - .actual_access:  read_only
        .address_space:  global
        .offset:         64
        .size:           8
        .value_kind:     global_buffer
      - .offset:         72
        .size:           4
        .value_kind:     by_value
      - .offset:         76
        .size:           4
        .value_kind:     by_value
    .group_segment_fixed_size: 65536
    .kernarg_segment_align: 8
    .kernarg_segment_size: 80
    .language:       OpenCL C
    .language_version:
      - 2
      - 0
    .max_flat_workgroup_size: 1024
    .name:           _Z13wvSplitKQ_hf_I6__halfN3c1015Float8_e4m3fnuzELi64ELi2ELi16ELi16ELi2ELi2EEviiiiiiPKT0_S5_PKT_PS6_PKfSB_ii
    .private_segment_fixed_size: 0
    .sgpr_count:     42
    .sgpr_spill_count: 0
    .symbol:         _Z13wvSplitKQ_hf_I6__halfN3c1015Float8_e4m3fnuzELi64ELi2ELi16ELi16ELi2ELi2EEviiiiiiPKT0_S5_PKT_PS6_PKfSB_ii.kd
    .uniform_work_group_size: 1
    .uses_dynamic_stack: false
    .vgpr_count:     62
    .vgpr_spill_count: 0
    .wavefront_size: 64
  - .agpr_count:     0
    .args:
      - .offset:         0
        .size:           4
        .value_kind:     by_value
      - .offset:         4
        .size:           4
        .value_kind:     by_value
      - .offset:         8
        .size:           4
        .value_kind:     by_value
      - .offset:         12
        .size:           4
        .value_kind:     by_value
      - .offset:         16
        .size:           4
        .value_kind:     by_value
      - .offset:         20
        .size:           4
        .value_kind:     by_value
      - .address_space:  global
        .offset:         24
        .size:           8
        .value_kind:     global_buffer
      - .actual_access:  read_only
        .address_space:  global
        .offset:         32
        .size:           8
        .value_kind:     global_buffer
      - .actual_access:  read_only
        .address_space:  global
        .offset:         40
        .size:           8
        .value_kind:     global_buffer
      - .address_space:  global
        .offset:         48
        .size:           8
        .value_kind:     global_buffer
      - .actual_access:  read_only
        .address_space:  global
        .offset:         56
        .size:           8
        .value_kind:     global_buffer
      - .actual_access:  read_only
        .address_space:  global
        .offset:         64
        .size:           8
        .value_kind:     global_buffer
      - .offset:         72
        .size:           4
        .value_kind:     by_value
      - .offset:         76
        .size:           4
        .value_kind:     by_value
    .group_segment_fixed_size: 65536
    .kernarg_segment_align: 8
    .kernarg_segment_size: 80
    .language:       OpenCL C
    .language_version:
      - 2
      - 0
    .max_flat_workgroup_size: 512
    .name:           _Z17wvSplitKQ_hf_sml_I6__halfN3c1015Float8_e4m3fnuzELi32ELi2ELi16ELi16ELi1ELi3EEviiiiiiPKT0_S5_PKT_PS6_PKfSB_ii
    .private_segment_fixed_size: 0
    .sgpr_count:     37
    .sgpr_spill_count: 0
    .symbol:         _Z17wvSplitKQ_hf_sml_I6__halfN3c1015Float8_e4m3fnuzELi32ELi2ELi16ELi16ELi1ELi3EEviiiiiiPKT0_S5_PKT_PS6_PKfSB_ii.kd
    .uniform_work_group_size: 1
    .uses_dynamic_stack: false
    .vgpr_count:     59
    .vgpr_spill_count: 0
    .wavefront_size: 64
  - .agpr_count:     0
    .args:
      - .offset:         0
        .size:           4
        .value_kind:     by_value
      - .offset:         4
        .size:           4
        .value_kind:     by_value
      - .offset:         8
        .size:           4
        .value_kind:     by_value
      - .offset:         12
        .size:           4
        .value_kind:     by_value
      - .offset:         16
        .size:           4
        .value_kind:     by_value
      - .offset:         20
        .size:           4
        .value_kind:     by_value
      - .address_space:  global
        .offset:         24
        .size:           8
        .value_kind:     global_buffer
      - .actual_access:  read_only
        .address_space:  global
        .offset:         32
        .size:           8
        .value_kind:     global_buffer
      - .actual_access:  read_only
        .address_space:  global
        .offset:         40
        .size:           8
        .value_kind:     global_buffer
      - .address_space:  global
        .offset:         48
        .size:           8
        .value_kind:     global_buffer
      - .actual_access:  read_only
        .address_space:  global
        .offset:         56
        .size:           8
        .value_kind:     global_buffer
      - .actual_access:  read_only
        .address_space:  global
        .offset:         64
        .size:           8
        .value_kind:     global_buffer
      - .offset:         72
        .size:           4
        .value_kind:     by_value
      - .offset:         76
        .size:           4
        .value_kind:     by_value
    .group_segment_fixed_size: 65536
    .kernarg_segment_align: 8
    .kernarg_segment_size: 80
    .language:       OpenCL C
    .language_version:
      - 2
      - 0
    .max_flat_workgroup_size: 512
    .name:           _Z13wvSplitKQ_hf_I6__halfN3c1015Float8_e4m3fnuzELi32ELi2ELi16ELi16ELi1ELi3EEviiiiiiPKT0_S5_PKT_PS6_PKfSB_ii
    .private_segment_fixed_size: 0
    .sgpr_count:     41
    .sgpr_spill_count: 0
    .symbol:         _Z13wvSplitKQ_hf_I6__halfN3c1015Float8_e4m3fnuzELi32ELi2ELi16ELi16ELi1ELi3EEviiiiiiPKT0_S5_PKT_PS6_PKfSB_ii.kd
    .uniform_work_group_size: 1
    .uses_dynamic_stack: false
    .vgpr_count:     59
    .vgpr_spill_count: 0
    .wavefront_size: 64
  - .agpr_count:     0
    .args:
      - .offset:         0
        .size:           4
        .value_kind:     by_value
      - .offset:         4
        .size:           4
        .value_kind:     by_value
      - .offset:         8
        .size:           4
        .value_kind:     by_value
      - .offset:         12
        .size:           4
        .value_kind:     by_value
      - .offset:         16
        .size:           4
        .value_kind:     by_value
      - .offset:         20
        .size:           4
        .value_kind:     by_value
      - .address_space:  global
        .offset:         24
        .size:           8
        .value_kind:     global_buffer
      - .actual_access:  read_only
        .address_space:  global
        .offset:         32
        .size:           8
        .value_kind:     global_buffer
      - .actual_access:  read_only
        .address_space:  global
        .offset:         40
        .size:           8
        .value_kind:     global_buffer
      - .address_space:  global
        .offset:         48
        .size:           8
        .value_kind:     global_buffer
      - .actual_access:  read_only
        .address_space:  global
        .offset:         56
        .size:           8
        .value_kind:     global_buffer
      - .actual_access:  read_only
        .address_space:  global
        .offset:         64
        .size:           8
        .value_kind:     global_buffer
      - .offset:         72
        .size:           4
        .value_kind:     by_value
      - .offset:         76
        .size:           4
        .value_kind:     by_value
    .group_segment_fixed_size: 65536
    .kernarg_segment_align: 8
    .kernarg_segment_size: 80
    .language:       OpenCL C
    .language_version:
      - 2
      - 0
    .max_flat_workgroup_size: 1024
    .name:           _Z17wvSplitKQ_hf_sml_I6__halfN3c1015Float8_e4m3fnuzELi64ELi2ELi16ELi16ELi1ELi3EEviiiiiiPKT0_S5_PKT_PS6_PKfSB_ii
    .private_segment_fixed_size: 0
    .sgpr_count:     37
    .sgpr_spill_count: 0
    .symbol:         _Z17wvSplitKQ_hf_sml_I6__halfN3c1015Float8_e4m3fnuzELi64ELi2ELi16ELi16ELi1ELi3EEviiiiiiPKT0_S5_PKT_PS6_PKfSB_ii.kd
    .uniform_work_group_size: 1
    .uses_dynamic_stack: false
    .vgpr_count:     59
    .vgpr_spill_count: 0
    .wavefront_size: 64
  - .agpr_count:     0
    .args:
      - .offset:         0
        .size:           4
        .value_kind:     by_value
      - .offset:         4
        .size:           4
        .value_kind:     by_value
      - .offset:         8
        .size:           4
        .value_kind:     by_value
      - .offset:         12
        .size:           4
        .value_kind:     by_value
      - .offset:         16
        .size:           4
        .value_kind:     by_value
      - .offset:         20
        .size:           4
        .value_kind:     by_value
      - .address_space:  global
        .offset:         24
        .size:           8
        .value_kind:     global_buffer
      - .actual_access:  read_only
        .address_space:  global
        .offset:         32
        .size:           8
        .value_kind:     global_buffer
      - .actual_access:  read_only
        .address_space:  global
        .offset:         40
        .size:           8
        .value_kind:     global_buffer
      - .address_space:  global
        .offset:         48
        .size:           8
        .value_kind:     global_buffer
      - .actual_access:  read_only
        .address_space:  global
        .offset:         56
        .size:           8
        .value_kind:     global_buffer
      - .actual_access:  read_only
        .address_space:  global
        .offset:         64
        .size:           8
        .value_kind:     global_buffer
      - .offset:         72
        .size:           4
        .value_kind:     by_value
      - .offset:         76
        .size:           4
        .value_kind:     by_value
    .group_segment_fixed_size: 65536
    .kernarg_segment_align: 8
    .kernarg_segment_size: 80
    .language:       OpenCL C
    .language_version:
      - 2
      - 0
    .max_flat_workgroup_size: 1024
    .name:           _Z13wvSplitKQ_hf_I6__halfN3c1015Float8_e4m3fnuzELi64ELi2ELi16ELi16ELi1ELi3EEviiiiiiPKT0_S5_PKT_PS6_PKfSB_ii
    .private_segment_fixed_size: 0
    .sgpr_count:     41
    .sgpr_spill_count: 0
    .symbol:         _Z13wvSplitKQ_hf_I6__halfN3c1015Float8_e4m3fnuzELi64ELi2ELi16ELi16ELi1ELi3EEviiiiiiPKT0_S5_PKT_PS6_PKfSB_ii.kd
    .uniform_work_group_size: 1
    .uses_dynamic_stack: false
    .vgpr_count:     59
    .vgpr_spill_count: 0
    .wavefront_size: 64
  - .agpr_count:     0
    .args:
      - .offset:         0
        .size:           4
        .value_kind:     by_value
      - .offset:         4
        .size:           4
        .value_kind:     by_value
      - .offset:         8
        .size:           4
        .value_kind:     by_value
      - .offset:         12
        .size:           4
        .value_kind:     by_value
      - .offset:         16
        .size:           4
        .value_kind:     by_value
      - .offset:         20
        .size:           4
        .value_kind:     by_value
      - .address_space:  global
        .offset:         24
        .size:           8
        .value_kind:     global_buffer
      - .actual_access:  read_only
        .address_space:  global
        .offset:         32
        .size:           8
        .value_kind:     global_buffer
      - .actual_access:  read_only
        .address_space:  global
        .offset:         40
        .size:           8
        .value_kind:     global_buffer
      - .address_space:  global
        .offset:         48
        .size:           8
        .value_kind:     global_buffer
      - .actual_access:  read_only
        .address_space:  global
        .offset:         56
        .size:           8
        .value_kind:     global_buffer
      - .actual_access:  read_only
        .address_space:  global
        .offset:         64
        .size:           8
        .value_kind:     global_buffer
      - .offset:         72
        .size:           4
        .value_kind:     by_value
      - .offset:         76
        .size:           4
        .value_kind:     by_value
    .group_segment_fixed_size: 65536
    .kernarg_segment_align: 8
    .kernarg_segment_size: 80
    .language:       OpenCL C
    .language_version:
      - 2
      - 0
    .max_flat_workgroup_size: 512
    .name:           _Z17wvSplitKQ_hf_sml_I6__halfN3c1015Float8_e4m3fnuzELi32ELi2ELi16ELi16ELi1ELi4EEviiiiiiPKT0_S5_PKT_PS6_PKfSB_ii
    .private_segment_fixed_size: 0
    .sgpr_count:     40
    .sgpr_spill_count: 0
    .symbol:         _Z17wvSplitKQ_hf_sml_I6__halfN3c1015Float8_e4m3fnuzELi32ELi2ELi16ELi16ELi1ELi4EEviiiiiiPKT0_S5_PKT_PS6_PKfSB_ii.kd
    .uniform_work_group_size: 1
    .uses_dynamic_stack: false
    .vgpr_count:     72
    .vgpr_spill_count: 0
    .wavefront_size: 64
  - .agpr_count:     0
    .args:
      - .offset:         0
        .size:           4
        .value_kind:     by_value
      - .offset:         4
        .size:           4
        .value_kind:     by_value
      - .offset:         8
        .size:           4
        .value_kind:     by_value
      - .offset:         12
        .size:           4
        .value_kind:     by_value
      - .offset:         16
        .size:           4
        .value_kind:     by_value
      - .offset:         20
        .size:           4
        .value_kind:     by_value
      - .address_space:  global
        .offset:         24
        .size:           8
        .value_kind:     global_buffer
      - .actual_access:  read_only
        .address_space:  global
        .offset:         32
        .size:           8
        .value_kind:     global_buffer
      - .actual_access:  read_only
        .address_space:  global
        .offset:         40
        .size:           8
        .value_kind:     global_buffer
      - .address_space:  global
        .offset:         48
        .size:           8
        .value_kind:     global_buffer
      - .actual_access:  read_only
        .address_space:  global
        .offset:         56
        .size:           8
        .value_kind:     global_buffer
      - .actual_access:  read_only
        .address_space:  global
        .offset:         64
        .size:           8
        .value_kind:     global_buffer
      - .offset:         72
        .size:           4
        .value_kind:     by_value
      - .offset:         76
        .size:           4
        .value_kind:     by_value
    .group_segment_fixed_size: 65536
    .kernarg_segment_align: 8
    .kernarg_segment_size: 80
    .language:       OpenCL C
    .language_version:
      - 2
      - 0
    .max_flat_workgroup_size: 512
    .name:           _Z13wvSplitKQ_hf_I6__halfN3c1015Float8_e4m3fnuzELi32ELi2ELi16ELi16ELi1ELi4EEviiiiiiPKT0_S5_PKT_PS6_PKfSB_ii
    .private_segment_fixed_size: 0
    .sgpr_count:     43
    .sgpr_spill_count: 0
    .symbol:         _Z13wvSplitKQ_hf_I6__halfN3c1015Float8_e4m3fnuzELi32ELi2ELi16ELi16ELi1ELi4EEviiiiiiPKT0_S5_PKT_PS6_PKfSB_ii.kd
    .uniform_work_group_size: 1
    .uses_dynamic_stack: false
    .vgpr_count:     72
    .vgpr_spill_count: 0
    .wavefront_size: 64
  - .agpr_count:     0
    .args:
      - .offset:         0
        .size:           4
        .value_kind:     by_value
      - .offset:         4
        .size:           4
        .value_kind:     by_value
      - .offset:         8
        .size:           4
        .value_kind:     by_value
      - .offset:         12
        .size:           4
        .value_kind:     by_value
      - .offset:         16
        .size:           4
        .value_kind:     by_value
      - .offset:         20
        .size:           4
        .value_kind:     by_value
      - .address_space:  global
        .offset:         24
        .size:           8
        .value_kind:     global_buffer
      - .actual_access:  read_only
        .address_space:  global
        .offset:         32
        .size:           8
        .value_kind:     global_buffer
      - .actual_access:  read_only
        .address_space:  global
        .offset:         40
        .size:           8
        .value_kind:     global_buffer
      - .address_space:  global
        .offset:         48
        .size:           8
        .value_kind:     global_buffer
      - .actual_access:  read_only
        .address_space:  global
        .offset:         56
        .size:           8
        .value_kind:     global_buffer
      - .actual_access:  read_only
        .address_space:  global
        .offset:         64
        .size:           8
        .value_kind:     global_buffer
      - .offset:         72
        .size:           4
        .value_kind:     by_value
      - .offset:         76
        .size:           4
        .value_kind:     by_value
    .group_segment_fixed_size: 65536
    .kernarg_segment_align: 8
    .kernarg_segment_size: 80
    .language:       OpenCL C
    .language_version:
      - 2
      - 0
    .max_flat_workgroup_size: 1024
    .name:           _Z17wvSplitKQ_hf_sml_I6__halfN3c1015Float8_e4m3fnuzELi64ELi2ELi16ELi16ELi1ELi4EEviiiiiiPKT0_S5_PKT_PS6_PKfSB_ii
    .private_segment_fixed_size: 0
    .sgpr_count:     40
    .sgpr_spill_count: 0
    .symbol:         _Z17wvSplitKQ_hf_sml_I6__halfN3c1015Float8_e4m3fnuzELi64ELi2ELi16ELi16ELi1ELi4EEviiiiiiPKT0_S5_PKT_PS6_PKfSB_ii.kd
    .uniform_work_group_size: 1
    .uses_dynamic_stack: false
    .vgpr_count:     72
    .vgpr_spill_count: 0
    .wavefront_size: 64
  - .agpr_count:     0
    .args:
      - .offset:         0
        .size:           4
        .value_kind:     by_value
      - .offset:         4
        .size:           4
        .value_kind:     by_value
      - .offset:         8
        .size:           4
        .value_kind:     by_value
      - .offset:         12
        .size:           4
        .value_kind:     by_value
      - .offset:         16
        .size:           4
        .value_kind:     by_value
      - .offset:         20
        .size:           4
        .value_kind:     by_value
      - .address_space:  global
        .offset:         24
        .size:           8
        .value_kind:     global_buffer
      - .actual_access:  read_only
        .address_space:  global
        .offset:         32
        .size:           8
        .value_kind:     global_buffer
      - .actual_access:  read_only
        .address_space:  global
        .offset:         40
        .size:           8
        .value_kind:     global_buffer
      - .address_space:  global
        .offset:         48
        .size:           8
        .value_kind:     global_buffer
      - .actual_access:  read_only
        .address_space:  global
        .offset:         56
        .size:           8
        .value_kind:     global_buffer
      - .actual_access:  read_only
        .address_space:  global
        .offset:         64
        .size:           8
        .value_kind:     global_buffer
      - .offset:         72
        .size:           4
        .value_kind:     by_value
      - .offset:         76
        .size:           4
        .value_kind:     by_value
    .group_segment_fixed_size: 65536
    .kernarg_segment_align: 8
    .kernarg_segment_size: 80
    .language:       OpenCL C
    .language_version:
      - 2
      - 0
    .max_flat_workgroup_size: 1024
    .name:           _Z13wvSplitKQ_hf_I6__halfN3c1015Float8_e4m3fnuzELi64ELi2ELi16ELi16ELi1ELi4EEviiiiiiPKT0_S5_PKT_PS6_PKfSB_ii
    .private_segment_fixed_size: 0
    .sgpr_count:     43
    .sgpr_spill_count: 0
    .symbol:         _Z13wvSplitKQ_hf_I6__halfN3c1015Float8_e4m3fnuzELi64ELi2ELi16ELi16ELi1ELi4EEviiiiiiPKT0_S5_PKT_PS6_PKfSB_ii.kd
    .uniform_work_group_size: 1
    .uses_dynamic_stack: false
    .vgpr_count:     72
    .vgpr_spill_count: 0
    .wavefront_size: 64
  - .agpr_count:     0
    .args:
      - .offset:         0
        .size:           4
        .value_kind:     by_value
      - .offset:         4
        .size:           4
        .value_kind:     by_value
      - .offset:         8
        .size:           4
        .value_kind:     by_value
      - .offset:         12
        .size:           4
        .value_kind:     by_value
      - .offset:         16
        .size:           4
        .value_kind:     by_value
      - .offset:         20
        .size:           4
        .value_kind:     by_value
      - .address_space:  global
        .offset:         24
        .size:           8
        .value_kind:     global_buffer
      - .actual_access:  read_only
        .address_space:  global
        .offset:         32
        .size:           8
        .value_kind:     global_buffer
      - .actual_access:  read_only
        .address_space:  global
        .offset:         40
        .size:           8
        .value_kind:     global_buffer
      - .address_space:  global
        .offset:         48
        .size:           8
        .value_kind:     global_buffer
      - .actual_access:  read_only
        .address_space:  global
        .offset:         56
        .size:           8
        .value_kind:     global_buffer
      - .actual_access:  read_only
        .address_space:  global
        .offset:         64
        .size:           8
        .value_kind:     global_buffer
      - .offset:         72
        .size:           4
        .value_kind:     by_value
      - .offset:         76
        .size:           4
        .value_kind:     by_value
    .group_segment_fixed_size: 65536
    .kernarg_segment_align: 8
    .kernarg_segment_size: 80
    .language:       OpenCL C
    .language_version:
      - 2
      - 0
    .max_flat_workgroup_size: 512
    .name:           _Z17wvSplitKQ_hf_sml_I14__hip_bfloat16N3c1013Float8_e4m3fnELi32ELi2ELi16ELi16ELi2ELi1EEviiiiiiPKT0_S5_PKT_PS6_PKfSB_ii
    .private_segment_fixed_size: 0
    .sgpr_count:     36
    .sgpr_spill_count: 0
    .symbol:         _Z17wvSplitKQ_hf_sml_I14__hip_bfloat16N3c1013Float8_e4m3fnELi32ELi2ELi16ELi16ELi2ELi1EEviiiiiiPKT0_S5_PKT_PS6_PKfSB_ii.kd
    .uniform_work_group_size: 1
    .uses_dynamic_stack: false
    .vgpr_count:     46
    .vgpr_spill_count: 0
    .wavefront_size: 64
  - .agpr_count:     0
    .args:
      - .offset:         0
        .size:           4
        .value_kind:     by_value
      - .offset:         4
        .size:           4
        .value_kind:     by_value
      - .offset:         8
        .size:           4
        .value_kind:     by_value
      - .offset:         12
        .size:           4
        .value_kind:     by_value
      - .offset:         16
        .size:           4
        .value_kind:     by_value
      - .offset:         20
        .size:           4
        .value_kind:     by_value
      - .address_space:  global
        .offset:         24
        .size:           8
        .value_kind:     global_buffer
      - .actual_access:  read_only
        .address_space:  global
        .offset:         32
        .size:           8
        .value_kind:     global_buffer
      - .actual_access:  read_only
        .address_space:  global
        .offset:         40
        .size:           8
        .value_kind:     global_buffer
      - .address_space:  global
        .offset:         48
        .size:           8
        .value_kind:     global_buffer
      - .actual_access:  read_only
        .address_space:  global
        .offset:         56
        .size:           8
        .value_kind:     global_buffer
      - .actual_access:  read_only
        .address_space:  global
        .offset:         64
        .size:           8
        .value_kind:     global_buffer
      - .offset:         72
        .size:           4
        .value_kind:     by_value
      - .offset:         76
        .size:           4
        .value_kind:     by_value
    .group_segment_fixed_size: 65536
    .kernarg_segment_align: 8
    .kernarg_segment_size: 80
    .language:       OpenCL C
    .language_version:
      - 2
      - 0
    .max_flat_workgroup_size: 512
    .name:           _Z13wvSplitKQ_hf_I14__hip_bfloat16N3c1013Float8_e4m3fnELi32ELi2ELi16ELi16ELi2ELi1EEviiiiiiPKT0_S5_PKT_PS6_PKfSB_ii
    .private_segment_fixed_size: 0
    .sgpr_count:     42
    .sgpr_spill_count: 0
    .symbol:         _Z13wvSplitKQ_hf_I14__hip_bfloat16N3c1013Float8_e4m3fnELi32ELi2ELi16ELi16ELi2ELi1EEviiiiiiPKT0_S5_PKT_PS6_PKfSB_ii.kd
    .uniform_work_group_size: 1
    .uses_dynamic_stack: false
    .vgpr_count:     46
    .vgpr_spill_count: 0
    .wavefront_size: 64
  - .agpr_count:     0
    .args:
      - .offset:         0
        .size:           4
        .value_kind:     by_value
      - .offset:         4
        .size:           4
        .value_kind:     by_value
      - .offset:         8
        .size:           4
        .value_kind:     by_value
      - .offset:         12
        .size:           4
        .value_kind:     by_value
      - .offset:         16
        .size:           4
        .value_kind:     by_value
      - .offset:         20
        .size:           4
        .value_kind:     by_value
      - .address_space:  global
        .offset:         24
        .size:           8
        .value_kind:     global_buffer
      - .actual_access:  read_only
        .address_space:  global
        .offset:         32
        .size:           8
        .value_kind:     global_buffer
      - .actual_access:  read_only
        .address_space:  global
        .offset:         40
        .size:           8
        .value_kind:     global_buffer
      - .address_space:  global
        .offset:         48
        .size:           8
        .value_kind:     global_buffer
      - .actual_access:  read_only
        .address_space:  global
        .offset:         56
        .size:           8
        .value_kind:     global_buffer
      - .actual_access:  read_only
        .address_space:  global
        .offset:         64
        .size:           8
        .value_kind:     global_buffer
      - .offset:         72
        .size:           4
        .value_kind:     by_value
      - .offset:         76
        .size:           4
        .value_kind:     by_value
    .group_segment_fixed_size: 65536
    .kernarg_segment_align: 8
    .kernarg_segment_size: 80
    .language:       OpenCL C
    .language_version:
      - 2
      - 0
    .max_flat_workgroup_size: 1024
    .name:           _Z17wvSplitKQ_hf_sml_I14__hip_bfloat16N3c1013Float8_e4m3fnELi64ELi2ELi16ELi16ELi2ELi1EEviiiiiiPKT0_S5_PKT_PS6_PKfSB_ii
    .private_segment_fixed_size: 0
    .sgpr_count:     36
    .sgpr_spill_count: 0
    .symbol:         _Z17wvSplitKQ_hf_sml_I14__hip_bfloat16N3c1013Float8_e4m3fnELi64ELi2ELi16ELi16ELi2ELi1EEviiiiiiPKT0_S5_PKT_PS6_PKfSB_ii.kd
    .uniform_work_group_size: 1
    .uses_dynamic_stack: false
    .vgpr_count:     46
    .vgpr_spill_count: 0
    .wavefront_size: 64
  - .agpr_count:     0
    .args:
      - .offset:         0
        .size:           4
        .value_kind:     by_value
      - .offset:         4
        .size:           4
        .value_kind:     by_value
      - .offset:         8
        .size:           4
        .value_kind:     by_value
      - .offset:         12
        .size:           4
        .value_kind:     by_value
      - .offset:         16
        .size:           4
        .value_kind:     by_value
      - .offset:         20
        .size:           4
        .value_kind:     by_value
      - .address_space:  global
        .offset:         24
        .size:           8
        .value_kind:     global_buffer
      - .actual_access:  read_only
        .address_space:  global
        .offset:         32
        .size:           8
        .value_kind:     global_buffer
      - .actual_access:  read_only
        .address_space:  global
        .offset:         40
        .size:           8
        .value_kind:     global_buffer
      - .address_space:  global
        .offset:         48
        .size:           8
        .value_kind:     global_buffer
      - .actual_access:  read_only
        .address_space:  global
        .offset:         56
        .size:           8
        .value_kind:     global_buffer
      - .actual_access:  read_only
        .address_space:  global
        .offset:         64
        .size:           8
        .value_kind:     global_buffer
      - .offset:         72
        .size:           4
        .value_kind:     by_value
      - .offset:         76
        .size:           4
        .value_kind:     by_value
    .group_segment_fixed_size: 65536
    .kernarg_segment_align: 8
    .kernarg_segment_size: 80
    .language:       OpenCL C
    .language_version:
      - 2
      - 0
    .max_flat_workgroup_size: 1024
    .name:           _Z13wvSplitKQ_hf_I14__hip_bfloat16N3c1013Float8_e4m3fnELi64ELi2ELi16ELi16ELi2ELi1EEviiiiiiPKT0_S5_PKT_PS6_PKfSB_ii
    .private_segment_fixed_size: 0
    .sgpr_count:     42
    .sgpr_spill_count: 0
    .symbol:         _Z13wvSplitKQ_hf_I14__hip_bfloat16N3c1013Float8_e4m3fnELi64ELi2ELi16ELi16ELi2ELi1EEviiiiiiPKT0_S5_PKT_PS6_PKfSB_ii.kd
    .uniform_work_group_size: 1
    .uses_dynamic_stack: false
    .vgpr_count:     46
    .vgpr_spill_count: 0
    .wavefront_size: 64
  - .agpr_count:     0
    .args:
      - .offset:         0
        .size:           4
        .value_kind:     by_value
      - .offset:         4
        .size:           4
        .value_kind:     by_value
      - .offset:         8
        .size:           4
        .value_kind:     by_value
      - .offset:         12
        .size:           4
        .value_kind:     by_value
      - .offset:         16
        .size:           4
        .value_kind:     by_value
      - .offset:         20
        .size:           4
        .value_kind:     by_value
      - .address_space:  global
        .offset:         24
        .size:           8
        .value_kind:     global_buffer
      - .actual_access:  read_only
        .address_space:  global
        .offset:         32
        .size:           8
        .value_kind:     global_buffer
      - .actual_access:  read_only
        .address_space:  global
        .offset:         40
        .size:           8
        .value_kind:     global_buffer
      - .address_space:  global
        .offset:         48
        .size:           8
        .value_kind:     global_buffer
      - .actual_access:  read_only
        .address_space:  global
        .offset:         56
        .size:           8
        .value_kind:     global_buffer
      - .actual_access:  read_only
        .address_space:  global
        .offset:         64
        .size:           8
        .value_kind:     global_buffer
      - .offset:         72
        .size:           4
        .value_kind:     by_value
      - .offset:         76
        .size:           4
        .value_kind:     by_value
    .group_segment_fixed_size: 65536
    .kernarg_segment_align: 8
    .kernarg_segment_size: 80
    .language:       OpenCL C
    .language_version:
      - 2
      - 0
    .max_flat_workgroup_size: 512
    .name:           _Z17wvSplitKQ_hf_sml_I14__hip_bfloat16N3c1013Float8_e4m3fnELi32ELi2ELi16ELi16ELi2ELi2EEviiiiiiPKT0_S5_PKT_PS6_PKfSB_ii
    .private_segment_fixed_size: 0
    .sgpr_count:     41
    .sgpr_spill_count: 0
    .symbol:         _Z17wvSplitKQ_hf_sml_I14__hip_bfloat16N3c1013Float8_e4m3fnELi32ELi2ELi16ELi16ELi2ELi2EEviiiiiiPKT0_S5_PKT_PS6_PKfSB_ii.kd
    .uniform_work_group_size: 1
    .uses_dynamic_stack: false
    .vgpr_count:     63
    .vgpr_spill_count: 0
    .wavefront_size: 64
  - .agpr_count:     0
    .args:
      - .offset:         0
        .size:           4
        .value_kind:     by_value
      - .offset:         4
        .size:           4
        .value_kind:     by_value
      - .offset:         8
        .size:           4
        .value_kind:     by_value
      - .offset:         12
        .size:           4
        .value_kind:     by_value
      - .offset:         16
        .size:           4
        .value_kind:     by_value
      - .offset:         20
        .size:           4
        .value_kind:     by_value
      - .address_space:  global
        .offset:         24
        .size:           8
        .value_kind:     global_buffer
      - .actual_access:  read_only
        .address_space:  global
        .offset:         32
        .size:           8
        .value_kind:     global_buffer
      - .actual_access:  read_only
        .address_space:  global
        .offset:         40
        .size:           8
        .value_kind:     global_buffer
      - .address_space:  global
        .offset:         48
        .size:           8
        .value_kind:     global_buffer
      - .actual_access:  read_only
        .address_space:  global
        .offset:         56
        .size:           8
        .value_kind:     global_buffer
      - .actual_access:  read_only
        .address_space:  global
        .offset:         64
        .size:           8
        .value_kind:     global_buffer
      - .offset:         72
        .size:           4
        .value_kind:     by_value
      - .offset:         76
        .size:           4
        .value_kind:     by_value
    .group_segment_fixed_size: 65536
    .kernarg_segment_align: 8
    .kernarg_segment_size: 80
    .language:       OpenCL C
    .language_version:
      - 2
      - 0
    .max_flat_workgroup_size: 512
    .name:           _Z13wvSplitKQ_hf_I14__hip_bfloat16N3c1013Float8_e4m3fnELi32ELi2ELi16ELi16ELi2ELi2EEviiiiiiPKT0_S5_PKT_PS6_PKfSB_ii
    .private_segment_fixed_size: 0
    .sgpr_count:     45
    .sgpr_spill_count: 0
    .symbol:         _Z13wvSplitKQ_hf_I14__hip_bfloat16N3c1013Float8_e4m3fnELi32ELi2ELi16ELi16ELi2ELi2EEviiiiiiPKT0_S5_PKT_PS6_PKfSB_ii.kd
    .uniform_work_group_size: 1
    .uses_dynamic_stack: false
    .vgpr_count:     62
    .vgpr_spill_count: 0
    .wavefront_size: 64
  - .agpr_count:     0
    .args:
      - .offset:         0
        .size:           4
        .value_kind:     by_value
      - .offset:         4
        .size:           4
        .value_kind:     by_value
      - .offset:         8
        .size:           4
        .value_kind:     by_value
      - .offset:         12
        .size:           4
        .value_kind:     by_value
      - .offset:         16
        .size:           4
        .value_kind:     by_value
      - .offset:         20
        .size:           4
        .value_kind:     by_value
      - .address_space:  global
        .offset:         24
        .size:           8
        .value_kind:     global_buffer
      - .actual_access:  read_only
        .address_space:  global
        .offset:         32
        .size:           8
        .value_kind:     global_buffer
      - .actual_access:  read_only
        .address_space:  global
        .offset:         40
        .size:           8
        .value_kind:     global_buffer
      - .address_space:  global
        .offset:         48
        .size:           8
        .value_kind:     global_buffer
      - .actual_access:  read_only
        .address_space:  global
        .offset:         56
        .size:           8
        .value_kind:     global_buffer
      - .actual_access:  read_only
        .address_space:  global
        .offset:         64
        .size:           8
        .value_kind:     global_buffer
      - .offset:         72
        .size:           4
        .value_kind:     by_value
      - .offset:         76
        .size:           4
        .value_kind:     by_value
    .group_segment_fixed_size: 65536
    .kernarg_segment_align: 8
    .kernarg_segment_size: 80
    .language:       OpenCL C
    .language_version:
      - 2
      - 0
    .max_flat_workgroup_size: 1024
    .name:           _Z17wvSplitKQ_hf_sml_I14__hip_bfloat16N3c1013Float8_e4m3fnELi64ELi2ELi16ELi16ELi2ELi2EEviiiiiiPKT0_S5_PKT_PS6_PKfSB_ii
    .private_segment_fixed_size: 0
    .sgpr_count:     41
    .sgpr_spill_count: 0
    .symbol:         _Z17wvSplitKQ_hf_sml_I14__hip_bfloat16N3c1013Float8_e4m3fnELi64ELi2ELi16ELi16ELi2ELi2EEviiiiiiPKT0_S5_PKT_PS6_PKfSB_ii.kd
    .uniform_work_group_size: 1
    .uses_dynamic_stack: false
    .vgpr_count:     63
    .vgpr_spill_count: 0
    .wavefront_size: 64
  - .agpr_count:     0
    .args:
      - .offset:         0
        .size:           4
        .value_kind:     by_value
      - .offset:         4
        .size:           4
        .value_kind:     by_value
      - .offset:         8
        .size:           4
        .value_kind:     by_value
      - .offset:         12
        .size:           4
        .value_kind:     by_value
      - .offset:         16
        .size:           4
        .value_kind:     by_value
      - .offset:         20
        .size:           4
        .value_kind:     by_value
      - .address_space:  global
        .offset:         24
        .size:           8
        .value_kind:     global_buffer
      - .actual_access:  read_only
        .address_space:  global
        .offset:         32
        .size:           8
        .value_kind:     global_buffer
      - .actual_access:  read_only
        .address_space:  global
        .offset:         40
        .size:           8
        .value_kind:     global_buffer
      - .address_space:  global
        .offset:         48
        .size:           8
        .value_kind:     global_buffer
      - .actual_access:  read_only
        .address_space:  global
        .offset:         56
        .size:           8
        .value_kind:     global_buffer
      - .actual_access:  read_only
        .address_space:  global
        .offset:         64
        .size:           8
        .value_kind:     global_buffer
      - .offset:         72
        .size:           4
        .value_kind:     by_value
      - .offset:         76
        .size:           4
        .value_kind:     by_value
    .group_segment_fixed_size: 65536
    .kernarg_segment_align: 8
    .kernarg_segment_size: 80
    .language:       OpenCL C
    .language_version:
      - 2
      - 0
    .max_flat_workgroup_size: 1024
    .name:           _Z13wvSplitKQ_hf_I14__hip_bfloat16N3c1013Float8_e4m3fnELi64ELi2ELi16ELi16ELi2ELi2EEviiiiiiPKT0_S5_PKT_PS6_PKfSB_ii
    .private_segment_fixed_size: 0
    .sgpr_count:     45
    .sgpr_spill_count: 0
    .symbol:         _Z13wvSplitKQ_hf_I14__hip_bfloat16N3c1013Float8_e4m3fnELi64ELi2ELi16ELi16ELi2ELi2EEviiiiiiPKT0_S5_PKT_PS6_PKfSB_ii.kd
    .uniform_work_group_size: 1
    .uses_dynamic_stack: false
    .vgpr_count:     62
    .vgpr_spill_count: 0
    .wavefront_size: 64
  - .agpr_count:     0
    .args:
      - .offset:         0
        .size:           4
        .value_kind:     by_value
      - .offset:         4
        .size:           4
        .value_kind:     by_value
      - .offset:         8
        .size:           4
        .value_kind:     by_value
      - .offset:         12
        .size:           4
        .value_kind:     by_value
      - .offset:         16
        .size:           4
        .value_kind:     by_value
      - .offset:         20
        .size:           4
        .value_kind:     by_value
      - .address_space:  global
        .offset:         24
        .size:           8
        .value_kind:     global_buffer
      - .actual_access:  read_only
        .address_space:  global
        .offset:         32
        .size:           8
        .value_kind:     global_buffer
      - .actual_access:  read_only
        .address_space:  global
        .offset:         40
        .size:           8
        .value_kind:     global_buffer
      - .address_space:  global
        .offset:         48
        .size:           8
        .value_kind:     global_buffer
      - .actual_access:  read_only
        .address_space:  global
        .offset:         56
        .size:           8
        .value_kind:     global_buffer
      - .actual_access:  read_only
        .address_space:  global
        .offset:         64
        .size:           8
        .value_kind:     global_buffer
      - .offset:         72
        .size:           4
        .value_kind:     by_value
      - .offset:         76
        .size:           4
        .value_kind:     by_value
    .group_segment_fixed_size: 65536
    .kernarg_segment_align: 8
    .kernarg_segment_size: 80
    .language:       OpenCL C
    .language_version:
      - 2
      - 0
    .max_flat_workgroup_size: 512
    .name:           _Z17wvSplitKQ_hf_sml_I14__hip_bfloat16N3c1013Float8_e4m3fnELi32ELi2ELi16ELi16ELi1ELi3EEviiiiiiPKT0_S5_PKT_PS6_PKfSB_ii
    .private_segment_fixed_size: 0
    .sgpr_count:     43
    .sgpr_spill_count: 0
    .symbol:         _Z17wvSplitKQ_hf_sml_I14__hip_bfloat16N3c1013Float8_e4m3fnELi32ELi2ELi16ELi16ELi1ELi3EEviiiiiiPKT0_S5_PKT_PS6_PKfSB_ii.kd
    .uniform_work_group_size: 1
    .uses_dynamic_stack: false
    .vgpr_count:     59
    .vgpr_spill_count: 0
    .wavefront_size: 64
  - .agpr_count:     0
    .args:
      - .offset:         0
        .size:           4
        .value_kind:     by_value
      - .offset:         4
        .size:           4
        .value_kind:     by_value
      - .offset:         8
        .size:           4
        .value_kind:     by_value
      - .offset:         12
        .size:           4
        .value_kind:     by_value
      - .offset:         16
        .size:           4
        .value_kind:     by_value
      - .offset:         20
        .size:           4
        .value_kind:     by_value
      - .address_space:  global
        .offset:         24
        .size:           8
        .value_kind:     global_buffer
      - .actual_access:  read_only
        .address_space:  global
        .offset:         32
        .size:           8
        .value_kind:     global_buffer
      - .actual_access:  read_only
        .address_space:  global
        .offset:         40
        .size:           8
        .value_kind:     global_buffer
      - .address_space:  global
        .offset:         48
        .size:           8
        .value_kind:     global_buffer
      - .actual_access:  read_only
        .address_space:  global
        .offset:         56
        .size:           8
        .value_kind:     global_buffer
      - .actual_access:  read_only
        .address_space:  global
        .offset:         64
        .size:           8
        .value_kind:     global_buffer
      - .offset:         72
        .size:           4
        .value_kind:     by_value
      - .offset:         76
        .size:           4
        .value_kind:     by_value
    .group_segment_fixed_size: 65536
    .kernarg_segment_align: 8
    .kernarg_segment_size: 80
    .language:       OpenCL C
    .language_version:
      - 2
      - 0
    .max_flat_workgroup_size: 512
    .name:           _Z13wvSplitKQ_hf_I14__hip_bfloat16N3c1013Float8_e4m3fnELi32ELi2ELi16ELi16ELi1ELi3EEviiiiiiPKT0_S5_PKT_PS6_PKfSB_ii
    .private_segment_fixed_size: 0
    .sgpr_count:     46
    .sgpr_spill_count: 0
    .symbol:         _Z13wvSplitKQ_hf_I14__hip_bfloat16N3c1013Float8_e4m3fnELi32ELi2ELi16ELi16ELi1ELi3EEviiiiiiPKT0_S5_PKT_PS6_PKfSB_ii.kd
    .uniform_work_group_size: 1
    .uses_dynamic_stack: false
    .vgpr_count:     59
    .vgpr_spill_count: 0
    .wavefront_size: 64
  - .agpr_count:     0
    .args:
      - .offset:         0
        .size:           4
        .value_kind:     by_value
      - .offset:         4
        .size:           4
        .value_kind:     by_value
      - .offset:         8
        .size:           4
        .value_kind:     by_value
      - .offset:         12
        .size:           4
        .value_kind:     by_value
      - .offset:         16
        .size:           4
        .value_kind:     by_value
      - .offset:         20
        .size:           4
        .value_kind:     by_value
      - .address_space:  global
        .offset:         24
        .size:           8
        .value_kind:     global_buffer
      - .actual_access:  read_only
        .address_space:  global
        .offset:         32
        .size:           8
        .value_kind:     global_buffer
      - .actual_access:  read_only
        .address_space:  global
        .offset:         40
        .size:           8
        .value_kind:     global_buffer
      - .address_space:  global
        .offset:         48
        .size:           8
        .value_kind:     global_buffer
      - .actual_access:  read_only
        .address_space:  global
        .offset:         56
        .size:           8
        .value_kind:     global_buffer
      - .actual_access:  read_only
        .address_space:  global
        .offset:         64
        .size:           8
        .value_kind:     global_buffer
      - .offset:         72
        .size:           4
        .value_kind:     by_value
      - .offset:         76
        .size:           4
        .value_kind:     by_value
    .group_segment_fixed_size: 65536
    .kernarg_segment_align: 8
    .kernarg_segment_size: 80
    .language:       OpenCL C
    .language_version:
      - 2
      - 0
    .max_flat_workgroup_size: 1024
    .name:           _Z17wvSplitKQ_hf_sml_I14__hip_bfloat16N3c1013Float8_e4m3fnELi64ELi2ELi16ELi16ELi1ELi3EEviiiiiiPKT0_S5_PKT_PS6_PKfSB_ii
    .private_segment_fixed_size: 0
    .sgpr_count:     43
    .sgpr_spill_count: 0
    .symbol:         _Z17wvSplitKQ_hf_sml_I14__hip_bfloat16N3c1013Float8_e4m3fnELi64ELi2ELi16ELi16ELi1ELi3EEviiiiiiPKT0_S5_PKT_PS6_PKfSB_ii.kd
    .uniform_work_group_size: 1
    .uses_dynamic_stack: false
    .vgpr_count:     59
    .vgpr_spill_count: 0
    .wavefront_size: 64
  - .agpr_count:     0
    .args:
      - .offset:         0
        .size:           4
        .value_kind:     by_value
      - .offset:         4
        .size:           4
        .value_kind:     by_value
      - .offset:         8
        .size:           4
        .value_kind:     by_value
      - .offset:         12
        .size:           4
        .value_kind:     by_value
      - .offset:         16
        .size:           4
        .value_kind:     by_value
      - .offset:         20
        .size:           4
        .value_kind:     by_value
      - .address_space:  global
        .offset:         24
        .size:           8
        .value_kind:     global_buffer
      - .actual_access:  read_only
        .address_space:  global
        .offset:         32
        .size:           8
        .value_kind:     global_buffer
      - .actual_access:  read_only
        .address_space:  global
        .offset:         40
        .size:           8
        .value_kind:     global_buffer
      - .address_space:  global
        .offset:         48
        .size:           8
        .value_kind:     global_buffer
      - .actual_access:  read_only
        .address_space:  global
        .offset:         56
        .size:           8
        .value_kind:     global_buffer
      - .actual_access:  read_only
        .address_space:  global
        .offset:         64
        .size:           8
        .value_kind:     global_buffer
      - .offset:         72
        .size:           4
        .value_kind:     by_value
      - .offset:         76
        .size:           4
        .value_kind:     by_value
    .group_segment_fixed_size: 65536
    .kernarg_segment_align: 8
    .kernarg_segment_size: 80
    .language:       OpenCL C
    .language_version:
      - 2
      - 0
    .max_flat_workgroup_size: 1024
    .name:           _Z13wvSplitKQ_hf_I14__hip_bfloat16N3c1013Float8_e4m3fnELi64ELi2ELi16ELi16ELi1ELi3EEviiiiiiPKT0_S5_PKT_PS6_PKfSB_ii
    .private_segment_fixed_size: 0
    .sgpr_count:     46
    .sgpr_spill_count: 0
    .symbol:         _Z13wvSplitKQ_hf_I14__hip_bfloat16N3c1013Float8_e4m3fnELi64ELi2ELi16ELi16ELi1ELi3EEviiiiiiPKT0_S5_PKT_PS6_PKfSB_ii.kd
    .uniform_work_group_size: 1
    .uses_dynamic_stack: false
    .vgpr_count:     59
    .vgpr_spill_count: 0
    .wavefront_size: 64
  - .agpr_count:     0
    .args:
      - .offset:         0
        .size:           4
        .value_kind:     by_value
      - .offset:         4
        .size:           4
        .value_kind:     by_value
      - .offset:         8
        .size:           4
        .value_kind:     by_value
      - .offset:         12
        .size:           4
        .value_kind:     by_value
      - .offset:         16
        .size:           4
        .value_kind:     by_value
      - .offset:         20
        .size:           4
        .value_kind:     by_value
      - .address_space:  global
        .offset:         24
        .size:           8
        .value_kind:     global_buffer
      - .actual_access:  read_only
        .address_space:  global
        .offset:         32
        .size:           8
        .value_kind:     global_buffer
      - .actual_access:  read_only
        .address_space:  global
        .offset:         40
        .size:           8
        .value_kind:     global_buffer
      - .address_space:  global
        .offset:         48
        .size:           8
        .value_kind:     global_buffer
      - .actual_access:  read_only
        .address_space:  global
        .offset:         56
        .size:           8
        .value_kind:     global_buffer
      - .actual_access:  read_only
        .address_space:  global
        .offset:         64
        .size:           8
        .value_kind:     global_buffer
      - .offset:         72
        .size:           4
        .value_kind:     by_value
      - .offset:         76
        .size:           4
        .value_kind:     by_value
    .group_segment_fixed_size: 65536
    .kernarg_segment_align: 8
    .kernarg_segment_size: 80
    .language:       OpenCL C
    .language_version:
      - 2
      - 0
    .max_flat_workgroup_size: 512
    .name:           _Z17wvSplitKQ_hf_sml_I14__hip_bfloat16N3c1013Float8_e4m3fnELi32ELi2ELi16ELi16ELi1ELi4EEviiiiiiPKT0_S5_PKT_PS6_PKfSB_ii
    .private_segment_fixed_size: 0
    .sgpr_count:     45
    .sgpr_spill_count: 0
    .symbol:         _Z17wvSplitKQ_hf_sml_I14__hip_bfloat16N3c1013Float8_e4m3fnELi32ELi2ELi16ELi16ELi1ELi4EEviiiiiiPKT0_S5_PKT_PS6_PKfSB_ii.kd
    .uniform_work_group_size: 1
    .uses_dynamic_stack: false
    .vgpr_count:     72
    .vgpr_spill_count: 0
    .wavefront_size: 64
  - .agpr_count:     0
    .args:
      - .offset:         0
        .size:           4
        .value_kind:     by_value
      - .offset:         4
        .size:           4
        .value_kind:     by_value
      - .offset:         8
        .size:           4
        .value_kind:     by_value
      - .offset:         12
        .size:           4
        .value_kind:     by_value
      - .offset:         16
        .size:           4
        .value_kind:     by_value
      - .offset:         20
        .size:           4
        .value_kind:     by_value
      - .address_space:  global
        .offset:         24
        .size:           8
        .value_kind:     global_buffer
      - .actual_access:  read_only
        .address_space:  global
        .offset:         32
        .size:           8
        .value_kind:     global_buffer
      - .actual_access:  read_only
        .address_space:  global
        .offset:         40
        .size:           8
        .value_kind:     global_buffer
      - .address_space:  global
        .offset:         48
        .size:           8
        .value_kind:     global_buffer
      - .actual_access:  read_only
        .address_space:  global
        .offset:         56
        .size:           8
        .value_kind:     global_buffer
      - .actual_access:  read_only
        .address_space:  global
        .offset:         64
        .size:           8
        .value_kind:     global_buffer
      - .offset:         72
        .size:           4
        .value_kind:     by_value
      - .offset:         76
        .size:           4
        .value_kind:     by_value
    .group_segment_fixed_size: 65536
    .kernarg_segment_align: 8
    .kernarg_segment_size: 80
    .language:       OpenCL C
    .language_version:
      - 2
      - 0
    .max_flat_workgroup_size: 512
    .name:           _Z13wvSplitKQ_hf_I14__hip_bfloat16N3c1013Float8_e4m3fnELi32ELi2ELi16ELi16ELi1ELi4EEviiiiiiPKT0_S5_PKT_PS6_PKfSB_ii
    .private_segment_fixed_size: 0
    .sgpr_count:     48
    .sgpr_spill_count: 0
    .symbol:         _Z13wvSplitKQ_hf_I14__hip_bfloat16N3c1013Float8_e4m3fnELi32ELi2ELi16ELi16ELi1ELi4EEviiiiiiPKT0_S5_PKT_PS6_PKfSB_ii.kd
    .uniform_work_group_size: 1
    .uses_dynamic_stack: false
    .vgpr_count:     72
    .vgpr_spill_count: 0
    .wavefront_size: 64
  - .agpr_count:     0
    .args:
      - .offset:         0
        .size:           4
        .value_kind:     by_value
      - .offset:         4
        .size:           4
        .value_kind:     by_value
      - .offset:         8
        .size:           4
        .value_kind:     by_value
      - .offset:         12
        .size:           4
        .value_kind:     by_value
      - .offset:         16
        .size:           4
        .value_kind:     by_value
      - .offset:         20
        .size:           4
        .value_kind:     by_value
      - .address_space:  global
        .offset:         24
        .size:           8
        .value_kind:     global_buffer
      - .actual_access:  read_only
        .address_space:  global
        .offset:         32
        .size:           8
        .value_kind:     global_buffer
      - .actual_access:  read_only
        .address_space:  global
        .offset:         40
        .size:           8
        .value_kind:     global_buffer
      - .address_space:  global
        .offset:         48
        .size:           8
        .value_kind:     global_buffer
      - .actual_access:  read_only
        .address_space:  global
        .offset:         56
        .size:           8
        .value_kind:     global_buffer
      - .actual_access:  read_only
        .address_space:  global
        .offset:         64
        .size:           8
        .value_kind:     global_buffer
      - .offset:         72
        .size:           4
        .value_kind:     by_value
      - .offset:         76
        .size:           4
        .value_kind:     by_value
    .group_segment_fixed_size: 65536
    .kernarg_segment_align: 8
    .kernarg_segment_size: 80
    .language:       OpenCL C
    .language_version:
      - 2
      - 0
    .max_flat_workgroup_size: 1024
    .name:           _Z17wvSplitKQ_hf_sml_I14__hip_bfloat16N3c1013Float8_e4m3fnELi64ELi2ELi16ELi16ELi1ELi4EEviiiiiiPKT0_S5_PKT_PS6_PKfSB_ii
    .private_segment_fixed_size: 0
    .sgpr_count:     45
    .sgpr_spill_count: 0
    .symbol:         _Z17wvSplitKQ_hf_sml_I14__hip_bfloat16N3c1013Float8_e4m3fnELi64ELi2ELi16ELi16ELi1ELi4EEviiiiiiPKT0_S5_PKT_PS6_PKfSB_ii.kd
    .uniform_work_group_size: 1
    .uses_dynamic_stack: false
    .vgpr_count:     72
    .vgpr_spill_count: 0
    .wavefront_size: 64
  - .agpr_count:     0
    .args:
      - .offset:         0
        .size:           4
        .value_kind:     by_value
      - .offset:         4
        .size:           4
        .value_kind:     by_value
      - .offset:         8
        .size:           4
        .value_kind:     by_value
      - .offset:         12
        .size:           4
        .value_kind:     by_value
      - .offset:         16
        .size:           4
        .value_kind:     by_value
      - .offset:         20
        .size:           4
        .value_kind:     by_value
      - .address_space:  global
        .offset:         24
        .size:           8
        .value_kind:     global_buffer
      - .actual_access:  read_only
        .address_space:  global
        .offset:         32
        .size:           8
        .value_kind:     global_buffer
      - .actual_access:  read_only
        .address_space:  global
        .offset:         40
        .size:           8
        .value_kind:     global_buffer
      - .address_space:  global
        .offset:         48
        .size:           8
        .value_kind:     global_buffer
      - .actual_access:  read_only
        .address_space:  global
        .offset:         56
        .size:           8
        .value_kind:     global_buffer
      - .actual_access:  read_only
        .address_space:  global
        .offset:         64
        .size:           8
        .value_kind:     global_buffer
      - .offset:         72
        .size:           4
        .value_kind:     by_value
      - .offset:         76
        .size:           4
        .value_kind:     by_value
    .group_segment_fixed_size: 65536
    .kernarg_segment_align: 8
    .kernarg_segment_size: 80
    .language:       OpenCL C
    .language_version:
      - 2
      - 0
    .max_flat_workgroup_size: 1024
    .name:           _Z13wvSplitKQ_hf_I14__hip_bfloat16N3c1013Float8_e4m3fnELi64ELi2ELi16ELi16ELi1ELi4EEviiiiiiPKT0_S5_PKT_PS6_PKfSB_ii
    .private_segment_fixed_size: 0
    .sgpr_count:     48
    .sgpr_spill_count: 0
    .symbol:         _Z13wvSplitKQ_hf_I14__hip_bfloat16N3c1013Float8_e4m3fnELi64ELi2ELi16ELi16ELi1ELi4EEviiiiiiPKT0_S5_PKT_PS6_PKfSB_ii.kd
    .uniform_work_group_size: 1
    .uses_dynamic_stack: false
    .vgpr_count:     72
    .vgpr_spill_count: 0
    .wavefront_size: 64
  - .agpr_count:     0
    .args:
      - .offset:         0
        .size:           4
        .value_kind:     by_value
      - .offset:         4
        .size:           4
        .value_kind:     by_value
      - .offset:         8
        .size:           4
        .value_kind:     by_value
      - .offset:         12
        .size:           4
        .value_kind:     by_value
      - .offset:         16
        .size:           4
        .value_kind:     by_value
      - .offset:         20
        .size:           4
        .value_kind:     by_value
      - .address_space:  global
        .offset:         24
        .size:           8
        .value_kind:     global_buffer
      - .actual_access:  read_only
        .address_space:  global
        .offset:         32
        .size:           8
        .value_kind:     global_buffer
      - .actual_access:  read_only
        .address_space:  global
        .offset:         40
        .size:           8
        .value_kind:     global_buffer
      - .address_space:  global
        .offset:         48
        .size:           8
        .value_kind:     global_buffer
      - .actual_access:  read_only
        .address_space:  global
        .offset:         56
        .size:           8
        .value_kind:     global_buffer
      - .actual_access:  read_only
        .address_space:  global
        .offset:         64
        .size:           8
        .value_kind:     global_buffer
      - .offset:         72
        .size:           4
        .value_kind:     by_value
      - .offset:         76
        .size:           4
        .value_kind:     by_value
    .group_segment_fixed_size: 65536
    .kernarg_segment_align: 8
    .kernarg_segment_size: 80
    .language:       OpenCL C
    .language_version:
      - 2
      - 0
    .max_flat_workgroup_size: 512
    .name:           _Z17wvSplitKQ_hf_sml_I14__hip_bfloat16N3c1015Float8_e4m3fnuzELi32ELi2ELi16ELi16ELi2ELi1EEviiiiiiPKT0_S5_PKT_PS6_PKfSB_ii
    .private_segment_fixed_size: 0
    .sgpr_count:     36
    .sgpr_spill_count: 0
    .symbol:         _Z17wvSplitKQ_hf_sml_I14__hip_bfloat16N3c1015Float8_e4m3fnuzELi32ELi2ELi16ELi16ELi2ELi1EEviiiiiiPKT0_S5_PKT_PS6_PKfSB_ii.kd
    .uniform_work_group_size: 1
    .uses_dynamic_stack: false
    .vgpr_count:     46
    .vgpr_spill_count: 0
    .wavefront_size: 64
  - .agpr_count:     0
    .args:
      - .offset:         0
        .size:           4
        .value_kind:     by_value
      - .offset:         4
        .size:           4
        .value_kind:     by_value
      - .offset:         8
        .size:           4
        .value_kind:     by_value
      - .offset:         12
        .size:           4
        .value_kind:     by_value
      - .offset:         16
        .size:           4
        .value_kind:     by_value
      - .offset:         20
        .size:           4
        .value_kind:     by_value
      - .address_space:  global
        .offset:         24
        .size:           8
        .value_kind:     global_buffer
      - .actual_access:  read_only
        .address_space:  global
        .offset:         32
        .size:           8
        .value_kind:     global_buffer
      - .actual_access:  read_only
        .address_space:  global
        .offset:         40
        .size:           8
        .value_kind:     global_buffer
      - .address_space:  global
        .offset:         48
        .size:           8
        .value_kind:     global_buffer
      - .actual_access:  read_only
        .address_space:  global
        .offset:         56
        .size:           8
        .value_kind:     global_buffer
      - .actual_access:  read_only
        .address_space:  global
        .offset:         64
        .size:           8
        .value_kind:     global_buffer
      - .offset:         72
        .size:           4
        .value_kind:     by_value
      - .offset:         76
        .size:           4
        .value_kind:     by_value
    .group_segment_fixed_size: 65536
    .kernarg_segment_align: 8
    .kernarg_segment_size: 80
    .language:       OpenCL C
    .language_version:
      - 2
      - 0
    .max_flat_workgroup_size: 512
    .name:           _Z13wvSplitKQ_hf_I14__hip_bfloat16N3c1015Float8_e4m3fnuzELi32ELi2ELi16ELi16ELi2ELi1EEviiiiiiPKT0_S5_PKT_PS6_PKfSB_ii
    .private_segment_fixed_size: 0
    .sgpr_count:     42
    .sgpr_spill_count: 0
    .symbol:         _Z13wvSplitKQ_hf_I14__hip_bfloat16N3c1015Float8_e4m3fnuzELi32ELi2ELi16ELi16ELi2ELi1EEviiiiiiPKT0_S5_PKT_PS6_PKfSB_ii.kd
    .uniform_work_group_size: 1
    .uses_dynamic_stack: false
    .vgpr_count:     46
    .vgpr_spill_count: 0
    .wavefront_size: 64
  - .agpr_count:     0
    .args:
      - .offset:         0
        .size:           4
        .value_kind:     by_value
      - .offset:         4
        .size:           4
        .value_kind:     by_value
      - .offset:         8
        .size:           4
        .value_kind:     by_value
      - .offset:         12
        .size:           4
        .value_kind:     by_value
      - .offset:         16
        .size:           4
        .value_kind:     by_value
      - .offset:         20
        .size:           4
        .value_kind:     by_value
      - .address_space:  global
        .offset:         24
        .size:           8
        .value_kind:     global_buffer
      - .actual_access:  read_only
        .address_space:  global
        .offset:         32
        .size:           8
        .value_kind:     global_buffer
      - .actual_access:  read_only
        .address_space:  global
        .offset:         40
        .size:           8
        .value_kind:     global_buffer
      - .address_space:  global
        .offset:         48
        .size:           8
        .value_kind:     global_buffer
      - .actual_access:  read_only
        .address_space:  global
        .offset:         56
        .size:           8
        .value_kind:     global_buffer
      - .actual_access:  read_only
        .address_space:  global
        .offset:         64
        .size:           8
        .value_kind:     global_buffer
      - .offset:         72
        .size:           4
        .value_kind:     by_value
      - .offset:         76
        .size:           4
        .value_kind:     by_value
    .group_segment_fixed_size: 65536
    .kernarg_segment_align: 8
    .kernarg_segment_size: 80
    .language:       OpenCL C
    .language_version:
      - 2
      - 0
    .max_flat_workgroup_size: 1024
    .name:           _Z17wvSplitKQ_hf_sml_I14__hip_bfloat16N3c1015Float8_e4m3fnuzELi64ELi2ELi16ELi16ELi2ELi1EEviiiiiiPKT0_S5_PKT_PS6_PKfSB_ii
    .private_segment_fixed_size: 0
    .sgpr_count:     36
    .sgpr_spill_count: 0
    .symbol:         _Z17wvSplitKQ_hf_sml_I14__hip_bfloat16N3c1015Float8_e4m3fnuzELi64ELi2ELi16ELi16ELi2ELi1EEviiiiiiPKT0_S5_PKT_PS6_PKfSB_ii.kd
    .uniform_work_group_size: 1
    .uses_dynamic_stack: false
    .vgpr_count:     46
    .vgpr_spill_count: 0
    .wavefront_size: 64
  - .agpr_count:     0
    .args:
      - .offset:         0
        .size:           4
        .value_kind:     by_value
      - .offset:         4
        .size:           4
        .value_kind:     by_value
      - .offset:         8
        .size:           4
        .value_kind:     by_value
      - .offset:         12
        .size:           4
        .value_kind:     by_value
      - .offset:         16
        .size:           4
        .value_kind:     by_value
      - .offset:         20
        .size:           4
        .value_kind:     by_value
      - .address_space:  global
        .offset:         24
        .size:           8
        .value_kind:     global_buffer
      - .actual_access:  read_only
        .address_space:  global
        .offset:         32
        .size:           8
        .value_kind:     global_buffer
      - .actual_access:  read_only
        .address_space:  global
        .offset:         40
        .size:           8
        .value_kind:     global_buffer
      - .address_space:  global
        .offset:         48
        .size:           8
        .value_kind:     global_buffer
      - .actual_access:  read_only
        .address_space:  global
        .offset:         56
        .size:           8
        .value_kind:     global_buffer
      - .actual_access:  read_only
        .address_space:  global
        .offset:         64
        .size:           8
        .value_kind:     global_buffer
      - .offset:         72
        .size:           4
        .value_kind:     by_value
      - .offset:         76
        .size:           4
        .value_kind:     by_value
    .group_segment_fixed_size: 65536
    .kernarg_segment_align: 8
    .kernarg_segment_size: 80
    .language:       OpenCL C
    .language_version:
      - 2
      - 0
    .max_flat_workgroup_size: 1024
    .name:           _Z13wvSplitKQ_hf_I14__hip_bfloat16N3c1015Float8_e4m3fnuzELi64ELi2ELi16ELi16ELi2ELi1EEviiiiiiPKT0_S5_PKT_PS6_PKfSB_ii
    .private_segment_fixed_size: 0
    .sgpr_count:     42
    .sgpr_spill_count: 0
    .symbol:         _Z13wvSplitKQ_hf_I14__hip_bfloat16N3c1015Float8_e4m3fnuzELi64ELi2ELi16ELi16ELi2ELi1EEviiiiiiPKT0_S5_PKT_PS6_PKfSB_ii.kd
    .uniform_work_group_size: 1
    .uses_dynamic_stack: false
    .vgpr_count:     46
    .vgpr_spill_count: 0
    .wavefront_size: 64
  - .agpr_count:     0
    .args:
      - .offset:         0
        .size:           4
        .value_kind:     by_value
      - .offset:         4
        .size:           4
        .value_kind:     by_value
      - .offset:         8
        .size:           4
        .value_kind:     by_value
      - .offset:         12
        .size:           4
        .value_kind:     by_value
      - .offset:         16
        .size:           4
        .value_kind:     by_value
      - .offset:         20
        .size:           4
        .value_kind:     by_value
      - .address_space:  global
        .offset:         24
        .size:           8
        .value_kind:     global_buffer
      - .actual_access:  read_only
        .address_space:  global
        .offset:         32
        .size:           8
        .value_kind:     global_buffer
      - .actual_access:  read_only
        .address_space:  global
        .offset:         40
        .size:           8
        .value_kind:     global_buffer
      - .address_space:  global
        .offset:         48
        .size:           8
        .value_kind:     global_buffer
      - .actual_access:  read_only
        .address_space:  global
        .offset:         56
        .size:           8
        .value_kind:     global_buffer
      - .actual_access:  read_only
        .address_space:  global
        .offset:         64
        .size:           8
        .value_kind:     global_buffer
      - .offset:         72
        .size:           4
        .value_kind:     by_value
      - .offset:         76
        .size:           4
        .value_kind:     by_value
    .group_segment_fixed_size: 65536
    .kernarg_segment_align: 8
    .kernarg_segment_size: 80
    .language:       OpenCL C
    .language_version:
      - 2
      - 0
    .max_flat_workgroup_size: 512
    .name:           _Z17wvSplitKQ_hf_sml_I14__hip_bfloat16N3c1015Float8_e4m3fnuzELi32ELi2ELi16ELi16ELi2ELi2EEviiiiiiPKT0_S5_PKT_PS6_PKfSB_ii
    .private_segment_fixed_size: 0
    .sgpr_count:     41
    .sgpr_spill_count: 0
    .symbol:         _Z17wvSplitKQ_hf_sml_I14__hip_bfloat16N3c1015Float8_e4m3fnuzELi32ELi2ELi16ELi16ELi2ELi2EEviiiiiiPKT0_S5_PKT_PS6_PKfSB_ii.kd
    .uniform_work_group_size: 1
    .uses_dynamic_stack: false
    .vgpr_count:     63
    .vgpr_spill_count: 0
    .wavefront_size: 64
  - .agpr_count:     0
    .args:
      - .offset:         0
        .size:           4
        .value_kind:     by_value
      - .offset:         4
        .size:           4
        .value_kind:     by_value
      - .offset:         8
        .size:           4
        .value_kind:     by_value
      - .offset:         12
        .size:           4
        .value_kind:     by_value
      - .offset:         16
        .size:           4
        .value_kind:     by_value
      - .offset:         20
        .size:           4
        .value_kind:     by_value
      - .address_space:  global
        .offset:         24
        .size:           8
        .value_kind:     global_buffer
      - .actual_access:  read_only
        .address_space:  global
        .offset:         32
        .size:           8
        .value_kind:     global_buffer
      - .actual_access:  read_only
        .address_space:  global
        .offset:         40
        .size:           8
        .value_kind:     global_buffer
      - .address_space:  global
        .offset:         48
        .size:           8
        .value_kind:     global_buffer
      - .actual_access:  read_only
        .address_space:  global
        .offset:         56
        .size:           8
        .value_kind:     global_buffer
      - .actual_access:  read_only
        .address_space:  global
        .offset:         64
        .size:           8
        .value_kind:     global_buffer
      - .offset:         72
        .size:           4
        .value_kind:     by_value
      - .offset:         76
        .size:           4
        .value_kind:     by_value
    .group_segment_fixed_size: 65536
    .kernarg_segment_align: 8
    .kernarg_segment_size: 80
    .language:       OpenCL C
    .language_version:
      - 2
      - 0
    .max_flat_workgroup_size: 512
    .name:           _Z13wvSplitKQ_hf_I14__hip_bfloat16N3c1015Float8_e4m3fnuzELi32ELi2ELi16ELi16ELi2ELi2EEviiiiiiPKT0_S5_PKT_PS6_PKfSB_ii
    .private_segment_fixed_size: 0
    .sgpr_count:     45
    .sgpr_spill_count: 0
    .symbol:         _Z13wvSplitKQ_hf_I14__hip_bfloat16N3c1015Float8_e4m3fnuzELi32ELi2ELi16ELi16ELi2ELi2EEviiiiiiPKT0_S5_PKT_PS6_PKfSB_ii.kd
    .uniform_work_group_size: 1
    .uses_dynamic_stack: false
    .vgpr_count:     62
    .vgpr_spill_count: 0
    .wavefront_size: 64
  - .agpr_count:     0
    .args:
      - .offset:         0
        .size:           4
        .value_kind:     by_value
      - .offset:         4
        .size:           4
        .value_kind:     by_value
      - .offset:         8
        .size:           4
        .value_kind:     by_value
      - .offset:         12
        .size:           4
        .value_kind:     by_value
      - .offset:         16
        .size:           4
        .value_kind:     by_value
      - .offset:         20
        .size:           4
        .value_kind:     by_value
      - .address_space:  global
        .offset:         24
        .size:           8
        .value_kind:     global_buffer
      - .actual_access:  read_only
        .address_space:  global
        .offset:         32
        .size:           8
        .value_kind:     global_buffer
      - .actual_access:  read_only
        .address_space:  global
        .offset:         40
        .size:           8
        .value_kind:     global_buffer
      - .address_space:  global
        .offset:         48
        .size:           8
        .value_kind:     global_buffer
      - .actual_access:  read_only
        .address_space:  global
        .offset:         56
        .size:           8
        .value_kind:     global_buffer
      - .actual_access:  read_only
        .address_space:  global
        .offset:         64
        .size:           8
        .value_kind:     global_buffer
      - .offset:         72
        .size:           4
        .value_kind:     by_value
      - .offset:         76
        .size:           4
        .value_kind:     by_value
    .group_segment_fixed_size: 65536
    .kernarg_segment_align: 8
    .kernarg_segment_size: 80
    .language:       OpenCL C
    .language_version:
      - 2
      - 0
    .max_flat_workgroup_size: 1024
    .name:           _Z17wvSplitKQ_hf_sml_I14__hip_bfloat16N3c1015Float8_e4m3fnuzELi64ELi2ELi16ELi16ELi2ELi2EEviiiiiiPKT0_S5_PKT_PS6_PKfSB_ii
    .private_segment_fixed_size: 0
    .sgpr_count:     41
    .sgpr_spill_count: 0
    .symbol:         _Z17wvSplitKQ_hf_sml_I14__hip_bfloat16N3c1015Float8_e4m3fnuzELi64ELi2ELi16ELi16ELi2ELi2EEviiiiiiPKT0_S5_PKT_PS6_PKfSB_ii.kd
    .uniform_work_group_size: 1
    .uses_dynamic_stack: false
    .vgpr_count:     63
    .vgpr_spill_count: 0
    .wavefront_size: 64
  - .agpr_count:     0
    .args:
      - .offset:         0
        .size:           4
        .value_kind:     by_value
      - .offset:         4
        .size:           4
        .value_kind:     by_value
      - .offset:         8
        .size:           4
        .value_kind:     by_value
      - .offset:         12
        .size:           4
        .value_kind:     by_value
      - .offset:         16
        .size:           4
        .value_kind:     by_value
      - .offset:         20
        .size:           4
        .value_kind:     by_value
      - .address_space:  global
        .offset:         24
        .size:           8
        .value_kind:     global_buffer
      - .actual_access:  read_only
        .address_space:  global
        .offset:         32
        .size:           8
        .value_kind:     global_buffer
      - .actual_access:  read_only
        .address_space:  global
        .offset:         40
        .size:           8
        .value_kind:     global_buffer
      - .address_space:  global
        .offset:         48
        .size:           8
        .value_kind:     global_buffer
      - .actual_access:  read_only
        .address_space:  global
        .offset:         56
        .size:           8
        .value_kind:     global_buffer
      - .actual_access:  read_only
        .address_space:  global
        .offset:         64
        .size:           8
        .value_kind:     global_buffer
      - .offset:         72
        .size:           4
        .value_kind:     by_value
      - .offset:         76
        .size:           4
        .value_kind:     by_value
    .group_segment_fixed_size: 65536
    .kernarg_segment_align: 8
    .kernarg_segment_size: 80
    .language:       OpenCL C
    .language_version:
      - 2
      - 0
    .max_flat_workgroup_size: 1024
    .name:           _Z13wvSplitKQ_hf_I14__hip_bfloat16N3c1015Float8_e4m3fnuzELi64ELi2ELi16ELi16ELi2ELi2EEviiiiiiPKT0_S5_PKT_PS6_PKfSB_ii
    .private_segment_fixed_size: 0
    .sgpr_count:     45
    .sgpr_spill_count: 0
    .symbol:         _Z13wvSplitKQ_hf_I14__hip_bfloat16N3c1015Float8_e4m3fnuzELi64ELi2ELi16ELi16ELi2ELi2EEviiiiiiPKT0_S5_PKT_PS6_PKfSB_ii.kd
    .uniform_work_group_size: 1
    .uses_dynamic_stack: false
    .vgpr_count:     62
    .vgpr_spill_count: 0
    .wavefront_size: 64
  - .agpr_count:     0
    .args:
      - .offset:         0
        .size:           4
        .value_kind:     by_value
      - .offset:         4
        .size:           4
        .value_kind:     by_value
      - .offset:         8
        .size:           4
        .value_kind:     by_value
      - .offset:         12
        .size:           4
        .value_kind:     by_value
      - .offset:         16
        .size:           4
        .value_kind:     by_value
      - .offset:         20
        .size:           4
        .value_kind:     by_value
      - .address_space:  global
        .offset:         24
        .size:           8
        .value_kind:     global_buffer
      - .actual_access:  read_only
        .address_space:  global
        .offset:         32
        .size:           8
        .value_kind:     global_buffer
      - .actual_access:  read_only
        .address_space:  global
        .offset:         40
        .size:           8
        .value_kind:     global_buffer
      - .address_space:  global
        .offset:         48
        .size:           8
        .value_kind:     global_buffer
      - .actual_access:  read_only
        .address_space:  global
        .offset:         56
        .size:           8
        .value_kind:     global_buffer
      - .actual_access:  read_only
        .address_space:  global
        .offset:         64
        .size:           8
        .value_kind:     global_buffer
      - .offset:         72
        .size:           4
        .value_kind:     by_value
      - .offset:         76
        .size:           4
        .value_kind:     by_value
    .group_segment_fixed_size: 65536
    .kernarg_segment_align: 8
    .kernarg_segment_size: 80
    .language:       OpenCL C
    .language_version:
      - 2
      - 0
    .max_flat_workgroup_size: 512
    .name:           _Z17wvSplitKQ_hf_sml_I14__hip_bfloat16N3c1015Float8_e4m3fnuzELi32ELi2ELi16ELi16ELi1ELi3EEviiiiiiPKT0_S5_PKT_PS6_PKfSB_ii
    .private_segment_fixed_size: 0
    .sgpr_count:     43
    .sgpr_spill_count: 0
    .symbol:         _Z17wvSplitKQ_hf_sml_I14__hip_bfloat16N3c1015Float8_e4m3fnuzELi32ELi2ELi16ELi16ELi1ELi3EEviiiiiiPKT0_S5_PKT_PS6_PKfSB_ii.kd
    .uniform_work_group_size: 1
    .uses_dynamic_stack: false
    .vgpr_count:     59
    .vgpr_spill_count: 0
    .wavefront_size: 64
  - .agpr_count:     0
    .args:
      - .offset:         0
        .size:           4
        .value_kind:     by_value
      - .offset:         4
        .size:           4
        .value_kind:     by_value
      - .offset:         8
        .size:           4
        .value_kind:     by_value
      - .offset:         12
        .size:           4
        .value_kind:     by_value
      - .offset:         16
        .size:           4
        .value_kind:     by_value
      - .offset:         20
        .size:           4
        .value_kind:     by_value
      - .address_space:  global
        .offset:         24
        .size:           8
        .value_kind:     global_buffer
      - .actual_access:  read_only
        .address_space:  global
        .offset:         32
        .size:           8
        .value_kind:     global_buffer
      - .actual_access:  read_only
        .address_space:  global
        .offset:         40
        .size:           8
        .value_kind:     global_buffer
      - .address_space:  global
        .offset:         48
        .size:           8
        .value_kind:     global_buffer
      - .actual_access:  read_only
        .address_space:  global
        .offset:         56
        .size:           8
        .value_kind:     global_buffer
      - .actual_access:  read_only
        .address_space:  global
        .offset:         64
        .size:           8
        .value_kind:     global_buffer
      - .offset:         72
        .size:           4
        .value_kind:     by_value
      - .offset:         76
        .size:           4
        .value_kind:     by_value
    .group_segment_fixed_size: 65536
    .kernarg_segment_align: 8
    .kernarg_segment_size: 80
    .language:       OpenCL C
    .language_version:
      - 2
      - 0
    .max_flat_workgroup_size: 512
    .name:           _Z13wvSplitKQ_hf_I14__hip_bfloat16N3c1015Float8_e4m3fnuzELi32ELi2ELi16ELi16ELi1ELi3EEviiiiiiPKT0_S5_PKT_PS6_PKfSB_ii
    .private_segment_fixed_size: 0
    .sgpr_count:     46
    .sgpr_spill_count: 0
    .symbol:         _Z13wvSplitKQ_hf_I14__hip_bfloat16N3c1015Float8_e4m3fnuzELi32ELi2ELi16ELi16ELi1ELi3EEviiiiiiPKT0_S5_PKT_PS6_PKfSB_ii.kd
    .uniform_work_group_size: 1
    .uses_dynamic_stack: false
    .vgpr_count:     59
    .vgpr_spill_count: 0
    .wavefront_size: 64
  - .agpr_count:     0
    .args:
      - .offset:         0
        .size:           4
        .value_kind:     by_value
      - .offset:         4
        .size:           4
        .value_kind:     by_value
      - .offset:         8
        .size:           4
        .value_kind:     by_value
      - .offset:         12
        .size:           4
        .value_kind:     by_value
      - .offset:         16
        .size:           4
        .value_kind:     by_value
      - .offset:         20
        .size:           4
        .value_kind:     by_value
      - .address_space:  global
        .offset:         24
        .size:           8
        .value_kind:     global_buffer
      - .actual_access:  read_only
        .address_space:  global
        .offset:         32
        .size:           8
        .value_kind:     global_buffer
      - .actual_access:  read_only
        .address_space:  global
        .offset:         40
        .size:           8
        .value_kind:     global_buffer
      - .address_space:  global
        .offset:         48
        .size:           8
        .value_kind:     global_buffer
      - .actual_access:  read_only
        .address_space:  global
        .offset:         56
        .size:           8
        .value_kind:     global_buffer
      - .actual_access:  read_only
        .address_space:  global
        .offset:         64
        .size:           8
        .value_kind:     global_buffer
      - .offset:         72
        .size:           4
        .value_kind:     by_value
      - .offset:         76
        .size:           4
        .value_kind:     by_value
    .group_segment_fixed_size: 65536
    .kernarg_segment_align: 8
    .kernarg_segment_size: 80
    .language:       OpenCL C
    .language_version:
      - 2
      - 0
    .max_flat_workgroup_size: 1024
    .name:           _Z17wvSplitKQ_hf_sml_I14__hip_bfloat16N3c1015Float8_e4m3fnuzELi64ELi2ELi16ELi16ELi1ELi3EEviiiiiiPKT0_S5_PKT_PS6_PKfSB_ii
    .private_segment_fixed_size: 0
    .sgpr_count:     43
    .sgpr_spill_count: 0
    .symbol:         _Z17wvSplitKQ_hf_sml_I14__hip_bfloat16N3c1015Float8_e4m3fnuzELi64ELi2ELi16ELi16ELi1ELi3EEviiiiiiPKT0_S5_PKT_PS6_PKfSB_ii.kd
    .uniform_work_group_size: 1
    .uses_dynamic_stack: false
    .vgpr_count:     59
    .vgpr_spill_count: 0
    .wavefront_size: 64
  - .agpr_count:     0
    .args:
      - .offset:         0
        .size:           4
        .value_kind:     by_value
      - .offset:         4
        .size:           4
        .value_kind:     by_value
      - .offset:         8
        .size:           4
        .value_kind:     by_value
      - .offset:         12
        .size:           4
        .value_kind:     by_value
      - .offset:         16
        .size:           4
        .value_kind:     by_value
      - .offset:         20
        .size:           4
        .value_kind:     by_value
      - .address_space:  global
        .offset:         24
        .size:           8
        .value_kind:     global_buffer
      - .actual_access:  read_only
        .address_space:  global
        .offset:         32
        .size:           8
        .value_kind:     global_buffer
      - .actual_access:  read_only
        .address_space:  global
        .offset:         40
        .size:           8
        .value_kind:     global_buffer
      - .address_space:  global
        .offset:         48
        .size:           8
        .value_kind:     global_buffer
      - .actual_access:  read_only
        .address_space:  global
        .offset:         56
        .size:           8
        .value_kind:     global_buffer
      - .actual_access:  read_only
        .address_space:  global
        .offset:         64
        .size:           8
        .value_kind:     global_buffer
      - .offset:         72
        .size:           4
        .value_kind:     by_value
      - .offset:         76
        .size:           4
        .value_kind:     by_value
    .group_segment_fixed_size: 65536
    .kernarg_segment_align: 8
    .kernarg_segment_size: 80
    .language:       OpenCL C
    .language_version:
      - 2
      - 0
    .max_flat_workgroup_size: 1024
    .name:           _Z13wvSplitKQ_hf_I14__hip_bfloat16N3c1015Float8_e4m3fnuzELi64ELi2ELi16ELi16ELi1ELi3EEviiiiiiPKT0_S5_PKT_PS6_PKfSB_ii
    .private_segment_fixed_size: 0
    .sgpr_count:     46
    .sgpr_spill_count: 0
    .symbol:         _Z13wvSplitKQ_hf_I14__hip_bfloat16N3c1015Float8_e4m3fnuzELi64ELi2ELi16ELi16ELi1ELi3EEviiiiiiPKT0_S5_PKT_PS6_PKfSB_ii.kd
    .uniform_work_group_size: 1
    .uses_dynamic_stack: false
    .vgpr_count:     59
    .vgpr_spill_count: 0
    .wavefront_size: 64
  - .agpr_count:     0
    .args:
      - .offset:         0
        .size:           4
        .value_kind:     by_value
      - .offset:         4
        .size:           4
        .value_kind:     by_value
      - .offset:         8
        .size:           4
        .value_kind:     by_value
      - .offset:         12
        .size:           4
        .value_kind:     by_value
      - .offset:         16
        .size:           4
        .value_kind:     by_value
      - .offset:         20
        .size:           4
        .value_kind:     by_value
      - .address_space:  global
        .offset:         24
        .size:           8
        .value_kind:     global_buffer
      - .actual_access:  read_only
        .address_space:  global
        .offset:         32
        .size:           8
        .value_kind:     global_buffer
      - .actual_access:  read_only
        .address_space:  global
        .offset:         40
        .size:           8
        .value_kind:     global_buffer
      - .address_space:  global
        .offset:         48
        .size:           8
        .value_kind:     global_buffer
      - .actual_access:  read_only
        .address_space:  global
        .offset:         56
        .size:           8
        .value_kind:     global_buffer
      - .actual_access:  read_only
        .address_space:  global
        .offset:         64
        .size:           8
        .value_kind:     global_buffer
      - .offset:         72
        .size:           4
        .value_kind:     by_value
      - .offset:         76
        .size:           4
        .value_kind:     by_value
    .group_segment_fixed_size: 65536
    .kernarg_segment_align: 8
    .kernarg_segment_size: 80
    .language:       OpenCL C
    .language_version:
      - 2
      - 0
    .max_flat_workgroup_size: 512
    .name:           _Z17wvSplitKQ_hf_sml_I14__hip_bfloat16N3c1015Float8_e4m3fnuzELi32ELi2ELi16ELi16ELi1ELi4EEviiiiiiPKT0_S5_PKT_PS6_PKfSB_ii
    .private_segment_fixed_size: 0
    .sgpr_count:     45
    .sgpr_spill_count: 0
    .symbol:         _Z17wvSplitKQ_hf_sml_I14__hip_bfloat16N3c1015Float8_e4m3fnuzELi32ELi2ELi16ELi16ELi1ELi4EEviiiiiiPKT0_S5_PKT_PS6_PKfSB_ii.kd
    .uniform_work_group_size: 1
    .uses_dynamic_stack: false
    .vgpr_count:     72
    .vgpr_spill_count: 0
    .wavefront_size: 64
  - .agpr_count:     0
    .args:
      - .offset:         0
        .size:           4
        .value_kind:     by_value
      - .offset:         4
        .size:           4
        .value_kind:     by_value
      - .offset:         8
        .size:           4
        .value_kind:     by_value
      - .offset:         12
        .size:           4
        .value_kind:     by_value
      - .offset:         16
        .size:           4
        .value_kind:     by_value
      - .offset:         20
        .size:           4
        .value_kind:     by_value
      - .address_space:  global
        .offset:         24
        .size:           8
        .value_kind:     global_buffer
      - .actual_access:  read_only
        .address_space:  global
        .offset:         32
        .size:           8
        .value_kind:     global_buffer
      - .actual_access:  read_only
        .address_space:  global
        .offset:         40
        .size:           8
        .value_kind:     global_buffer
      - .address_space:  global
        .offset:         48
        .size:           8
        .value_kind:     global_buffer
      - .actual_access:  read_only
        .address_space:  global
        .offset:         56
        .size:           8
        .value_kind:     global_buffer
      - .actual_access:  read_only
        .address_space:  global
        .offset:         64
        .size:           8
        .value_kind:     global_buffer
      - .offset:         72
        .size:           4
        .value_kind:     by_value
      - .offset:         76
        .size:           4
        .value_kind:     by_value
    .group_segment_fixed_size: 65536
    .kernarg_segment_align: 8
    .kernarg_segment_size: 80
    .language:       OpenCL C
    .language_version:
      - 2
      - 0
    .max_flat_workgroup_size: 512
    .name:           _Z13wvSplitKQ_hf_I14__hip_bfloat16N3c1015Float8_e4m3fnuzELi32ELi2ELi16ELi16ELi1ELi4EEviiiiiiPKT0_S5_PKT_PS6_PKfSB_ii
    .private_segment_fixed_size: 0
    .sgpr_count:     48
    .sgpr_spill_count: 0
    .symbol:         _Z13wvSplitKQ_hf_I14__hip_bfloat16N3c1015Float8_e4m3fnuzELi32ELi2ELi16ELi16ELi1ELi4EEviiiiiiPKT0_S5_PKT_PS6_PKfSB_ii.kd
    .uniform_work_group_size: 1
    .uses_dynamic_stack: false
    .vgpr_count:     72
    .vgpr_spill_count: 0
    .wavefront_size: 64
  - .agpr_count:     0
    .args:
      - .offset:         0
        .size:           4
        .value_kind:     by_value
      - .offset:         4
        .size:           4
        .value_kind:     by_value
      - .offset:         8
        .size:           4
        .value_kind:     by_value
      - .offset:         12
        .size:           4
        .value_kind:     by_value
      - .offset:         16
        .size:           4
        .value_kind:     by_value
      - .offset:         20
        .size:           4
        .value_kind:     by_value
      - .address_space:  global
        .offset:         24
        .size:           8
        .value_kind:     global_buffer
      - .actual_access:  read_only
        .address_space:  global
        .offset:         32
        .size:           8
        .value_kind:     global_buffer
      - .actual_access:  read_only
        .address_space:  global
        .offset:         40
        .size:           8
        .value_kind:     global_buffer
      - .address_space:  global
        .offset:         48
        .size:           8
        .value_kind:     global_buffer
      - .actual_access:  read_only
        .address_space:  global
        .offset:         56
        .size:           8
        .value_kind:     global_buffer
      - .actual_access:  read_only
        .address_space:  global
        .offset:         64
        .size:           8
        .value_kind:     global_buffer
      - .offset:         72
        .size:           4
        .value_kind:     by_value
      - .offset:         76
        .size:           4
        .value_kind:     by_value
    .group_segment_fixed_size: 65536
    .kernarg_segment_align: 8
    .kernarg_segment_size: 80
    .language:       OpenCL C
    .language_version:
      - 2
      - 0
    .max_flat_workgroup_size: 1024
    .name:           _Z17wvSplitKQ_hf_sml_I14__hip_bfloat16N3c1015Float8_e4m3fnuzELi64ELi2ELi16ELi16ELi1ELi4EEviiiiiiPKT0_S5_PKT_PS6_PKfSB_ii
    .private_segment_fixed_size: 0
    .sgpr_count:     45
    .sgpr_spill_count: 0
    .symbol:         _Z17wvSplitKQ_hf_sml_I14__hip_bfloat16N3c1015Float8_e4m3fnuzELi64ELi2ELi16ELi16ELi1ELi4EEviiiiiiPKT0_S5_PKT_PS6_PKfSB_ii.kd
    .uniform_work_group_size: 1
    .uses_dynamic_stack: false
    .vgpr_count:     72
    .vgpr_spill_count: 0
    .wavefront_size: 64
  - .agpr_count:     0
    .args:
      - .offset:         0
        .size:           4
        .value_kind:     by_value
      - .offset:         4
        .size:           4
        .value_kind:     by_value
      - .offset:         8
        .size:           4
        .value_kind:     by_value
      - .offset:         12
        .size:           4
        .value_kind:     by_value
      - .offset:         16
        .size:           4
        .value_kind:     by_value
      - .offset:         20
        .size:           4
        .value_kind:     by_value
      - .address_space:  global
        .offset:         24
        .size:           8
        .value_kind:     global_buffer
      - .actual_access:  read_only
        .address_space:  global
        .offset:         32
        .size:           8
        .value_kind:     global_buffer
      - .actual_access:  read_only
        .address_space:  global
        .offset:         40
        .size:           8
        .value_kind:     global_buffer
      - .address_space:  global
        .offset:         48
        .size:           8
        .value_kind:     global_buffer
      - .actual_access:  read_only
        .address_space:  global
        .offset:         56
        .size:           8
        .value_kind:     global_buffer
      - .actual_access:  read_only
        .address_space:  global
        .offset:         64
        .size:           8
        .value_kind:     global_buffer
      - .offset:         72
        .size:           4
        .value_kind:     by_value
      - .offset:         76
        .size:           4
        .value_kind:     by_value
    .group_segment_fixed_size: 65536
    .kernarg_segment_align: 8
    .kernarg_segment_size: 80
    .language:       OpenCL C
    .language_version:
      - 2
      - 0
    .max_flat_workgroup_size: 1024
    .name:           _Z13wvSplitKQ_hf_I14__hip_bfloat16N3c1015Float8_e4m3fnuzELi64ELi2ELi16ELi16ELi1ELi4EEviiiiiiPKT0_S5_PKT_PS6_PKfSB_ii
    .private_segment_fixed_size: 0
    .sgpr_count:     48
    .sgpr_spill_count: 0
    .symbol:         _Z13wvSplitKQ_hf_I14__hip_bfloat16N3c1015Float8_e4m3fnuzELi64ELi2ELi16ELi16ELi1ELi4EEviiiiiiPKT0_S5_PKT_PS6_PKfSB_ii.kd
    .uniform_work_group_size: 1
    .uses_dynamic_stack: false
    .vgpr_count:     72
    .vgpr_spill_count: 0
    .wavefront_size: 64
amdhsa.target:   amdgcn-amd-amdhsa--gfx942
amdhsa.version:
  - 1
  - 2
...

	.end_amdgpu_metadata
